;; amdgpu-corpus repo=ROCm/hipCUB kind=compiled arch=gfx942 opt=O3
	.text
	.amdgcn_target "amdgcn-amd-amdhsa--gfx942"
	.amdhsa_code_object_version 6
	.section	.text._ZN7rocprim6detail31init_lookback_scan_state_kernelINS0_19lookback_scan_stateIiLb1ELb1EEEEEvT_jjPNS4_10value_typeE,"axG",@progbits,_ZN7rocprim6detail31init_lookback_scan_state_kernelINS0_19lookback_scan_stateIiLb1ELb1EEEEEvT_jjPNS4_10value_typeE,comdat
	.protected	_ZN7rocprim6detail31init_lookback_scan_state_kernelINS0_19lookback_scan_stateIiLb1ELb1EEEEEvT_jjPNS4_10value_typeE ; -- Begin function _ZN7rocprim6detail31init_lookback_scan_state_kernelINS0_19lookback_scan_stateIiLb1ELb1EEEEEvT_jjPNS4_10value_typeE
	.globl	_ZN7rocprim6detail31init_lookback_scan_state_kernelINS0_19lookback_scan_stateIiLb1ELb1EEEEEvT_jjPNS4_10value_typeE
	.p2align	8
	.type	_ZN7rocprim6detail31init_lookback_scan_state_kernelINS0_19lookback_scan_stateIiLb1ELb1EEEEEvT_jjPNS4_10value_typeE,@function
_ZN7rocprim6detail31init_lookback_scan_state_kernelINS0_19lookback_scan_stateIiLb1ELb1EEEEEvT_jjPNS4_10value_typeE: ; @_ZN7rocprim6detail31init_lookback_scan_state_kernelINS0_19lookback_scan_stateIiLb1ELb1EEEEEvT_jjPNS4_10value_typeE
; %bb.0:
	s_load_dword s3, s[0:1], 0x24
	s_load_dwordx2 s[8:9], s[0:1], 0x10
	s_load_dwordx4 s[4:7], s[0:1], 0x0
	s_waitcnt lgkmcnt(0)
	s_and_b32 s0, s3, 0xffff
	s_mul_i32 s2, s2, s0
	s_cmp_eq_u64 s[8:9], 0
	v_add_u32_e32 v0, s2, v0
	s_cbranch_scc1 .LBB0_9
; %bb.1:
	s_cmp_lt_u32 s7, s6
	s_cselect_b32 s0, s7, 0
	s_mov_b32 s3, 0
	v_cmp_eq_u32_e32 vcc, s0, v0
	s_and_saveexec_b64 s[0:1], vcc
	s_cbranch_execz .LBB0_8
; %bb.2:
	s_add_i32 s2, s7, 64
	s_lshl_b64 s[2:3], s[2:3], 3
	s_add_u32 s2, s4, s2
	s_addc_u32 s3, s5, s3
	v_mov_b32_e32 v2, 0
	global_load_dwordx2 v[4:5], v2, s[2:3] sc1
	s_waitcnt vmcnt(0)
	v_and_b32_e32 v3, 0xff, v5
	v_cmp_ne_u64_e32 vcc, 0, v[2:3]
	s_cbranch_vccnz .LBB0_7
; %bb.3:
	s_mov_b32 s7, 1
.LBB0_4:                                ; =>This Loop Header: Depth=1
                                        ;     Child Loop BB0_5 Depth 2
	s_max_u32 s10, s7, 1
.LBB0_5:                                ;   Parent Loop BB0_4 Depth=1
                                        ; =>  This Inner Loop Header: Depth=2
	s_add_i32 s10, s10, -1
	s_cmp_eq_u32 s10, 0
	s_sleep 1
	s_cbranch_scc0 .LBB0_5
; %bb.6:                                ;   in Loop: Header=BB0_4 Depth=1
	global_load_dwordx2 v[4:5], v2, s[2:3] sc1
	s_cmp_lt_u32 s7, 32
	s_cselect_b64 s[10:11], -1, 0
	s_cmp_lg_u64 s[10:11], 0
	s_addc_u32 s7, s7, 0
	s_waitcnt vmcnt(0)
	v_and_b32_e32 v3, 0xff, v5
	v_cmp_ne_u64_e32 vcc, 0, v[2:3]
	s_cbranch_vccz .LBB0_4
.LBB0_7:
	v_mov_b32_e32 v1, 0
	global_store_dword v1, v4, s[8:9]
.LBB0_8:
	s_or_b64 exec, exec, s[0:1]
.LBB0_9:
	v_cmp_gt_u32_e32 vcc, s6, v0
	s_and_saveexec_b64 s[0:1], vcc
	s_cbranch_execnz .LBB0_12
; %bb.10:
	s_or_b64 exec, exec, s[0:1]
	v_cmp_gt_u32_e32 vcc, 64, v0
	s_and_saveexec_b64 s[0:1], vcc
	s_cbranch_execnz .LBB0_13
.LBB0_11:
	s_endpgm
.LBB0_12:
	v_add_u32_e32 v2, 64, v0
	v_mov_b32_e32 v3, 0
	v_lshl_add_u64 v[4:5], v[2:3], 3, s[4:5]
	v_mov_b32_e32 v2, v3
	global_store_dwordx2 v[4:5], v[2:3], off
	s_or_b64 exec, exec, s[0:1]
	v_cmp_gt_u32_e32 vcc, 64, v0
	s_and_saveexec_b64 s[0:1], vcc
	s_cbranch_execz .LBB0_11
.LBB0_13:
	v_mov_b32_e32 v1, 0
	v_lshl_add_u64 v[2:3], v[0:1], 3, s[4:5]
	v_mov_b32_e32 v5, 0xff
	v_mov_b32_e32 v4, v1
	global_store_dwordx2 v[2:3], v[4:5], off
	s_endpgm
	.section	.rodata,"a",@progbits
	.p2align	6, 0x0
	.amdhsa_kernel _ZN7rocprim6detail31init_lookback_scan_state_kernelINS0_19lookback_scan_stateIiLb1ELb1EEEEEvT_jjPNS4_10value_typeE
		.amdhsa_group_segment_fixed_size 0
		.amdhsa_private_segment_fixed_size 0
		.amdhsa_kernarg_size 280
		.amdhsa_user_sgpr_count 2
		.amdhsa_user_sgpr_dispatch_ptr 0
		.amdhsa_user_sgpr_queue_ptr 0
		.amdhsa_user_sgpr_kernarg_segment_ptr 1
		.amdhsa_user_sgpr_dispatch_id 0
		.amdhsa_user_sgpr_kernarg_preload_length 0
		.amdhsa_user_sgpr_kernarg_preload_offset 0
		.amdhsa_user_sgpr_private_segment_size 0
		.amdhsa_uses_dynamic_stack 0
		.amdhsa_enable_private_segment 0
		.amdhsa_system_sgpr_workgroup_id_x 1
		.amdhsa_system_sgpr_workgroup_id_y 0
		.amdhsa_system_sgpr_workgroup_id_z 0
		.amdhsa_system_sgpr_workgroup_info 0
		.amdhsa_system_vgpr_workitem_id 0
		.amdhsa_next_free_vgpr 6
		.amdhsa_next_free_sgpr 12
		.amdhsa_accum_offset 8
		.amdhsa_reserve_vcc 1
		.amdhsa_float_round_mode_32 0
		.amdhsa_float_round_mode_16_64 0
		.amdhsa_float_denorm_mode_32 3
		.amdhsa_float_denorm_mode_16_64 3
		.amdhsa_dx10_clamp 1
		.amdhsa_ieee_mode 1
		.amdhsa_fp16_overflow 0
		.amdhsa_tg_split 0
		.amdhsa_exception_fp_ieee_invalid_op 0
		.amdhsa_exception_fp_denorm_src 0
		.amdhsa_exception_fp_ieee_div_zero 0
		.amdhsa_exception_fp_ieee_overflow 0
		.amdhsa_exception_fp_ieee_underflow 0
		.amdhsa_exception_fp_ieee_inexact 0
		.amdhsa_exception_int_div_zero 0
	.end_amdhsa_kernel
	.section	.text._ZN7rocprim6detail31init_lookback_scan_state_kernelINS0_19lookback_scan_stateIiLb1ELb1EEEEEvT_jjPNS4_10value_typeE,"axG",@progbits,_ZN7rocprim6detail31init_lookback_scan_state_kernelINS0_19lookback_scan_stateIiLb1ELb1EEEEEvT_jjPNS4_10value_typeE,comdat
.Lfunc_end0:
	.size	_ZN7rocprim6detail31init_lookback_scan_state_kernelINS0_19lookback_scan_stateIiLb1ELb1EEEEEvT_jjPNS4_10value_typeE, .Lfunc_end0-_ZN7rocprim6detail31init_lookback_scan_state_kernelINS0_19lookback_scan_stateIiLb1ELb1EEEEEvT_jjPNS4_10value_typeE
                                        ; -- End function
	.section	.AMDGPU.csdata,"",@progbits
; Kernel info:
; codeLenInByte = 320
; NumSgprs: 18
; NumVgprs: 6
; NumAgprs: 0
; TotalNumVgprs: 6
; ScratchSize: 0
; MemoryBound: 0
; FloatMode: 240
; IeeeMode: 1
; LDSByteSize: 0 bytes/workgroup (compile time only)
; SGPRBlocks: 2
; VGPRBlocks: 0
; NumSGPRsForWavesPerEU: 18
; NumVGPRsForWavesPerEU: 6
; AccumOffset: 8
; Occupancy: 8
; WaveLimiterHint : 0
; COMPUTE_PGM_RSRC2:SCRATCH_EN: 0
; COMPUTE_PGM_RSRC2:USER_SGPR: 2
; COMPUTE_PGM_RSRC2:TRAP_HANDLER: 0
; COMPUTE_PGM_RSRC2:TGID_X_EN: 1
; COMPUTE_PGM_RSRC2:TGID_Y_EN: 0
; COMPUTE_PGM_RSRC2:TGID_Z_EN: 0
; COMPUTE_PGM_RSRC2:TIDIG_COMP_CNT: 0
; COMPUTE_PGM_RSRC3_GFX90A:ACCUM_OFFSET: 1
; COMPUTE_PGM_RSRC3_GFX90A:TG_SPLIT: 0
	.section	.text._ZN7rocprim6detail31init_lookback_scan_state_kernelINS0_19lookback_scan_stateIiLb0ELb1EEEEEvT_jjPNS4_10value_typeE,"axG",@progbits,_ZN7rocprim6detail31init_lookback_scan_state_kernelINS0_19lookback_scan_stateIiLb0ELb1EEEEEvT_jjPNS4_10value_typeE,comdat
	.protected	_ZN7rocprim6detail31init_lookback_scan_state_kernelINS0_19lookback_scan_stateIiLb0ELb1EEEEEvT_jjPNS4_10value_typeE ; -- Begin function _ZN7rocprim6detail31init_lookback_scan_state_kernelINS0_19lookback_scan_stateIiLb0ELb1EEEEEvT_jjPNS4_10value_typeE
	.globl	_ZN7rocprim6detail31init_lookback_scan_state_kernelINS0_19lookback_scan_stateIiLb0ELb1EEEEEvT_jjPNS4_10value_typeE
	.p2align	8
	.type	_ZN7rocprim6detail31init_lookback_scan_state_kernelINS0_19lookback_scan_stateIiLb0ELb1EEEEEvT_jjPNS4_10value_typeE,@function
_ZN7rocprim6detail31init_lookback_scan_state_kernelINS0_19lookback_scan_stateIiLb0ELb1EEEEEvT_jjPNS4_10value_typeE: ; @_ZN7rocprim6detail31init_lookback_scan_state_kernelINS0_19lookback_scan_stateIiLb0ELb1EEEEEvT_jjPNS4_10value_typeE
; %bb.0:
	s_load_dword s3, s[0:1], 0x24
	s_load_dwordx2 s[8:9], s[0:1], 0x10
	s_load_dwordx4 s[4:7], s[0:1], 0x0
	s_waitcnt lgkmcnt(0)
	s_and_b32 s0, s3, 0xffff
	s_mul_i32 s2, s2, s0
	s_cmp_eq_u64 s[8:9], 0
	v_add_u32_e32 v0, s2, v0
	s_cbranch_scc1 .LBB1_6
; %bb.1:
	s_cmp_lt_u32 s7, s6
	s_cselect_b32 s0, s7, 0
	s_mov_b32 s3, 0
	v_cmp_eq_u32_e32 vcc, s0, v0
	s_and_saveexec_b64 s[0:1], vcc
	s_cbranch_execz .LBB1_5
; %bb.2:
	s_add_i32 s2, s7, 64
	s_lshl_b64 s[2:3], s[2:3], 3
	s_add_u32 s2, s4, s2
	s_addc_u32 s3, s5, s3
	v_mov_b32_e32 v4, 0
	global_load_dwordx2 v[2:3], v4, s[2:3] sc1
	s_waitcnt vmcnt(0)
	v_and_b32_e32 v5, 0xff, v3
	v_cmp_ne_u64_e32 vcc, 0, v[4:5]
	s_cbranch_vccnz .LBB1_4
.LBB1_3:                                ; =>This Inner Loop Header: Depth=1
	global_load_dwordx2 v[2:3], v4, s[2:3] sc1
	s_waitcnt vmcnt(0)
	v_and_b32_e32 v5, 0xff, v3
	v_cmp_eq_u64_e32 vcc, 0, v[4:5]
	s_cbranch_vccnz .LBB1_3
.LBB1_4:
	v_mov_b32_e32 v1, 0
	global_store_dword v1, v2, s[8:9]
.LBB1_5:
	s_or_b64 exec, exec, s[0:1]
.LBB1_6:
	v_cmp_gt_u32_e32 vcc, s6, v0
	s_and_saveexec_b64 s[0:1], vcc
	s_cbranch_execnz .LBB1_9
; %bb.7:
	s_or_b64 exec, exec, s[0:1]
	v_cmp_gt_u32_e32 vcc, 64, v0
	s_and_saveexec_b64 s[0:1], vcc
	s_cbranch_execnz .LBB1_10
.LBB1_8:
	s_endpgm
.LBB1_9:
	v_add_u32_e32 v2, 64, v0
	v_mov_b32_e32 v3, 0
	v_lshl_add_u64 v[4:5], v[2:3], 3, s[4:5]
	v_mov_b32_e32 v2, v3
	global_store_dwordx2 v[4:5], v[2:3], off
	s_or_b64 exec, exec, s[0:1]
	v_cmp_gt_u32_e32 vcc, 64, v0
	s_and_saveexec_b64 s[0:1], vcc
	s_cbranch_execz .LBB1_8
.LBB1_10:
	v_mov_b32_e32 v1, 0
	v_lshl_add_u64 v[2:3], v[0:1], 3, s[4:5]
	v_mov_b32_e32 v5, 0xff
	v_mov_b32_e32 v4, v1
	global_store_dwordx2 v[2:3], v[4:5], off
	s_endpgm
	.section	.rodata,"a",@progbits
	.p2align	6, 0x0
	.amdhsa_kernel _ZN7rocprim6detail31init_lookback_scan_state_kernelINS0_19lookback_scan_stateIiLb0ELb1EEEEEvT_jjPNS4_10value_typeE
		.amdhsa_group_segment_fixed_size 0
		.amdhsa_private_segment_fixed_size 0
		.amdhsa_kernarg_size 280
		.amdhsa_user_sgpr_count 2
		.amdhsa_user_sgpr_dispatch_ptr 0
		.amdhsa_user_sgpr_queue_ptr 0
		.amdhsa_user_sgpr_kernarg_segment_ptr 1
		.amdhsa_user_sgpr_dispatch_id 0
		.amdhsa_user_sgpr_kernarg_preload_length 0
		.amdhsa_user_sgpr_kernarg_preload_offset 0
		.amdhsa_user_sgpr_private_segment_size 0
		.amdhsa_uses_dynamic_stack 0
		.amdhsa_enable_private_segment 0
		.amdhsa_system_sgpr_workgroup_id_x 1
		.amdhsa_system_sgpr_workgroup_id_y 0
		.amdhsa_system_sgpr_workgroup_id_z 0
		.amdhsa_system_sgpr_workgroup_info 0
		.amdhsa_system_vgpr_workitem_id 0
		.amdhsa_next_free_vgpr 6
		.amdhsa_next_free_sgpr 10
		.amdhsa_accum_offset 8
		.amdhsa_reserve_vcc 1
		.amdhsa_float_round_mode_32 0
		.amdhsa_float_round_mode_16_64 0
		.amdhsa_float_denorm_mode_32 3
		.amdhsa_float_denorm_mode_16_64 3
		.amdhsa_dx10_clamp 1
		.amdhsa_ieee_mode 1
		.amdhsa_fp16_overflow 0
		.amdhsa_tg_split 0
		.amdhsa_exception_fp_ieee_invalid_op 0
		.amdhsa_exception_fp_denorm_src 0
		.amdhsa_exception_fp_ieee_div_zero 0
		.amdhsa_exception_fp_ieee_overflow 0
		.amdhsa_exception_fp_ieee_underflow 0
		.amdhsa_exception_fp_ieee_inexact 0
		.amdhsa_exception_int_div_zero 0
	.end_amdhsa_kernel
	.section	.text._ZN7rocprim6detail31init_lookback_scan_state_kernelINS0_19lookback_scan_stateIiLb0ELb1EEEEEvT_jjPNS4_10value_typeE,"axG",@progbits,_ZN7rocprim6detail31init_lookback_scan_state_kernelINS0_19lookback_scan_stateIiLb0ELb1EEEEEvT_jjPNS4_10value_typeE,comdat
.Lfunc_end1:
	.size	_ZN7rocprim6detail31init_lookback_scan_state_kernelINS0_19lookback_scan_stateIiLb0ELb1EEEEEvT_jjPNS4_10value_typeE, .Lfunc_end1-_ZN7rocprim6detail31init_lookback_scan_state_kernelINS0_19lookback_scan_stateIiLb0ELb1EEEEEvT_jjPNS4_10value_typeE
                                        ; -- End function
	.section	.AMDGPU.csdata,"",@progbits
; Kernel info:
; codeLenInByte = 280
; NumSgprs: 16
; NumVgprs: 6
; NumAgprs: 0
; TotalNumVgprs: 6
; ScratchSize: 0
; MemoryBound: 0
; FloatMode: 240
; IeeeMode: 1
; LDSByteSize: 0 bytes/workgroup (compile time only)
; SGPRBlocks: 1
; VGPRBlocks: 0
; NumSGPRsForWavesPerEU: 16
; NumVGPRsForWavesPerEU: 6
; AccumOffset: 8
; Occupancy: 8
; WaveLimiterHint : 0
; COMPUTE_PGM_RSRC2:SCRATCH_EN: 0
; COMPUTE_PGM_RSRC2:USER_SGPR: 2
; COMPUTE_PGM_RSRC2:TRAP_HANDLER: 0
; COMPUTE_PGM_RSRC2:TGID_X_EN: 1
; COMPUTE_PGM_RSRC2:TGID_Y_EN: 0
; COMPUTE_PGM_RSRC2:TGID_Z_EN: 0
; COMPUTE_PGM_RSRC2:TIDIG_COMP_CNT: 0
; COMPUTE_PGM_RSRC3_GFX90A:ACCUM_OFFSET: 1
; COMPUTE_PGM_RSRC3_GFX90A:TG_SPLIT: 0
	.section	.text._ZN7rocprim6detail20lookback_scan_kernelILNS0_25lookback_scan_determinismE0ELb0ENS0_19wrapped_scan_configINS_14default_configEiEEN6hipcub22TransformInputIteratorIiNS6_6CastOpIiEEPilEEPlNS6_3SumEiiNS0_19lookback_scan_stateIiLb1ELb1EEEEEvT2_T3_mT5_T4_T7_jPT6_SM_bb,"axG",@progbits,_ZN7rocprim6detail20lookback_scan_kernelILNS0_25lookback_scan_determinismE0ELb0ENS0_19wrapped_scan_configINS_14default_configEiEEN6hipcub22TransformInputIteratorIiNS6_6CastOpIiEEPilEEPlNS6_3SumEiiNS0_19lookback_scan_stateIiLb1ELb1EEEEEvT2_T3_mT5_T4_T7_jPT6_SM_bb,comdat
	.protected	_ZN7rocprim6detail20lookback_scan_kernelILNS0_25lookback_scan_determinismE0ELb0ENS0_19wrapped_scan_configINS_14default_configEiEEN6hipcub22TransformInputIteratorIiNS6_6CastOpIiEEPilEEPlNS6_3SumEiiNS0_19lookback_scan_stateIiLb1ELb1EEEEEvT2_T3_mT5_T4_T7_jPT6_SM_bb ; -- Begin function _ZN7rocprim6detail20lookback_scan_kernelILNS0_25lookback_scan_determinismE0ELb0ENS0_19wrapped_scan_configINS_14default_configEiEEN6hipcub22TransformInputIteratorIiNS6_6CastOpIiEEPilEEPlNS6_3SumEiiNS0_19lookback_scan_stateIiLb1ELb1EEEEEvT2_T3_mT5_T4_T7_jPT6_SM_bb
	.globl	_ZN7rocprim6detail20lookback_scan_kernelILNS0_25lookback_scan_determinismE0ELb0ENS0_19wrapped_scan_configINS_14default_configEiEEN6hipcub22TransformInputIteratorIiNS6_6CastOpIiEEPilEEPlNS6_3SumEiiNS0_19lookback_scan_stateIiLb1ELb1EEEEEvT2_T3_mT5_T4_T7_jPT6_SM_bb
	.p2align	8
	.type	_ZN7rocprim6detail20lookback_scan_kernelILNS0_25lookback_scan_determinismE0ELb0ENS0_19wrapped_scan_configINS_14default_configEiEEN6hipcub22TransformInputIteratorIiNS6_6CastOpIiEEPilEEPlNS6_3SumEiiNS0_19lookback_scan_stateIiLb1ELb1EEEEEvT2_T3_mT5_T4_T7_jPT6_SM_bb,@function
_ZN7rocprim6detail20lookback_scan_kernelILNS0_25lookback_scan_determinismE0ELb0ENS0_19wrapped_scan_configINS_14default_configEiEEN6hipcub22TransformInputIteratorIiNS6_6CastOpIiEEPilEEPlNS6_3SumEiiNS0_19lookback_scan_stateIiLb1ELb1EEEEEvT2_T3_mT5_T4_T7_jPT6_SM_bb: ; @_ZN7rocprim6detail20lookback_scan_kernelILNS0_25lookback_scan_determinismE0ELb0ENS0_19wrapped_scan_configINS_14default_configEiEEN6hipcub22TransformInputIteratorIiNS6_6CastOpIiEEPilEEPlNS6_3SumEiiNS0_19lookback_scan_stateIiLb1ELb1EEEEEvT2_T3_mT5_T4_T7_jPT6_SM_bb
; %bb.0:
	s_endpgm
	.section	.rodata,"a",@progbits
	.p2align	6, 0x0
	.amdhsa_kernel _ZN7rocprim6detail20lookback_scan_kernelILNS0_25lookback_scan_determinismE0ELb0ENS0_19wrapped_scan_configINS_14default_configEiEEN6hipcub22TransformInputIteratorIiNS6_6CastOpIiEEPilEEPlNS6_3SumEiiNS0_19lookback_scan_stateIiLb1ELb1EEEEEvT2_T3_mT5_T4_T7_jPT6_SM_bb
		.amdhsa_group_segment_fixed_size 0
		.amdhsa_private_segment_fixed_size 0
		.amdhsa_kernarg_size 76
		.amdhsa_user_sgpr_count 2
		.amdhsa_user_sgpr_dispatch_ptr 0
		.amdhsa_user_sgpr_queue_ptr 0
		.amdhsa_user_sgpr_kernarg_segment_ptr 1
		.amdhsa_user_sgpr_dispatch_id 0
		.amdhsa_user_sgpr_kernarg_preload_length 0
		.amdhsa_user_sgpr_kernarg_preload_offset 0
		.amdhsa_user_sgpr_private_segment_size 0
		.amdhsa_uses_dynamic_stack 0
		.amdhsa_enable_private_segment 0
		.amdhsa_system_sgpr_workgroup_id_x 1
		.amdhsa_system_sgpr_workgroup_id_y 0
		.amdhsa_system_sgpr_workgroup_id_z 0
		.amdhsa_system_sgpr_workgroup_info 0
		.amdhsa_system_vgpr_workitem_id 0
		.amdhsa_next_free_vgpr 1
		.amdhsa_next_free_sgpr 0
		.amdhsa_accum_offset 4
		.amdhsa_reserve_vcc 0
		.amdhsa_float_round_mode_32 0
		.amdhsa_float_round_mode_16_64 0
		.amdhsa_float_denorm_mode_32 3
		.amdhsa_float_denorm_mode_16_64 3
		.amdhsa_dx10_clamp 1
		.amdhsa_ieee_mode 1
		.amdhsa_fp16_overflow 0
		.amdhsa_tg_split 0
		.amdhsa_exception_fp_ieee_invalid_op 0
		.amdhsa_exception_fp_denorm_src 0
		.amdhsa_exception_fp_ieee_div_zero 0
		.amdhsa_exception_fp_ieee_overflow 0
		.amdhsa_exception_fp_ieee_underflow 0
		.amdhsa_exception_fp_ieee_inexact 0
		.amdhsa_exception_int_div_zero 0
	.end_amdhsa_kernel
	.section	.text._ZN7rocprim6detail20lookback_scan_kernelILNS0_25lookback_scan_determinismE0ELb0ENS0_19wrapped_scan_configINS_14default_configEiEEN6hipcub22TransformInputIteratorIiNS6_6CastOpIiEEPilEEPlNS6_3SumEiiNS0_19lookback_scan_stateIiLb1ELb1EEEEEvT2_T3_mT5_T4_T7_jPT6_SM_bb,"axG",@progbits,_ZN7rocprim6detail20lookback_scan_kernelILNS0_25lookback_scan_determinismE0ELb0ENS0_19wrapped_scan_configINS_14default_configEiEEN6hipcub22TransformInputIteratorIiNS6_6CastOpIiEEPilEEPlNS6_3SumEiiNS0_19lookback_scan_stateIiLb1ELb1EEEEEvT2_T3_mT5_T4_T7_jPT6_SM_bb,comdat
.Lfunc_end2:
	.size	_ZN7rocprim6detail20lookback_scan_kernelILNS0_25lookback_scan_determinismE0ELb0ENS0_19wrapped_scan_configINS_14default_configEiEEN6hipcub22TransformInputIteratorIiNS6_6CastOpIiEEPilEEPlNS6_3SumEiiNS0_19lookback_scan_stateIiLb1ELb1EEEEEvT2_T3_mT5_T4_T7_jPT6_SM_bb, .Lfunc_end2-_ZN7rocprim6detail20lookback_scan_kernelILNS0_25lookback_scan_determinismE0ELb0ENS0_19wrapped_scan_configINS_14default_configEiEEN6hipcub22TransformInputIteratorIiNS6_6CastOpIiEEPilEEPlNS6_3SumEiiNS0_19lookback_scan_stateIiLb1ELb1EEEEEvT2_T3_mT5_T4_T7_jPT6_SM_bb
                                        ; -- End function
	.section	.AMDGPU.csdata,"",@progbits
; Kernel info:
; codeLenInByte = 4
; NumSgprs: 6
; NumVgprs: 0
; NumAgprs: 0
; TotalNumVgprs: 0
; ScratchSize: 0
; MemoryBound: 0
; FloatMode: 240
; IeeeMode: 1
; LDSByteSize: 0 bytes/workgroup (compile time only)
; SGPRBlocks: 0
; VGPRBlocks: 0
; NumSGPRsForWavesPerEU: 6
; NumVGPRsForWavesPerEU: 1
; AccumOffset: 4
; Occupancy: 8
; WaveLimiterHint : 0
; COMPUTE_PGM_RSRC2:SCRATCH_EN: 0
; COMPUTE_PGM_RSRC2:USER_SGPR: 2
; COMPUTE_PGM_RSRC2:TRAP_HANDLER: 0
; COMPUTE_PGM_RSRC2:TGID_X_EN: 1
; COMPUTE_PGM_RSRC2:TGID_Y_EN: 0
; COMPUTE_PGM_RSRC2:TGID_Z_EN: 0
; COMPUTE_PGM_RSRC2:TIDIG_COMP_CNT: 0
; COMPUTE_PGM_RSRC3_GFX90A:ACCUM_OFFSET: 0
; COMPUTE_PGM_RSRC3_GFX90A:TG_SPLIT: 0
	.section	.text._ZN7rocprim6detail20lookback_scan_kernelILNS0_25lookback_scan_determinismE0ELb0ENS0_19wrapped_scan_configINS_14default_configEiEEN6hipcub22TransformInputIteratorIiNS6_6CastOpIiEEPilEEPlNS6_3SumEiiNS0_19lookback_scan_stateIiLb0ELb1EEEEEvT2_T3_mT5_T4_T7_jPT6_SM_bb,"axG",@progbits,_ZN7rocprim6detail20lookback_scan_kernelILNS0_25lookback_scan_determinismE0ELb0ENS0_19wrapped_scan_configINS_14default_configEiEEN6hipcub22TransformInputIteratorIiNS6_6CastOpIiEEPilEEPlNS6_3SumEiiNS0_19lookback_scan_stateIiLb0ELb1EEEEEvT2_T3_mT5_T4_T7_jPT6_SM_bb,comdat
	.protected	_ZN7rocprim6detail20lookback_scan_kernelILNS0_25lookback_scan_determinismE0ELb0ENS0_19wrapped_scan_configINS_14default_configEiEEN6hipcub22TransformInputIteratorIiNS6_6CastOpIiEEPilEEPlNS6_3SumEiiNS0_19lookback_scan_stateIiLb0ELb1EEEEEvT2_T3_mT5_T4_T7_jPT6_SM_bb ; -- Begin function _ZN7rocprim6detail20lookback_scan_kernelILNS0_25lookback_scan_determinismE0ELb0ENS0_19wrapped_scan_configINS_14default_configEiEEN6hipcub22TransformInputIteratorIiNS6_6CastOpIiEEPilEEPlNS6_3SumEiiNS0_19lookback_scan_stateIiLb0ELb1EEEEEvT2_T3_mT5_T4_T7_jPT6_SM_bb
	.globl	_ZN7rocprim6detail20lookback_scan_kernelILNS0_25lookback_scan_determinismE0ELb0ENS0_19wrapped_scan_configINS_14default_configEiEEN6hipcub22TransformInputIteratorIiNS6_6CastOpIiEEPilEEPlNS6_3SumEiiNS0_19lookback_scan_stateIiLb0ELb1EEEEEvT2_T3_mT5_T4_T7_jPT6_SM_bb
	.p2align	8
	.type	_ZN7rocprim6detail20lookback_scan_kernelILNS0_25lookback_scan_determinismE0ELb0ENS0_19wrapped_scan_configINS_14default_configEiEEN6hipcub22TransformInputIteratorIiNS6_6CastOpIiEEPilEEPlNS6_3SumEiiNS0_19lookback_scan_stateIiLb0ELb1EEEEEvT2_T3_mT5_T4_T7_jPT6_SM_bb,@function
_ZN7rocprim6detail20lookback_scan_kernelILNS0_25lookback_scan_determinismE0ELb0ENS0_19wrapped_scan_configINS_14default_configEiEEN6hipcub22TransformInputIteratorIiNS6_6CastOpIiEEPilEEPlNS6_3SumEiiNS0_19lookback_scan_stateIiLb0ELb1EEEEEvT2_T3_mT5_T4_T7_jPT6_SM_bb: ; @_ZN7rocprim6detail20lookback_scan_kernelILNS0_25lookback_scan_determinismE0ELb0ENS0_19wrapped_scan_configINS_14default_configEiEEN6hipcub22TransformInputIteratorIiNS6_6CastOpIiEEPilEEPlNS6_3SumEiiNS0_19lookback_scan_stateIiLb0ELb1EEEEEvT2_T3_mT5_T4_T7_jPT6_SM_bb
; %bb.0:
	s_load_dword s3, s[0:1], 0x30
	s_load_dwordx2 s[4:5], s[0:1], 0x0
	s_load_dwordx4 s[8:11], s[0:1], 0x10
	s_mul_i32 s12, s2, 0x1500
	s_mov_b32 s13, 0
	s_waitcnt lgkmcnt(0)
	s_add_i32 s3, s3, -1
	s_mul_i32 s6, s3, 0x1500
	s_sub_u32 s20, s10, s6
	s_subb_u32 s21, s11, 0
	s_cmp_lg_u32 s2, s3
	s_cselect_b64 s[10:11], -1, 0
	s_lshl_b64 s[6:7], s[12:13], 2
	s_add_u32 s6, s4, s6
	s_addc_u32 s7, s5, s7
	s_mov_b64 s[4:5], -1
	s_and_b64 vcc, exec, s[10:11]
	s_cbranch_vccz .LBB3_2
; %bb.1:
	v_lshlrev_b32_e32 v2, 2, v0
	v_mov_b32_e32 v3, 0
	v_lshl_add_u64 v[4:5], s[6:7], 0, v[2:3]
	v_add_co_u32_e32 v6, vcc, 0x1000, v4
	global_load_dword v1, v2, s[6:7]
	global_load_dword v3, v2, s[6:7] offset:1024
	global_load_dword v10, v2, s[6:7] offset:2048
	;; [unrolled: 1-line block ×3, first 2 shown]
	v_addc_co_u32_e32 v7, vcc, 0, v5, vcc
	v_add_co_u32_e32 v8, vcc, 0x2000, v4
	s_mov_b64 s[4:5], 0
	s_nop 0
	v_addc_co_u32_e32 v9, vcc, 0, v5, vcc
	global_load_dword v12, v[6:7], off
	global_load_dword v13, v[6:7], off offset:1024
	global_load_dword v14, v[6:7], off offset:2048
	global_load_dword v15, v[6:7], off offset:3072
	global_load_dword v16, v[8:9], off
	global_load_dword v17, v[8:9], off offset:1024
	global_load_dword v18, v[8:9], off offset:2048
	global_load_dword v19, v[8:9], off offset:3072
	v_add_co_u32_e32 v6, vcc, 0x3000, v4
	s_nop 1
	v_addc_co_u32_e32 v7, vcc, 0, v5, vcc
	v_add_co_u32_e32 v8, vcc, 0x4000, v4
	s_nop 1
	v_addc_co_u32_e32 v9, vcc, 0, v5, vcc
	global_load_dword v20, v[6:7], off
	global_load_dword v21, v[6:7], off offset:1024
	global_load_dword v22, v[6:7], off offset:2048
	;; [unrolled: 1-line block ×3, first 2 shown]
	global_load_dword v24, v[8:9], off
	global_load_dword v25, v[8:9], off offset:1024
	global_load_dword v26, v[8:9], off offset:2048
	;; [unrolled: 1-line block ×3, first 2 shown]
	v_add_co_u32_e32 v4, vcc, 0x5000, v4
	s_nop 1
	v_addc_co_u32_e32 v5, vcc, 0, v5, vcc
	global_load_dword v4, v[4:5], off
	s_waitcnt vmcnt(19)
	ds_write2st64_b32 v2, v1, v3 offset1:4
	s_waitcnt vmcnt(17)
	ds_write2st64_b32 v2, v10, v11 offset0:8 offset1:12
	s_waitcnt vmcnt(15)
	ds_write2st64_b32 v2, v12, v13 offset0:16 offset1:20
	;; [unrolled: 2-line block ×9, first 2 shown]
	s_waitcnt vmcnt(0)
	ds_write_b32 v2, v4 offset:20480
	s_waitcnt lgkmcnt(0)
	s_barrier
.LBB3_2:
	s_andn2_b64 vcc, exec, s[4:5]
	v_cmp_gt_u32_e64 s[4:5], s20, v0
	s_cbranch_vccnz .LBB3_46
; %bb.3:
	s_load_dword s3, s[6:7], 0x0
	v_lshlrev_b32_e32 v2, 2, v0
	v_mov_b32_e32 v3, 0
	v_lshl_add_u64 v[4:5], s[6:7], 0, v[2:3]
	s_waitcnt lgkmcnt(0)
	v_mov_b32_e32 v1, s3
	s_and_saveexec_b64 s[6:7], s[4:5]
	s_cbranch_execz .LBB3_5
; %bb.4:
	global_load_dword v1, v[4:5], off
.LBB3_5:
	s_or_b64 exec, exec, s[6:7]
	v_or_b32_e32 v3, 0x100, v0
	v_cmp_gt_u32_e32 vcc, s20, v3
	v_mov_b32_e32 v3, s3
	s_and_saveexec_b64 s[4:5], vcc
	s_cbranch_execz .LBB3_7
; %bb.6:
	global_load_dword v3, v[4:5], off offset:1024
.LBB3_7:
	s_or_b64 exec, exec, s[4:5]
	v_or_b32_e32 v6, 0x200, v0
	v_cmp_gt_u32_e32 vcc, s20, v6
	v_mov_b32_e32 v6, s3
	s_and_saveexec_b64 s[4:5], vcc
	s_cbranch_execz .LBB3_9
; %bb.8:
	global_load_dword v6, v[4:5], off offset:2048
.LBB3_9:
	;; [unrolled: 9-line block ×3, first 2 shown]
	s_or_b64 exec, exec, s[4:5]
	v_or_b32_e32 v8, 0x400, v0
	v_cmp_gt_u32_e32 vcc, s20, v8
	v_mov_b32_e32 v8, s3
	s_and_saveexec_b64 s[4:5], vcc
	s_cbranch_execz .LBB3_13
; %bb.12:
	v_add_co_u32_e32 v8, vcc, 0x1000, v4
	s_nop 1
	v_addc_co_u32_e32 v9, vcc, 0, v5, vcc
	global_load_dword v8, v[8:9], off
.LBB3_13:
	s_or_b64 exec, exec, s[4:5]
	v_or_b32_e32 v9, 0x500, v0
	v_cmp_gt_u32_e32 vcc, s20, v9
	v_mov_b32_e32 v9, s3
	s_and_saveexec_b64 s[4:5], vcc
	s_cbranch_execz .LBB3_15
; %bb.14:
	v_add_co_u32_e32 v10, vcc, 0x1000, v4
	s_nop 1
	v_addc_co_u32_e32 v11, vcc, 0, v5, vcc
	global_load_dword v9, v[10:11], off offset:1024
.LBB3_15:
	s_or_b64 exec, exec, s[4:5]
	v_or_b32_e32 v10, 0x600, v0
	v_cmp_gt_u32_e32 vcc, s20, v10
	v_mov_b32_e32 v10, s3
	s_and_saveexec_b64 s[4:5], vcc
	s_cbranch_execz .LBB3_17
; %bb.16:
	v_add_co_u32_e32 v10, vcc, 0x1000, v4
	s_nop 1
	v_addc_co_u32_e32 v11, vcc, 0, v5, vcc
	global_load_dword v10, v[10:11], off offset:2048
.LBB3_17:
	s_or_b64 exec, exec, s[4:5]
	v_or_b32_e32 v11, 0x700, v0
	v_cmp_gt_u32_e32 vcc, s20, v11
	v_mov_b32_e32 v11, s3
	s_and_saveexec_b64 s[4:5], vcc
	s_cbranch_execz .LBB3_19
; %bb.18:
	v_add_co_u32_e32 v12, vcc, 0x1000, v4
	s_nop 1
	v_addc_co_u32_e32 v13, vcc, 0, v5, vcc
	global_load_dword v11, v[12:13], off offset:3072
.LBB3_19:
	s_or_b64 exec, exec, s[4:5]
	v_or_b32_e32 v12, 0x800, v0
	v_cmp_gt_u32_e32 vcc, s20, v12
	v_mov_b32_e32 v12, s3
	s_and_saveexec_b64 s[4:5], vcc
	s_cbranch_execz .LBB3_21
; %bb.20:
	v_add_co_u32_e32 v12, vcc, 0x2000, v4
	s_nop 1
	v_addc_co_u32_e32 v13, vcc, 0, v5, vcc
	global_load_dword v12, v[12:13], off
.LBB3_21:
	s_or_b64 exec, exec, s[4:5]
	v_or_b32_e32 v13, 0x900, v0
	v_cmp_gt_u32_e32 vcc, s20, v13
	v_mov_b32_e32 v13, s3
	s_and_saveexec_b64 s[4:5], vcc
	s_cbranch_execz .LBB3_23
; %bb.22:
	v_add_co_u32_e32 v14, vcc, 0x2000, v4
	s_nop 1
	v_addc_co_u32_e32 v15, vcc, 0, v5, vcc
	global_load_dword v13, v[14:15], off offset:1024
.LBB3_23:
	s_or_b64 exec, exec, s[4:5]
	v_or_b32_e32 v14, 0xa00, v0
	v_cmp_gt_u32_e32 vcc, s20, v14
	v_mov_b32_e32 v14, s3
	s_and_saveexec_b64 s[4:5], vcc
	s_cbranch_execz .LBB3_25
; %bb.24:
	v_add_co_u32_e32 v14, vcc, 0x2000, v4
	s_nop 1
	v_addc_co_u32_e32 v15, vcc, 0, v5, vcc
	global_load_dword v14, v[14:15], off offset:2048
.LBB3_25:
	s_or_b64 exec, exec, s[4:5]
	v_or_b32_e32 v15, 0xb00, v0
	v_cmp_gt_u32_e32 vcc, s20, v15
	v_mov_b32_e32 v15, s3
	s_and_saveexec_b64 s[4:5], vcc
	s_cbranch_execz .LBB3_27
; %bb.26:
	v_add_co_u32_e32 v16, vcc, 0x2000, v4
	s_nop 1
	v_addc_co_u32_e32 v17, vcc, 0, v5, vcc
	global_load_dword v15, v[16:17], off offset:3072
.LBB3_27:
	;; [unrolled: 48-line block ×4, first 2 shown]
	s_or_b64 exec, exec, s[4:5]
	v_or_b32_e32 v24, 0x1400, v0
	v_cmp_gt_u32_e32 vcc, s20, v24
	v_mov_b32_e32 v24, s3
	s_and_saveexec_b64 s[4:5], vcc
	s_cbranch_execz .LBB3_45
; %bb.44:
	v_add_co_u32_e32 v4, vcc, 0x5000, v4
	s_nop 1
	v_addc_co_u32_e32 v5, vcc, 0, v5, vcc
	global_load_dword v24, v[4:5], off
.LBB3_45:
	s_or_b64 exec, exec, s[4:5]
	s_waitcnt vmcnt(0)
	ds_write2st64_b32 v2, v1, v3 offset1:4
	ds_write2st64_b32 v2, v6, v7 offset0:8 offset1:12
	ds_write2st64_b32 v2, v8, v9 offset0:16 offset1:20
	;; [unrolled: 1-line block ×9, first 2 shown]
	ds_write_b32 v2, v24 offset:20480
	s_waitcnt lgkmcnt(0)
	s_barrier
.LBB3_46:
	v_mul_u32_u24_e32 v32, 21, v0
	v_lshlrev_b32_e32 v1, 2, v32
	ds_read2_b32 v[18:19], v1 offset1:1
	ds_read2_b32 v[20:21], v1 offset0:2 offset1:3
	ds_read2_b32 v[16:17], v1 offset0:4 offset1:5
	;; [unrolled: 1-line block ×9, first 2 shown]
	ds_read_b32 v1, v1 offset:80
	s_load_dwordx2 s[14:15], s[0:1], 0x28
	s_cmp_lg_u32 s2, 0
	v_mbcnt_lo_u32_b32 v35, -1, 0
	v_lshrrev_b32_e32 v33, 6, v0
	v_or_b32_e32 v34, 63, v0
	s_waitcnt lgkmcnt(0)
	s_barrier
	s_cbranch_scc0 .LBB3_73
; %bb.47:
	v_add3_u32 v22, v19, v18, v20
	v_add3_u32 v22, v22, v21, v16
	;; [unrolled: 1-line block ×9, first 2 shown]
	v_mbcnt_hi_u32_b32 v25, -1, v35
	v_add3_u32 v22, v22, v3, v1
	v_and_b32_e32 v23, 15, v25
	v_cmp_ne_u32_e32 vcc, 0, v23
	v_mov_b32_dpp v24, v22 row_shr:1 row_mask:0xf bank_mask:0xf
	s_nop 0
	v_cndmask_b32_e32 v24, 0, v24, vcc
	v_add_u32_e32 v22, v24, v22
	v_cmp_lt_u32_e32 vcc, 1, v23
	s_nop 0
	v_mov_b32_dpp v24, v22 row_shr:2 row_mask:0xf bank_mask:0xf
	v_cndmask_b32_e32 v24, 0, v24, vcc
	v_add_u32_e32 v22, v22, v24
	v_cmp_lt_u32_e32 vcc, 3, v23
	s_nop 0
	v_mov_b32_dpp v24, v22 row_shr:4 row_mask:0xf bank_mask:0xf
	;; [unrolled: 5-line block ×3, first 2 shown]
	v_cndmask_b32_e32 v23, 0, v24, vcc
	v_add_u32_e32 v22, v22, v23
	v_bfe_i32 v24, v25, 4, 1
	v_cmp_lt_u32_e32 vcc, 31, v25
	v_mov_b32_dpp v23, v22 row_bcast:15 row_mask:0xf bank_mask:0xf
	v_and_b32_e32 v23, v24, v23
	v_add_u32_e32 v22, v22, v23
	s_nop 1
	v_mov_b32_dpp v23, v22 row_bcast:31 row_mask:0xf bank_mask:0xf
	v_cndmask_b32_e32 v23, 0, v23, vcc
	v_add_u32_e32 v22, v22, v23
	v_cmp_eq_u32_e32 vcc, v34, v0
	s_and_saveexec_b64 s[4:5], vcc
	s_cbranch_execz .LBB3_49
; %bb.48:
	v_lshlrev_b32_e32 v23, 2, v33
	ds_write_b32 v23, v22
.LBB3_49:
	s_or_b64 exec, exec, s[4:5]
	v_cmp_gt_u32_e32 vcc, 4, v0
	s_waitcnt lgkmcnt(0)
	s_barrier
	s_and_saveexec_b64 s[4:5], vcc
	s_cbranch_execz .LBB3_51
; %bb.50:
	v_lshlrev_b32_e32 v23, 2, v0
	ds_read_b32 v24, v23
	v_and_b32_e32 v26, 3, v25
	v_cmp_ne_u32_e32 vcc, 0, v26
	s_waitcnt lgkmcnt(0)
	v_mov_b32_dpp v27, v24 row_shr:1 row_mask:0xf bank_mask:0xf
	v_cndmask_b32_e32 v27, 0, v27, vcc
	v_add_u32_e32 v24, v27, v24
	v_cmp_lt_u32_e32 vcc, 1, v26
	s_nop 0
	v_mov_b32_dpp v27, v24 row_shr:2 row_mask:0xf bank_mask:0xf
	v_cndmask_b32_e32 v26, 0, v27, vcc
	v_add_u32_e32 v24, v24, v26
	ds_write_b32 v23, v24
.LBB3_51:
	s_or_b64 exec, exec, s[4:5]
	v_cmp_gt_u32_e32 vcc, 64, v0
	v_cmp_lt_u32_e64 s[4:5], 63, v0
	s_waitcnt lgkmcnt(0)
	s_barrier
	s_waitcnt lgkmcnt(0)
                                        ; implicit-def: $vgpr36
	s_and_saveexec_b64 s[6:7], s[4:5]
	s_cbranch_execz .LBB3_53
; %bb.52:
	v_lshl_add_u32 v23, v33, 2, -4
	ds_read_b32 v36, v23
	s_waitcnt lgkmcnt(0)
	v_add_u32_e32 v22, v36, v22
.LBB3_53:
	s_or_b64 exec, exec, s[6:7]
	v_add_u32_e32 v23, -1, v25
	v_and_b32_e32 v24, 64, v25
	v_cmp_lt_i32_e64 s[4:5], v23, v24
	s_nop 1
	v_cndmask_b32_e64 v23, v23, v25, s[4:5]
	v_lshlrev_b32_e32 v23, 2, v23
	ds_bpermute_b32 v37, v23, v22
	v_cmp_eq_u32_e64 s[4:5], 0, v25
	s_and_saveexec_b64 s[6:7], vcc
	s_cbranch_execz .LBB3_72
; %bb.54:
	v_mov_b32_e32 v29, 0
	ds_read_b32 v22, v29 offset:12
	s_and_saveexec_b64 s[16:17], s[4:5]
	s_cbranch_execz .LBB3_56
; %bb.55:
	s_add_i32 s18, s2, 64
	s_mov_b32 s19, 0
	s_lshl_b64 s[18:19], s[18:19], 3
	s_add_u32 s18, s14, s18
	s_addc_u32 s19, s15, s19
	v_mov_b32_e32 v23, 1
	s_waitcnt lgkmcnt(0)
	global_store_dwordx2 v29, v[22:23], s[18:19] sc1
.LBB3_56:
	s_or_b64 exec, exec, s[16:17]
	v_xad_u32 v24, v25, -1, s2
	v_add_u32_e32 v28, 64, v24
	v_lshl_add_u64 v[30:31], v[28:29], 3, s[14:15]
	global_load_dwordx2 v[26:27], v[30:31], off sc1
	s_waitcnt vmcnt(0)
	v_cmp_eq_u16_sdwa s[18:19], v27, v29 src0_sel:BYTE_0 src1_sel:DWORD
	s_and_saveexec_b64 s[16:17], s[18:19]
	s_cbranch_execz .LBB3_60
; %bb.57:
	s_mov_b64 s[18:19], 0
	v_mov_b32_e32 v23, 0
.LBB3_58:                               ; =>This Inner Loop Header: Depth=1
	global_load_dwordx2 v[26:27], v[30:31], off sc1
	s_waitcnt vmcnt(0)
	v_cmp_ne_u16_sdwa s[22:23], v27, v23 src0_sel:BYTE_0 src1_sel:DWORD
	s_or_b64 s[18:19], s[22:23], s[18:19]
	s_andn2_b64 exec, exec, s[18:19]
	s_cbranch_execnz .LBB3_58
; %bb.59:
	s_or_b64 exec, exec, s[18:19]
.LBB3_60:
	s_or_b64 exec, exec, s[16:17]
	v_and_b32_e32 v46, 63, v25
	v_mov_b32_e32 v23, 2
	v_cmp_ne_u32_e32 vcc, 63, v46
	v_cmp_eq_u16_sdwa s[16:17], v27, v23 src0_sel:BYTE_0 src1_sel:DWORD
	v_lshlrev_b64 v[28:29], v25, -1
	v_addc_co_u32_e32 v38, vcc, 0, v25, vcc
	v_and_b32_e32 v30, s17, v29
	v_lshlrev_b32_e32 v38, 2, v38
	v_or_b32_e32 v30, 0x80000000, v30
	ds_bpermute_b32 v40, v38, v26
	v_and_b32_e32 v31, s16, v28
	v_ffbl_b32_e32 v30, v30
	v_add_u32_e32 v30, 32, v30
	v_ffbl_b32_e32 v31, v31
	v_min_u32_e32 v30, v31, v30
	v_add_u32_e32 v39, 1, v25
	v_cmp_le_u32_e32 vcc, v39, v30
	v_add_u32_e32 v41, 2, v25
	v_add_u32_e32 v43, 4, v25
	s_waitcnt lgkmcnt(0)
	v_cndmask_b32_e32 v31, 0, v40, vcc
	v_cmp_gt_u32_e32 vcc, 62, v46
	v_add_u32_e32 v26, v31, v26
	v_add_u32_e32 v45, 8, v25
	v_cndmask_b32_e64 v31, 0, 1, vcc
	v_lshlrev_b32_e32 v31, 1, v31
	v_add_lshl_u32 v40, v31, v25, 2
	ds_bpermute_b32 v31, v40, v26
	v_cmp_le_u32_e32 vcc, v41, v30
	v_add_u32_e32 v48, 16, v25
	v_add_u32_e32 v50, 32, v25
	s_waitcnt lgkmcnt(0)
	v_cndmask_b32_e32 v31, 0, v31, vcc
	v_cmp_gt_u32_e32 vcc, 60, v46
	v_add_u32_e32 v26, v26, v31
	s_nop 0
	v_cndmask_b32_e64 v31, 0, 1, vcc
	v_lshlrev_b32_e32 v31, 2, v31
	v_add_lshl_u32 v42, v31, v25, 2
	ds_bpermute_b32 v31, v42, v26
	v_cmp_le_u32_e32 vcc, v43, v30
	s_waitcnt lgkmcnt(0)
	s_nop 0
	v_cndmask_b32_e32 v31, 0, v31, vcc
	v_cmp_gt_u32_e32 vcc, 56, v46
	v_add_u32_e32 v26, v26, v31
	s_nop 0
	v_cndmask_b32_e64 v31, 0, 1, vcc
	v_lshlrev_b32_e32 v31, 3, v31
	v_add_lshl_u32 v44, v31, v25, 2
	ds_bpermute_b32 v31, v44, v26
	v_cmp_le_u32_e32 vcc, v45, v30
	s_waitcnt lgkmcnt(0)
	s_nop 0
	;; [unrolled: 11-line block ×4, first 2 shown]
	v_cndmask_b32_e32 v25, 0, v31, vcc
	v_add_u32_e32 v26, v26, v25
	v_mov_b32_e32 v25, 0
	s_branch .LBB3_62
.LBB3_61:                               ;   in Loop: Header=BB3_62 Depth=1
	s_or_b64 exec, exec, s[16:17]
	v_cmp_eq_u16_sdwa s[16:17], v27, v23 src0_sel:BYTE_0 src1_sel:DWORD
	ds_bpermute_b32 v51, v38, v26
	v_subrev_u32_e32 v24, 64, v24
	v_and_b32_e32 v30, s17, v29
	v_or_b32_e32 v30, 0x80000000, v30
	v_and_b32_e32 v31, s16, v28
	v_ffbl_b32_e32 v30, v30
	v_add_u32_e32 v30, 32, v30
	v_ffbl_b32_e32 v31, v31
	v_min_u32_e32 v30, v31, v30
	v_cmp_le_u32_e32 vcc, v39, v30
	s_waitcnt lgkmcnt(0)
	s_nop 0
	v_cndmask_b32_e32 v31, 0, v51, vcc
	v_add_u32_e32 v26, v31, v26
	ds_bpermute_b32 v31, v40, v26
	v_cmp_le_u32_e32 vcc, v41, v30
	s_waitcnt lgkmcnt(0)
	s_nop 0
	v_cndmask_b32_e32 v31, 0, v31, vcc
	v_add_u32_e32 v26, v26, v31
	ds_bpermute_b32 v31, v42, v26
	;; [unrolled: 6-line block ×5, first 2 shown]
	v_cmp_le_u32_e32 vcc, v50, v30
	s_waitcnt lgkmcnt(0)
	s_nop 0
	v_cndmask_b32_e32 v30, 0, v31, vcc
	v_add3_u32 v26, v30, v46, v26
.LBB3_62:                               ; =>This Loop Header: Depth=1
                                        ;     Child Loop BB3_65 Depth 2
	v_cmp_ne_u16_sdwa s[16:17], v27, v23 src0_sel:BYTE_0 src1_sel:DWORD
	v_mov_b32_e32 v46, v26
	s_nop 0
	v_cndmask_b32_e64 v27, 0, 1, s[16:17]
	;;#ASMSTART
	;;#ASMEND
	s_nop 0
	v_cmp_ne_u32_e32 vcc, 0, v27
	s_cmp_lg_u64 vcc, exec
	s_cbranch_scc1 .LBB3_67
; %bb.63:                               ;   in Loop: Header=BB3_62 Depth=1
	v_lshl_add_u64 v[30:31], v[24:25], 3, s[14:15]
	global_load_dwordx2 v[26:27], v[30:31], off sc1
	s_waitcnt vmcnt(0)
	v_cmp_eq_u16_sdwa s[18:19], v27, v25 src0_sel:BYTE_0 src1_sel:DWORD
	s_and_saveexec_b64 s[16:17], s[18:19]
	s_cbranch_execz .LBB3_61
; %bb.64:                               ;   in Loop: Header=BB3_62 Depth=1
	s_mov_b64 s[18:19], 0
.LBB3_65:                               ;   Parent Loop BB3_62 Depth=1
                                        ; =>  This Inner Loop Header: Depth=2
	global_load_dwordx2 v[26:27], v[30:31], off sc1
	s_waitcnt vmcnt(0)
	v_cmp_ne_u16_sdwa s[22:23], v27, v25 src0_sel:BYTE_0 src1_sel:DWORD
	s_or_b64 s[18:19], s[22:23], s[18:19]
	s_andn2_b64 exec, exec, s[18:19]
	s_cbranch_execnz .LBB3_65
; %bb.66:                               ;   in Loop: Header=BB3_62 Depth=1
	s_or_b64 exec, exec, s[18:19]
	s_branch .LBB3_61
.LBB3_67:                               ;   in Loop: Header=BB3_62 Depth=1
                                        ; implicit-def: $vgpr26
                                        ; implicit-def: $vgpr27
	s_cbranch_execz .LBB3_62
; %bb.68:
	s_and_saveexec_b64 s[16:17], s[4:5]
	s_cbranch_execz .LBB3_70
; %bb.69:
	s_add_i32 s2, s2, 64
	s_mov_b32 s3, 0
	s_lshl_b64 s[2:3], s[2:3], 3
	s_add_u32 s2, s14, s2
	s_addc_u32 s3, s15, s3
	v_mov_b32_e32 v24, 0
	v_add_u32_e32 v22, v46, v22
	v_mov_b32_e32 v23, 2
	global_store_dwordx2 v24, v[22:23], s[2:3] sc1
.LBB3_70:
	s_or_b64 exec, exec, s[16:17]
	v_cmp_eq_u32_e32 vcc, 0, v0
	s_and_b64 exec, exec, vcc
	s_cbranch_execz .LBB3_72
; %bb.71:
	v_mov_b32_e32 v22, 0
	ds_write_b32 v22, v46 offset:12
.LBB3_72:
	s_or_b64 exec, exec, s[6:7]
	v_mov_b32_e32 v22, 0
	s_waitcnt lgkmcnt(0)
	s_barrier
	ds_read_b32 v22, v22 offset:12
	v_cndmask_b32_e64 v23, v37, v36, s[4:5]
	v_cmp_ne_u32_e32 vcc, 0, v0
	s_nop 1
	v_cndmask_b32_e32 v23, 0, v23, vcc
	s_waitcnt lgkmcnt(0)
	v_add3_u32 v22, v23, v18, v22
	s_load_dwordx4 s[4:7], s[0:1], 0x38
	s_branch .LBB3_85
.LBB3_73:
                                        ; implicit-def: $vgpr22
	s_load_dwordx4 s[4:7], s[0:1], 0x38
	s_cbranch_execz .LBB3_85
; %bb.74:
	s_load_dword s2, s[0:1], 0x48
	v_cmp_eq_u32_e32 vcc, 0, v0
	s_waitcnt lgkmcnt(0)
	s_bitcmp1_b32 s2, 0
	s_cselect_b64 s[2:3], -1, 0
	s_and_b64 s[16:17], vcc, s[2:3]
	s_and_saveexec_b64 s[2:3], s[16:17]
	s_cbranch_execz .LBB3_76
; %bb.75:
	s_load_dword s4, s[4:5], 0x0
	s_waitcnt lgkmcnt(0)
	v_add_u32_e32 v18, s4, v18
.LBB3_76:
	s_or_b64 exec, exec, s[2:3]
	v_add3_u32 v22, v20, v19, v21
	v_add3_u32 v22, v22, v16, v17
	;; [unrolled: 1-line block ×10, first 2 shown]
	v_mbcnt_hi_u32_b32 v22, -1, v35
	v_and_b32_e32 v24, 15, v22
	v_mov_b32_dpp v25, v23 row_shr:1 row_mask:0xf bank_mask:0xf
	v_cmp_ne_u32_e64 s[2:3], 0, v24
	s_nop 1
	v_cndmask_b32_e64 v25, 0, v25, s[2:3]
	v_add_u32_e32 v23, v23, v25
	v_cmp_lt_u32_e64 s[2:3], 1, v24
	s_nop 0
	v_mov_b32_dpp v25, v23 row_shr:2 row_mask:0xf bank_mask:0xf
	v_cndmask_b32_e64 v25, 0, v25, s[2:3]
	v_add_u32_e32 v23, v23, v25
	v_cmp_lt_u32_e64 s[2:3], 3, v24
	s_nop 0
	v_mov_b32_dpp v25, v23 row_shr:4 row_mask:0xf bank_mask:0xf
	;; [unrolled: 5-line block ×3, first 2 shown]
	v_cndmask_b32_e64 v24, 0, v25, s[2:3]
	v_add_u32_e32 v23, v23, v24
	v_bfe_i32 v25, v22, 4, 1
	v_cmp_lt_u32_e64 s[2:3], 31, v22
	v_mov_b32_dpp v24, v23 row_bcast:15 row_mask:0xf bank_mask:0xf
	v_and_b32_e32 v24, v25, v24
	v_add_u32_e32 v23, v23, v24
	s_nop 1
	v_mov_b32_dpp v24, v23 row_bcast:31 row_mask:0xf bank_mask:0xf
	v_cndmask_b32_e64 v24, 0, v24, s[2:3]
	v_add_u32_e32 v23, v23, v24
	v_cmp_eq_u32_e64 s[2:3], v34, v0
	s_and_saveexec_b64 s[4:5], s[2:3]
	s_cbranch_execz .LBB3_78
; %bb.77:
	v_lshlrev_b32_e32 v24, 2, v33
	ds_write_b32 v24, v23
.LBB3_78:
	s_or_b64 exec, exec, s[4:5]
	v_cmp_gt_u32_e64 s[2:3], 4, v0
	s_waitcnt lgkmcnt(0)
	s_barrier
	s_and_saveexec_b64 s[4:5], s[2:3]
	s_cbranch_execz .LBB3_80
; %bb.79:
	v_lshlrev_b32_e32 v24, 2, v0
	ds_read_b32 v25, v24
	v_and_b32_e32 v26, 3, v22
	v_cmp_ne_u32_e64 s[2:3], 0, v26
	s_waitcnt lgkmcnt(0)
	v_mov_b32_dpp v27, v25 row_shr:1 row_mask:0xf bank_mask:0xf
	v_cndmask_b32_e64 v27, 0, v27, s[2:3]
	v_add_u32_e32 v25, v27, v25
	v_cmp_lt_u32_e64 s[2:3], 1, v26
	s_nop 0
	v_mov_b32_dpp v27, v25 row_shr:2 row_mask:0xf bank_mask:0xf
	v_cndmask_b32_e64 v26, 0, v27, s[2:3]
	v_add_u32_e32 v25, v25, v26
	ds_write_b32 v24, v25
.LBB3_80:
	s_or_b64 exec, exec, s[4:5]
	v_cmp_lt_u32_e64 s[2:3], 63, v0
	s_waitcnt lgkmcnt(0)
	s_barrier
	s_waitcnt lgkmcnt(0)
                                        ; implicit-def: $vgpr24
	s_and_saveexec_b64 s[4:5], s[2:3]
	s_cbranch_execz .LBB3_82
; %bb.81:
	v_lshl_add_u32 v24, v33, 2, -4
	ds_read_b32 v24, v24
	s_waitcnt lgkmcnt(0)
	v_add_u32_e32 v23, v24, v23
.LBB3_82:
	s_or_b64 exec, exec, s[4:5]
	v_add_u32_e32 v25, -1, v22
	v_and_b32_e32 v26, 64, v22
	v_cmp_lt_i32_e64 s[2:3], v25, v26
	s_nop 1
	v_cndmask_b32_e64 v25, v25, v22, s[2:3]
	v_lshlrev_b32_e32 v25, 2, v25
	ds_bpermute_b32 v23, v25, v23
	v_cmp_eq_u32_e64 s[2:3], 0, v22
	s_waitcnt lgkmcnt(0)
	s_nop 0
	v_cndmask_b32_e64 v22, v23, v24, s[2:3]
	v_cndmask_b32_e64 v22, v22, 0, vcc
	s_and_saveexec_b64 s[2:3], vcc
	s_cbranch_execz .LBB3_84
; %bb.83:
	v_mov_b32_e32 v23, 0
	ds_read_b32 v24, v23 offset:12
	v_mov_b32_e32 v25, 2
	s_waitcnt lgkmcnt(0)
	global_store_dwordx2 v23, v[24:25], s[14:15] offset:512 sc1
.LBB3_84:
	s_or_b64 exec, exec, s[2:3]
	v_add_u32_e32 v22, v22, v18
.LBB3_85:
	v_add_u32_e32 v18, v22, v19
	v_add_u32_e32 v19, v18, v20
	;; [unrolled: 1-line block ×18, first 2 shown]
	s_lshl_b64 s[2:3], s[12:13], 3
	v_add_u32_e32 v23, v21, v3
	s_add_u32 s2, s8, s2
	v_add_u32_e32 v1, v23, v1
	s_addc_u32 s3, s9, s3
	s_waitcnt lgkmcnt(0)
	s_mov_b64 s[4:5], -1
	s_and_b64 vcc, exec, s[10:11]
	v_lshlrev_b32_e32 v2, 3, v0
	s_barrier
	s_cbranch_vccz .LBB3_87
; %bb.86:
	v_mul_u32_u24_e32 v3, 0x54, v0
	s_movk_i32 s4, 0x54
	ds_write2_b32 v3, v22, v18 offset1:1
	ds_write2_b32 v3, v19, v20 offset0:2 offset1:3
	ds_write2_b32 v3, v16, v17 offset0:4 offset1:5
	;; [unrolled: 1-line block ×9, first 2 shown]
	ds_write_b32 v3, v1 offset:80
	v_mul_i32_i24_e32 v3, 0xffffffb0, v0
	v_mad_u32_u24 v3, v0, s4, v3
	s_waitcnt lgkmcnt(0)
	s_barrier
	ds_read2st64_b32 v[24:25], v3 offset1:4
	ds_read2st64_b32 v[28:29], v3 offset0:8 offset1:12
	ds_read2st64_b32 v[38:39], v3 offset0:24 offset1:28
	;; [unrolled: 1-line block ×4, first 2 shown]
	s_waitcnt lgkmcnt(4)
	v_ashrrev_i32_e32 v27, 31, v24
	v_mov_b32_e32 v26, v24
	v_ashrrev_i32_e32 v31, 31, v25
	v_mov_b32_e32 v30, v25
	ds_read2st64_b32 v[24:25], v3 offset0:16 offset1:20
	s_waitcnt lgkmcnt(4)
	v_ashrrev_i32_e32 v35, 31, v28
	v_mov_b32_e32 v34, v28
	v_ashrrev_i32_e32 v37, 31, v29
	v_mov_b32_e32 v36, v29
	s_waitcnt lgkmcnt(0)
	v_ashrrev_i32_e32 v29, 31, v24
	v_mov_b32_e32 v28, v24
	v_ashrrev_i32_e32 v41, 31, v25
	v_mov_b32_e32 v40, v25
	ds_read2st64_b32 v[24:25], v3 offset0:32 offset1:36
	v_ashrrev_i32_e32 v43, 31, v38
	v_mov_b32_e32 v42, v38
	v_ashrrev_i32_e32 v45, 31, v39
	v_mov_b32_e32 v44, v39
	s_waitcnt lgkmcnt(0)
	v_ashrrev_i32_e32 v39, 31, v24
	v_mov_b32_e32 v38, v24
	v_ashrrev_i32_e32 v49, 31, v25
	v_mov_b32_e32 v48, v25
	ds_read2st64_b32 v[24:25], v3 offset0:48 offset1:52
	;; [unrolled: 10-line block ×3, first 2 shown]
	ds_read2st64_b32 v[62:63], v3 offset0:72 offset1:76
	v_ashrrev_i32_e32 v59, 31, v54
	v_mov_b32_e32 v58, v54
	v_ashrrev_i32_e32 v61, 31, v55
	v_mov_b32_e32 v60, v55
	s_waitcnt lgkmcnt(1)
	v_ashrrev_i32_e32 v55, 31, v24
	v_mov_b32_e32 v54, v24
	ds_read_b32 v24, v3 offset:20480
	v_mov_b32_e32 v3, 0
	s_waitcnt lgkmcnt(1)
	v_ashrrev_i32_e32 v67, 31, v62
	v_mov_b32_e32 v66, v62
	v_ashrrev_i32_e32 v69, 31, v63
	v_mov_b32_e32 v68, v63
	v_lshl_add_u64 v[62:63], s[2:3], 0, v[2:3]
	s_movk_i32 s4, 0x1000
	global_store_dwordx2 v2, v[26:27], s[2:3]
	global_store_dwordx2 v2, v[30:31], s[2:3] offset:2048
	v_add_co_u32_e32 v26, vcc, s4, v62
	s_movk_i32 s4, 0x2000
	s_nop 0
	v_addc_co_u32_e32 v27, vcc, 0, v63, vcc
	v_add_co_u32_e32 v30, vcc, s4, v62
	s_movk_i32 s4, 0x3000
	s_nop 0
	v_addc_co_u32_e32 v31, vcc, 0, v63, vcc
	global_store_dwordx2 v[30:31], v[34:35], off offset:-4096
	global_store_dwordx2 v[26:27], v[36:37], off offset:2048
	global_store_dwordx2 v[30:31], v[28:29], off
	global_store_dwordx2 v[30:31], v[40:41], off offset:2048
	v_add_co_u32_e32 v26, vcc, s4, v62
	s_movk_i32 s4, 0x4000
	s_nop 0
	v_addc_co_u32_e32 v27, vcc, 0, v63, vcc
	v_add_co_u32_e32 v28, vcc, s4, v62
	s_movk_i32 s4, 0x5000
	s_nop 0
	v_addc_co_u32_e32 v29, vcc, 0, v63, vcc
	global_store_dwordx2 v[28:29], v[42:43], off offset:-4096
	global_store_dwordx2 v[26:27], v[44:45], off offset:2048
	global_store_dwordx2 v[28:29], v[38:39], off
	global_store_dwordx2 v[28:29], v[48:49], off offset:2048
	v_add_co_u32_e32 v26, vcc, s4, v62
	s_movk_i32 s4, 0x6000
	s_nop 0
	v_addc_co_u32_e32 v27, vcc, 0, v63, vcc
	v_add_co_u32_e32 v28, vcc, s4, v62
	s_movk_i32 s4, 0x7000
	s_nop 0
	v_addc_co_u32_e32 v29, vcc, 0, v63, vcc
	global_store_dwordx2 v[28:29], v[50:51], off offset:-4096
	global_store_dwordx2 v[26:27], v[52:53], off offset:2048
	global_store_dwordx2 v[28:29], v[46:47], off
	global_store_dwordx2 v[28:29], v[56:57], off offset:2048
	v_add_co_u32_e32 v26, vcc, s4, v62
	s_mov_b32 s4, 0x8000
	s_nop 0
	v_addc_co_u32_e32 v27, vcc, 0, v63, vcc
	v_add_co_u32_e32 v28, vcc, s4, v62
	v_ashrrev_i32_e32 v65, 31, v25
	s_nop 0
	v_addc_co_u32_e32 v29, vcc, 0, v63, vcc
	v_mov_b32_e32 v64, v25
	global_store_dwordx2 v[28:29], v[58:59], off offset:-4096
	global_store_dwordx2 v[26:27], v[60:61], off offset:2048
	global_store_dwordx2 v[28:29], v[54:55], off
	global_store_dwordx2 v[28:29], v[64:65], off offset:2048
	v_add_co_u32_e32 v26, vcc, 0x9000, v62
	s_waitcnt lgkmcnt(0)
	v_ashrrev_i32_e32 v25, 31, v24
	v_addc_co_u32_e32 v27, vcc, 0, v63, vcc
	global_store_dwordx2 v[26:27], v[66:67], off
	global_store_dwordx2 v[26:27], v[68:69], off offset:2048
	v_add_co_u32_e32 v26, vcc, 0xa000, v62
	s_mov_b64 s[4:5], 0
	s_nop 0
	v_addc_co_u32_e32 v27, vcc, 0, v63, vcc
	global_store_dwordx2 v[26:27], v[24:25], off
.LBB3_87:
	s_andn2_b64 vcc, exec, s[4:5]
	s_cbranch_vccnz .LBB3_208
; %bb.88:
	v_mul_u32_u24_e32 v3, 0x54, v0
	s_movk_i32 s4, 0x54
	ds_write2_b32 v3, v22, v18 offset1:1
	ds_write2_b32 v3, v19, v20 offset0:2 offset1:3
	ds_write2_b32 v3, v16, v17 offset0:4 offset1:5
	;; [unrolled: 1-line block ×9, first 2 shown]
	ds_write_b32 v3, v1 offset:80
	v_mul_i32_i24_e32 v1, 0xffffffb0, v0
	v_mad_u32_u24 v1, v0, s4, v1
	s_waitcnt lgkmcnt(0)
	s_barrier
	ds_read2st64_b32 v[6:7], v1 offset1:4
	ds_read2st64_b32 v[8:9], v1 offset0:8 offset1:12
	ds_read2st64_b32 v[10:11], v1 offset0:16 offset1:20
	;; [unrolled: 1-line block ×9, first 2 shown]
	ds_read_b32 v24, v1 offset:20480
	v_mov_b32_e32 v3, 0
	v_lshl_add_u64 v[26:27], s[2:3], 0, v[2:3]
	v_cmp_gt_u32_e32 vcc, s20, v0
	s_and_saveexec_b64 s[2:3], vcc
	s_cbranch_execz .LBB3_90
; %bb.89:
	s_waitcnt lgkmcnt(10)
	v_ashrrev_i32_e32 v29, 31, v6
	v_mov_b32_e32 v28, v6
	global_store_dwordx2 v[26:27], v[28:29], off
.LBB3_90:
	s_or_b64 exec, exec, s[2:3]
	v_or_b32_e32 v1, 0x100, v0
	v_cmp_gt_u32_e32 vcc, s20, v1
	s_and_saveexec_b64 s[2:3], vcc
	s_cbranch_execz .LBB3_92
; %bb.91:
	s_waitcnt lgkmcnt(10)
	v_ashrrev_i32_e32 v29, 31, v7
	v_mov_b32_e32 v28, v7
	global_store_dwordx2 v[26:27], v[28:29], off offset:2048
.LBB3_92:
	s_or_b64 exec, exec, s[2:3]
	v_or_b32_e32 v1, 0x200, v0
	v_cmp_gt_u32_e32 vcc, s20, v1
	s_and_saveexec_b64 s[2:3], vcc
	s_cbranch_execz .LBB3_94
; %bb.93:
	v_add_co_u32_e32 v30, vcc, 0x1000, v26
	s_waitcnt lgkmcnt(9)
	v_ashrrev_i32_e32 v29, 31, v8
	v_mov_b32_e32 v28, v8
	v_addc_co_u32_e32 v31, vcc, 0, v27, vcc
	global_store_dwordx2 v[30:31], v[28:29], off
.LBB3_94:
	s_or_b64 exec, exec, s[2:3]
	v_or_b32_e32 v1, 0x300, v0
	v_cmp_gt_u32_e32 vcc, s20, v1
	s_and_saveexec_b64 s[2:3], vcc
	s_cbranch_execz .LBB3_96
; %bb.95:
	v_add_co_u32_e32 v30, vcc, 0x1000, v26
	s_waitcnt lgkmcnt(9)
	v_ashrrev_i32_e32 v29, 31, v9
	v_mov_b32_e32 v28, v9
	v_addc_co_u32_e32 v31, vcc, 0, v27, vcc
	global_store_dwordx2 v[30:31], v[28:29], off offset:2048
.LBB3_96:
	s_or_b64 exec, exec, s[2:3]
	v_or_b32_e32 v1, 0x400, v0
	v_cmp_gt_u32_e32 vcc, s20, v1
	s_and_saveexec_b64 s[2:3], vcc
	s_cbranch_execz .LBB3_98
; %bb.97:
	v_add_co_u32_e32 v30, vcc, 0x2000, v26
	s_waitcnt lgkmcnt(8)
	v_ashrrev_i32_e32 v29, 31, v10
	v_mov_b32_e32 v28, v10
	v_addc_co_u32_e32 v31, vcc, 0, v27, vcc
	global_store_dwordx2 v[30:31], v[28:29], off
.LBB3_98:
	s_or_b64 exec, exec, s[2:3]
	v_or_b32_e32 v1, 0x500, v0
	v_cmp_gt_u32_e32 vcc, s20, v1
	s_and_saveexec_b64 s[2:3], vcc
	s_cbranch_execz .LBB3_100
; %bb.99:
	v_add_co_u32_e32 v30, vcc, 0x2000, v26
	s_waitcnt lgkmcnt(8)
	v_ashrrev_i32_e32 v29, 31, v11
	v_mov_b32_e32 v28, v11
	v_addc_co_u32_e32 v31, vcc, 0, v27, vcc
	global_store_dwordx2 v[30:31], v[28:29], off offset:2048
.LBB3_100:
	;; [unrolled: 26-line block ×9, first 2 shown]
	s_or_b64 exec, exec, s[2:3]
	v_or_b32_e32 v1, 0x1400, v0
	v_cmp_gt_u32_e32 vcc, s20, v1
	s_and_saveexec_b64 s[2:3], vcc
	s_cbranch_execz .LBB3_130
; %bb.129:
	v_add_co_u32_e32 v26, vcc, 0xa000, v26
	s_waitcnt lgkmcnt(0)
	v_ashrrev_i32_e32 v25, 31, v24
	v_addc_co_u32_e32 v27, vcc, 0, v27, vcc
	global_store_dwordx2 v[26:27], v[24:25], off
.LBB3_130:
	s_or_b64 exec, exec, s[2:3]
	s_load_dword s0, s[0:1], 0x48
	s_waitcnt lgkmcnt(0)
	s_bfe_u32 s0, s0, 0x10008
	s_cmp_eq_u32 s0, 0
	s_cbranch_scc1 .LBB3_208
; %bb.131:
	s_add_u32 s0, s20, -1
	s_addc_u32 s1, s21, -1
	s_add_u32 s2, 0, 0x30c26c00
	s_addc_u32 s3, 0, 44
	s_add_i32 s3, s3, 0xc30c2e0
	s_mul_hi_u32 s9, s2, 0xffffffeb
	s_sub_i32 s9, s9, s2
	s_mul_i32 s10, s3, 0xffffffeb
	s_mul_i32 s4, s2, 0xffffffeb
	s_add_i32 s9, s9, s10
	s_mul_hi_u32 s5, s3, s4
	s_mul_i32 s8, s3, s4
	s_mul_i32 s11, s2, s9
	s_mul_hi_u32 s4, s2, s4
	s_mul_hi_u32 s10, s2, s9
	s_add_u32 s4, s4, s11
	s_addc_u32 s10, 0, s10
	s_add_u32 s4, s4, s8
	s_mul_hi_u32 s11, s3, s9
	s_addc_u32 s4, s10, s5
	s_addc_u32 s5, s11, 0
	s_mul_i32 s8, s3, s9
	s_add_u32 s4, s4, s8
	v_mov_b32_e32 v2, s4
	s_addc_u32 s5, 0, s5
	v_add_co_u32_e32 v2, vcc, s2, v2
	s_cmp_lg_u64 vcc, 0
	s_addc_u32 s2, s3, s5
	v_readfirstlane_b32 s5, v2
	s_mul_i32 s4, s0, s2
	s_mul_hi_u32 s8, s0, s5
	s_mul_hi_u32 s3, s0, s2
	s_add_u32 s4, s8, s4
	s_addc_u32 s3, 0, s3
	s_mul_hi_u32 s9, s1, s5
	s_mul_i32 s5, s1, s5
	s_add_u32 s4, s4, s5
	s_mul_hi_u32 s8, s1, s2
	s_addc_u32 s3, s3, s9
	s_addc_u32 s4, s8, 0
	s_mul_i32 s2, s1, s2
	s_add_u32 s2, s3, s2
	s_addc_u32 s3, 0, s4
	s_add_u32 s4, s2, 1
	s_addc_u32 s5, s3, 0
	s_add_u32 s8, s2, 2
	s_mul_i32 s10, s3, 21
	s_mul_hi_u32 s11, s2, 21
	s_addc_u32 s9, s3, 0
	s_add_i32 s11, s11, s10
	s_mul_i32 s10, s2, 21
	v_mov_b32_e32 v2, s10
	v_sub_co_u32_e32 v2, vcc, s0, v2
	s_cmp_lg_u64 vcc, 0
	v_mov_b32_e32 v1, v3
	s_subb_u32 s10, s1, s11
	v_subrev_co_u32_e32 v3, vcc, 21, v2
	s_cmp_lg_u64 vcc, 0
	s_subb_u32 s11, s10, 0
	v_readfirstlane_b32 s12, v3
	s_cmp_gt_u32 s12, 20
	s_cselect_b32 s12, -1, 0
	s_cmp_eq_u32 s11, 0
	s_cselect_b32 s11, s12, -1
	s_cmp_lg_u32 s11, 0
	s_cselect_b32 s4, s8, s4
	v_readfirstlane_b32 s8, v2
	s_cselect_b32 s5, s9, s5
	s_cmp_gt_u32 s8, 20
	s_cselect_b32 s8, -1, 0
	s_cmp_eq_u32 s10, 0
	s_cselect_b32 s8, s8, -1
	s_cmp_lg_u32 s8, 0
	s_cselect_b32 s3, s5, s3
	s_cselect_b32 s2, s4, s2
	v_cmp_eq_u64_e32 vcc, s[2:3], v[0:1]
	s_and_saveexec_b64 s[2:3], vcc
	s_cbranch_execz .LBB3_208
; %bb.132:
	v_mul_hi_u32_u24_e32 v1, 21, v0
	v_mov_b32_e32 v2, s1
	v_sub_co_u32_e32 v0, vcc, s0, v32
	s_nop 1
	v_subb_co_u32_e32 v1, vcc, v2, v1, vcc
	v_cmp_lt_i64_e32 vcc, 10, v[0:1]
	s_and_saveexec_b64 s[0:1], vcc
	s_xor_b64 s[0:1], exec, s[0:1]
	s_cbranch_execz .LBB3_170
; %bb.133:
	v_cmp_lt_i64_e32 vcc, 15, v[0:1]
	s_and_saveexec_b64 s[2:3], vcc
	s_xor_b64 s[2:3], exec, s[2:3]
	s_cbranch_execz .LBB3_151
; %bb.134:
	;; [unrolled: 5-line block ×5, first 2 shown]
	v_mov_b32_e32 v0, 0
	global_store_dword v0, v24, s[6:7]
                                        ; implicit-def: $vgpr20_vgpr21
.LBB3_138:
	s_andn2_saveexec_b64 s[10:11], s[10:11]
	s_cbranch_execz .LBB3_140
; %bb.139:
	v_mov_b32_e32 v0, 0
	global_store_dword v0, v21, s[6:7]
.LBB3_140:
	s_or_b64 exec, exec, s[10:11]
                                        ; implicit-def: $vgpr20_vgpr21
.LBB3_141:
	s_andn2_saveexec_b64 s[8:9], s[8:9]
	s_cbranch_execz .LBB3_143
; %bb.142:
	v_mov_b32_e32 v0, 0
	global_store_dword v0, v20, s[6:7]
.LBB3_143:
	s_or_b64 exec, exec, s[8:9]
                                        ; implicit-def: $vgpr22_vgpr23
                                        ; implicit-def: $vgpr0_vgpr1
.LBB3_144:
	s_andn2_saveexec_b64 s[4:5], s[4:5]
	s_cbranch_execz .LBB3_150
; %bb.145:
	v_cmp_lt_i64_e32 vcc, 16, v[0:1]
	s_and_saveexec_b64 s[8:9], vcc
	s_xor_b64 s[8:9], exec, s[8:9]
	s_cbranch_execz .LBB3_147
; %bb.146:
	v_mov_b32_e32 v0, 0
	global_store_dword v0, v23, s[6:7]
                                        ; implicit-def: $vgpr22_vgpr23
.LBB3_147:
	s_andn2_saveexec_b64 s[8:9], s[8:9]
	s_cbranch_execz .LBB3_149
; %bb.148:
	v_mov_b32_e32 v0, 0
	global_store_dword v0, v22, s[6:7]
.LBB3_149:
	s_or_b64 exec, exec, s[8:9]
.LBB3_150:
	s_or_b64 exec, exec, s[4:5]
                                        ; implicit-def: $vgpr0_vgpr1
                                        ; implicit-def: $vgpr4_vgpr5
                                        ; implicit-def: $vgpr16_vgpr17
                                        ; implicit-def: $vgpr18_vgpr19
.LBB3_151:
	s_andn2_saveexec_b64 s[2:3], s[2:3]
	s_cbranch_execz .LBB3_169
; %bb.152:
	v_cmp_lt_i64_e32 vcc, 12, v[0:1]
	s_and_saveexec_b64 s[4:5], vcc
	s_xor_b64 s[4:5], exec, s[4:5]
	s_cbranch_execz .LBB3_162
; %bb.153:
	v_cmp_lt_i64_e32 vcc, 13, v[0:1]
	s_and_saveexec_b64 s[8:9], vcc
	s_xor_b64 s[8:9], exec, s[8:9]
	;; [unrolled: 5-line block ×3, first 2 shown]
	s_cbranch_execz .LBB3_156
; %bb.155:
	v_mov_b32_e32 v0, 0
	global_store_dword v0, v19, s[6:7]
                                        ; implicit-def: $vgpr18_vgpr19
.LBB3_156:
	s_andn2_saveexec_b64 s[10:11], s[10:11]
	s_cbranch_execz .LBB3_158
; %bb.157:
	v_mov_b32_e32 v0, 0
	global_store_dword v0, v18, s[6:7]
.LBB3_158:
	s_or_b64 exec, exec, s[10:11]
                                        ; implicit-def: $vgpr16_vgpr17
.LBB3_159:
	s_andn2_saveexec_b64 s[8:9], s[8:9]
	s_cbranch_execz .LBB3_161
; %bb.160:
	v_mov_b32_e32 v0, 0
	global_store_dword v0, v17, s[6:7]
.LBB3_161:
	s_or_b64 exec, exec, s[8:9]
                                        ; implicit-def: $vgpr4_vgpr5
                                        ; implicit-def: $vgpr0_vgpr1
                                        ; implicit-def: $vgpr16_vgpr17
.LBB3_162:
	s_andn2_saveexec_b64 s[4:5], s[4:5]
	s_cbranch_execz .LBB3_168
; %bb.163:
	v_cmp_lt_i64_e32 vcc, 11, v[0:1]
	s_and_saveexec_b64 s[8:9], vcc
	s_xor_b64 s[8:9], exec, s[8:9]
	s_cbranch_execz .LBB3_165
; %bb.164:
	v_mov_b32_e32 v0, 0
	global_store_dword v0, v16, s[6:7]
                                        ; implicit-def: $vgpr4_vgpr5
.LBB3_165:
	s_andn2_saveexec_b64 s[8:9], s[8:9]
	s_cbranch_execz .LBB3_167
; %bb.166:
	v_mov_b32_e32 v0, 0
	global_store_dword v0, v5, s[6:7]
.LBB3_167:
	s_or_b64 exec, exec, s[8:9]
.LBB3_168:
	s_or_b64 exec, exec, s[4:5]
.LBB3_169:
	s_or_b64 exec, exec, s[2:3]
                                        ; implicit-def: $vgpr0_vgpr1
                                        ; implicit-def: $vgpr14_vgpr15
                                        ; implicit-def: $vgpr8_vgpr9
                                        ; implicit-def: $vgpr6_vgpr7
                                        ; implicit-def: $vgpr12_vgpr13
                                        ; implicit-def: $vgpr10_vgpr11
                                        ; implicit-def: $vgpr4_vgpr5
.LBB3_170:
	s_andn2_saveexec_b64 s[0:1], s[0:1]
	s_cbranch_execz .LBB3_208
; %bb.171:
	v_cmp_lt_i64_e32 vcc, 5, v[0:1]
	s_and_saveexec_b64 s[0:1], vcc
	s_xor_b64 s[0:1], exec, s[0:1]
	s_cbranch_execz .LBB3_189
; %bb.172:
	v_cmp_lt_i64_e32 vcc, 7, v[0:1]
	s_and_saveexec_b64 s[2:3], vcc
	s_xor_b64 s[2:3], exec, s[2:3]
	;; [unrolled: 5-line block ×4, first 2 shown]
	s_cbranch_execz .LBB3_176
; %bb.175:
	v_mov_b32_e32 v0, 0
	global_store_dword v0, v4, s[6:7]
                                        ; implicit-def: $vgpr12_vgpr13
.LBB3_176:
	s_andn2_saveexec_b64 s[8:9], s[8:9]
	s_cbranch_execz .LBB3_178
; %bb.177:
	v_mov_b32_e32 v0, 0
	global_store_dword v0, v13, s[6:7]
.LBB3_178:
	s_or_b64 exec, exec, s[8:9]
                                        ; implicit-def: $vgpr12_vgpr13
.LBB3_179:
	s_andn2_saveexec_b64 s[4:5], s[4:5]
	s_cbranch_execz .LBB3_181
; %bb.180:
	v_mov_b32_e32 v0, 0
	global_store_dword v0, v12, s[6:7]
.LBB3_181:
	s_or_b64 exec, exec, s[4:5]
                                        ; implicit-def: $vgpr14_vgpr15
                                        ; implicit-def: $vgpr0_vgpr1
.LBB3_182:
	s_andn2_saveexec_b64 s[2:3], s[2:3]
	s_cbranch_execz .LBB3_188
; %bb.183:
	v_cmp_lt_i64_e32 vcc, 6, v[0:1]
	s_and_saveexec_b64 s[4:5], vcc
	s_xor_b64 s[4:5], exec, s[4:5]
	s_cbranch_execz .LBB3_185
; %bb.184:
	v_mov_b32_e32 v0, 0
	global_store_dword v0, v15, s[6:7]
                                        ; implicit-def: $vgpr14_vgpr15
.LBB3_185:
	s_andn2_saveexec_b64 s[4:5], s[4:5]
	s_cbranch_execz .LBB3_187
; %bb.186:
	v_mov_b32_e32 v0, 0
	global_store_dword v0, v14, s[6:7]
.LBB3_187:
	s_or_b64 exec, exec, s[4:5]
.LBB3_188:
	s_or_b64 exec, exec, s[2:3]
                                        ; implicit-def: $vgpr0_vgpr1
                                        ; implicit-def: $vgpr8_vgpr9
                                        ; implicit-def: $vgpr6_vgpr7
                                        ; implicit-def: $vgpr10_vgpr11
.LBB3_189:
	s_andn2_saveexec_b64 s[0:1], s[0:1]
	s_cbranch_execz .LBB3_208
; %bb.190:
	v_cmp_lt_i64_e32 vcc, 2, v[0:1]
	s_and_saveexec_b64 s[0:1], vcc
	s_xor_b64 s[0:1], exec, s[0:1]
	s_cbranch_execz .LBB3_200
; %bb.191:
	v_cmp_lt_i64_e32 vcc, 3, v[0:1]
	s_and_saveexec_b64 s[2:3], vcc
	s_xor_b64 s[2:3], exec, s[2:3]
	s_cbranch_execz .LBB3_197
; %bb.192:
	v_cmp_lt_i64_e32 vcc, 4, v[0:1]
	s_and_saveexec_b64 s[4:5], vcc
	s_xor_b64 s[4:5], exec, s[4:5]
	s_cbranch_execz .LBB3_194
; %bb.193:
	v_mov_b32_e32 v0, 0
	global_store_dword v0, v11, s[6:7]
                                        ; implicit-def: $vgpr10_vgpr11
.LBB3_194:
	s_andn2_saveexec_b64 s[4:5], s[4:5]
	s_cbranch_execz .LBB3_196
; %bb.195:
	v_mov_b32_e32 v0, 0
	global_store_dword v0, v10, s[6:7]
.LBB3_196:
	s_or_b64 exec, exec, s[4:5]
                                        ; implicit-def: $vgpr8_vgpr9
.LBB3_197:
	s_andn2_saveexec_b64 s[2:3], s[2:3]
	s_cbranch_execz .LBB3_199
; %bb.198:
	v_mov_b32_e32 v0, 0
	global_store_dword v0, v9, s[6:7]
.LBB3_199:
	s_or_b64 exec, exec, s[2:3]
                                        ; implicit-def: $vgpr0_vgpr1
                                        ; implicit-def: $vgpr8_vgpr9
                                        ; implicit-def: $vgpr6_vgpr7
.LBB3_200:
	s_andn2_saveexec_b64 s[0:1], s[0:1]
	s_cbranch_execz .LBB3_208
; %bb.201:
	v_cmp_lt_i64_e32 vcc, 1, v[0:1]
	s_and_saveexec_b64 s[0:1], vcc
	s_xor_b64 s[0:1], exec, s[0:1]
	s_cbranch_execz .LBB3_203
; %bb.202:
	v_mov_b32_e32 v0, 0
	global_store_dword v0, v8, s[6:7]
                                        ; implicit-def: $vgpr6_vgpr7
                                        ; implicit-def: $vgpr0_vgpr1
.LBB3_203:
	s_andn2_saveexec_b64 s[0:1], s[0:1]
	s_cbranch_execz .LBB3_208
; %bb.204:
	v_cmp_ne_u64_e32 vcc, 1, v[0:1]
	s_and_saveexec_b64 s[0:1], vcc
	s_xor_b64 s[0:1], exec, s[0:1]
	s_cbranch_execz .LBB3_206
; %bb.205:
	v_mov_b32_e32 v0, 0
	global_store_dword v0, v6, s[6:7]
                                        ; implicit-def: $vgpr6_vgpr7
.LBB3_206:
	s_andn2_saveexec_b64 s[0:1], s[0:1]
	s_cbranch_execz .LBB3_208
; %bb.207:
	v_mov_b32_e32 v0, 0
	global_store_dword v0, v7, s[6:7]
.LBB3_208:
	s_endpgm
	.section	.rodata,"a",@progbits
	.p2align	6, 0x0
	.amdhsa_kernel _ZN7rocprim6detail20lookback_scan_kernelILNS0_25lookback_scan_determinismE0ELb0ENS0_19wrapped_scan_configINS_14default_configEiEEN6hipcub22TransformInputIteratorIiNS6_6CastOpIiEEPilEEPlNS6_3SumEiiNS0_19lookback_scan_stateIiLb0ELb1EEEEEvT2_T3_mT5_T4_T7_jPT6_SM_bb
		.amdhsa_group_segment_fixed_size 21504
		.amdhsa_private_segment_fixed_size 0
		.amdhsa_kernarg_size 76
		.amdhsa_user_sgpr_count 2
		.amdhsa_user_sgpr_dispatch_ptr 0
		.amdhsa_user_sgpr_queue_ptr 0
		.amdhsa_user_sgpr_kernarg_segment_ptr 1
		.amdhsa_user_sgpr_dispatch_id 0
		.amdhsa_user_sgpr_kernarg_preload_length 0
		.amdhsa_user_sgpr_kernarg_preload_offset 0
		.amdhsa_user_sgpr_private_segment_size 0
		.amdhsa_uses_dynamic_stack 0
		.amdhsa_enable_private_segment 0
		.amdhsa_system_sgpr_workgroup_id_x 1
		.amdhsa_system_sgpr_workgroup_id_y 0
		.amdhsa_system_sgpr_workgroup_id_z 0
		.amdhsa_system_sgpr_workgroup_info 0
		.amdhsa_system_vgpr_workitem_id 0
		.amdhsa_next_free_vgpr 70
		.amdhsa_next_free_sgpr 24
		.amdhsa_accum_offset 72
		.amdhsa_reserve_vcc 1
		.amdhsa_float_round_mode_32 0
		.amdhsa_float_round_mode_16_64 0
		.amdhsa_float_denorm_mode_32 3
		.amdhsa_float_denorm_mode_16_64 3
		.amdhsa_dx10_clamp 1
		.amdhsa_ieee_mode 1
		.amdhsa_fp16_overflow 0
		.amdhsa_tg_split 0
		.amdhsa_exception_fp_ieee_invalid_op 0
		.amdhsa_exception_fp_denorm_src 0
		.amdhsa_exception_fp_ieee_div_zero 0
		.amdhsa_exception_fp_ieee_overflow 0
		.amdhsa_exception_fp_ieee_underflow 0
		.amdhsa_exception_fp_ieee_inexact 0
		.amdhsa_exception_int_div_zero 0
	.end_amdhsa_kernel
	.section	.text._ZN7rocprim6detail20lookback_scan_kernelILNS0_25lookback_scan_determinismE0ELb0ENS0_19wrapped_scan_configINS_14default_configEiEEN6hipcub22TransformInputIteratorIiNS6_6CastOpIiEEPilEEPlNS6_3SumEiiNS0_19lookback_scan_stateIiLb0ELb1EEEEEvT2_T3_mT5_T4_T7_jPT6_SM_bb,"axG",@progbits,_ZN7rocprim6detail20lookback_scan_kernelILNS0_25lookback_scan_determinismE0ELb0ENS0_19wrapped_scan_configINS_14default_configEiEEN6hipcub22TransformInputIteratorIiNS6_6CastOpIiEEPilEEPlNS6_3SumEiiNS0_19lookback_scan_stateIiLb0ELb1EEEEEvT2_T3_mT5_T4_T7_jPT6_SM_bb,comdat
.Lfunc_end3:
	.size	_ZN7rocprim6detail20lookback_scan_kernelILNS0_25lookback_scan_determinismE0ELb0ENS0_19wrapped_scan_configINS_14default_configEiEEN6hipcub22TransformInputIteratorIiNS6_6CastOpIiEEPilEEPlNS6_3SumEiiNS0_19lookback_scan_stateIiLb0ELb1EEEEEvT2_T3_mT5_T4_T7_jPT6_SM_bb, .Lfunc_end3-_ZN7rocprim6detail20lookback_scan_kernelILNS0_25lookback_scan_determinismE0ELb0ENS0_19wrapped_scan_configINS_14default_configEiEEN6hipcub22TransformInputIteratorIiNS6_6CastOpIiEEPilEEPlNS6_3SumEiiNS0_19lookback_scan_stateIiLb0ELb1EEEEEvT2_T3_mT5_T4_T7_jPT6_SM_bb
                                        ; -- End function
	.section	.AMDGPU.csdata,"",@progbits
; Kernel info:
; codeLenInByte = 7388
; NumSgprs: 30
; NumVgprs: 70
; NumAgprs: 0
; TotalNumVgprs: 70
; ScratchSize: 0
; MemoryBound: 0
; FloatMode: 240
; IeeeMode: 1
; LDSByteSize: 21504 bytes/workgroup (compile time only)
; SGPRBlocks: 3
; VGPRBlocks: 8
; NumSGPRsForWavesPerEU: 30
; NumVGPRsForWavesPerEU: 70
; AccumOffset: 72
; Occupancy: 3
; WaveLimiterHint : 1
; COMPUTE_PGM_RSRC2:SCRATCH_EN: 0
; COMPUTE_PGM_RSRC2:USER_SGPR: 2
; COMPUTE_PGM_RSRC2:TRAP_HANDLER: 0
; COMPUTE_PGM_RSRC2:TGID_X_EN: 1
; COMPUTE_PGM_RSRC2:TGID_Y_EN: 0
; COMPUTE_PGM_RSRC2:TGID_Z_EN: 0
; COMPUTE_PGM_RSRC2:TIDIG_COMP_CNT: 0
; COMPUTE_PGM_RSRC3_GFX90A:ACCUM_OFFSET: 17
; COMPUTE_PGM_RSRC3_GFX90A:TG_SPLIT: 0
	.section	.text._ZN7rocprim6detail16transform_kernelINS0_24wrapped_transform_configINS_14default_configEiEEiPiS5_NS_8identityIiEEEEvT1_mT2_T3_,"axG",@progbits,_ZN7rocprim6detail16transform_kernelINS0_24wrapped_transform_configINS_14default_configEiEEiPiS5_NS_8identityIiEEEEvT1_mT2_T3_,comdat
	.protected	_ZN7rocprim6detail16transform_kernelINS0_24wrapped_transform_configINS_14default_configEiEEiPiS5_NS_8identityIiEEEEvT1_mT2_T3_ ; -- Begin function _ZN7rocprim6detail16transform_kernelINS0_24wrapped_transform_configINS_14default_configEiEEiPiS5_NS_8identityIiEEEEvT1_mT2_T3_
	.globl	_ZN7rocprim6detail16transform_kernelINS0_24wrapped_transform_configINS_14default_configEiEEiPiS5_NS_8identityIiEEEEvT1_mT2_T3_
	.p2align	8
	.type	_ZN7rocprim6detail16transform_kernelINS0_24wrapped_transform_configINS_14default_configEiEEiPiS5_NS_8identityIiEEEEvT1_mT2_T3_,@function
_ZN7rocprim6detail16transform_kernelINS0_24wrapped_transform_configINS_14default_configEiEEiPiS5_NS_8identityIiEEEEvT1_mT2_T3_: ; @_ZN7rocprim6detail16transform_kernelINS0_24wrapped_transform_configINS_14default_configEiEEiPiS5_NS_8identityIiEEEEvT1_mT2_T3_
; %bb.0:
	s_load_dword s3, s[0:1], 0x20
	s_load_dwordx4 s[4:7], s[0:1], 0x0
	s_load_dwordx2 s[8:9], s[0:1], 0x10
	s_lshl_b32 s0, s2, 10
	s_mov_b32 s1, 0
	s_waitcnt lgkmcnt(0)
	s_add_i32 s3, s3, -1
	s_lshl_b64 s[10:11], s[0:1], 2
	s_add_u32 s4, s4, s10
	s_addc_u32 s5, s5, s11
	v_mov_b32_e32 v7, 0
	v_lshlrev_b32_e32 v6, 2, v0
	s_cmp_lg_u32 s2, s3
	v_lshl_add_u64 v[8:9], s[4:5], 0, v[6:7]
	s_cbranch_scc0 .LBB4_2
; %bb.1:
	global_load_dword v2, v[8:9], off
	global_load_dword v3, v[8:9], off offset:1024
	global_load_dword v4, v[8:9], off offset:2048
	;; [unrolled: 1-line block ×3, first 2 shown]
	s_add_u32 s4, s8, s10
	s_addc_u32 s5, s9, s11
	s_mov_b64 s[12:13], -1
	s_waitcnt vmcnt(3)
	global_store_dword v6, v2, s[4:5]
	s_waitcnt vmcnt(3)
	global_store_dword v6, v3, s[4:5] offset:1024
	s_waitcnt vmcnt(3)
	global_store_dword v6, v4, s[4:5] offset:2048
	s_cbranch_execz .LBB4_3
	s_branch .LBB4_17
.LBB4_2:
	s_mov_b64 s[12:13], 0
                                        ; implicit-def: $vgpr1
.LBB4_3:
	s_sub_i32 s6, s6, s0
	v_cmp_gt_u32_e32 vcc, s6, v0
                                        ; implicit-def: $vgpr2_vgpr3_vgpr4_vgpr5
	s_and_saveexec_b64 s[0:1], vcc
	s_cbranch_execz .LBB4_5
; %bb.4:
	global_load_dword v2, v[8:9], off
.LBB4_5:
	s_or_b64 exec, exec, s[0:1]
	s_waitcnt vmcnt(3)
	v_or_b32_e32 v1, 0x100, v0
	v_cmp_gt_u32_e64 s[0:1], s6, v1
	s_and_saveexec_b64 s[2:3], s[0:1]
	s_cbranch_execz .LBB4_7
; %bb.6:
	global_load_dword v3, v[8:9], off offset:1024
.LBB4_7:
	s_or_b64 exec, exec, s[2:3]
	v_or_b32_e32 v1, 0x200, v0
	v_cmp_gt_u32_e64 s[2:3], s6, v1
	s_and_saveexec_b64 s[4:5], s[2:3]
	s_cbranch_execz .LBB4_9
; %bb.8:
	global_load_dword v4, v[8:9], off offset:2048
.LBB4_9:
	s_or_b64 exec, exec, s[4:5]
	;; [unrolled: 8-line block ×3, first 2 shown]
	s_add_u32 s6, s8, s10
	s_addc_u32 s7, s9, s11
	v_mov_b32_e32 v7, 0
	v_lshl_add_u64 v[0:1], s[6:7], 0, v[6:7]
	s_and_saveexec_b64 s[6:7], vcc
	s_cbranch_execnz .LBB4_20
; %bb.12:
	s_or_b64 exec, exec, s[6:7]
	s_and_saveexec_b64 s[6:7], s[0:1]
	s_cbranch_execnz .LBB4_21
.LBB4_13:
	s_or_b64 exec, exec, s[6:7]
	s_and_saveexec_b64 s[0:1], s[2:3]
	s_cbranch_execnz .LBB4_22
.LBB4_14:
	s_or_b64 exec, exec, s[0:1]
                                        ; implicit-def: $vgpr1
	s_and_saveexec_b64 s[0:1], s[4:5]
	s_cbranch_execz .LBB4_16
.LBB4_15:
	s_waitcnt vmcnt(0)
	v_cndmask_b32_e64 v1, v5, v5, s[4:5]
	s_or_b64 s[12:13], s[12:13], exec
.LBB4_16:
	s_or_b64 exec, exec, s[0:1]
.LBB4_17:
	s_and_saveexec_b64 s[0:1], s[12:13]
	s_cbranch_execnz .LBB4_19
; %bb.18:
	s_endpgm
.LBB4_19:
	s_add_u32 s0, s8, s10
	s_addc_u32 s1, s9, s11
	s_waitcnt vmcnt(3)
	global_store_dword v6, v1, s[0:1] offset:3072
	s_endpgm
.LBB4_20:
	s_waitcnt vmcnt(0)
	global_store_dword v[0:1], v2, off
	s_or_b64 exec, exec, s[6:7]
	s_and_saveexec_b64 s[6:7], s[0:1]
	s_cbranch_execz .LBB4_13
.LBB4_21:
	s_waitcnt vmcnt(0)
	global_store_dword v[0:1], v3, off offset:1024
	s_or_b64 exec, exec, s[6:7]
	s_and_saveexec_b64 s[0:1], s[2:3]
	s_cbranch_execz .LBB4_14
.LBB4_22:
	s_waitcnt vmcnt(0)
	v_cndmask_b32_e64 v2, v4, v4, s[2:3]
	global_store_dword v[0:1], v2, off offset:2048
	s_or_b64 exec, exec, s[0:1]
                                        ; implicit-def: $vgpr1
	s_and_saveexec_b64 s[0:1], s[4:5]
	s_cbranch_execnz .LBB4_15
	s_branch .LBB4_16
	.section	.rodata,"a",@progbits
	.p2align	6, 0x0
	.amdhsa_kernel _ZN7rocprim6detail16transform_kernelINS0_24wrapped_transform_configINS_14default_configEiEEiPiS5_NS_8identityIiEEEEvT1_mT2_T3_
		.amdhsa_group_segment_fixed_size 0
		.amdhsa_private_segment_fixed_size 0
		.amdhsa_kernarg_size 288
		.amdhsa_user_sgpr_count 2
		.amdhsa_user_sgpr_dispatch_ptr 0
		.amdhsa_user_sgpr_queue_ptr 0
		.amdhsa_user_sgpr_kernarg_segment_ptr 1
		.amdhsa_user_sgpr_dispatch_id 0
		.amdhsa_user_sgpr_kernarg_preload_length 0
		.amdhsa_user_sgpr_kernarg_preload_offset 0
		.amdhsa_user_sgpr_private_segment_size 0
		.amdhsa_uses_dynamic_stack 0
		.amdhsa_enable_private_segment 0
		.amdhsa_system_sgpr_workgroup_id_x 1
		.amdhsa_system_sgpr_workgroup_id_y 0
		.amdhsa_system_sgpr_workgroup_id_z 0
		.amdhsa_system_sgpr_workgroup_info 0
		.amdhsa_system_vgpr_workitem_id 0
		.amdhsa_next_free_vgpr 10
		.amdhsa_next_free_sgpr 14
		.amdhsa_accum_offset 12
		.amdhsa_reserve_vcc 1
		.amdhsa_float_round_mode_32 0
		.amdhsa_float_round_mode_16_64 0
		.amdhsa_float_denorm_mode_32 3
		.amdhsa_float_denorm_mode_16_64 3
		.amdhsa_dx10_clamp 1
		.amdhsa_ieee_mode 1
		.amdhsa_fp16_overflow 0
		.amdhsa_tg_split 0
		.amdhsa_exception_fp_ieee_invalid_op 0
		.amdhsa_exception_fp_denorm_src 0
		.amdhsa_exception_fp_ieee_div_zero 0
		.amdhsa_exception_fp_ieee_overflow 0
		.amdhsa_exception_fp_ieee_underflow 0
		.amdhsa_exception_fp_ieee_inexact 0
		.amdhsa_exception_int_div_zero 0
	.end_amdhsa_kernel
	.section	.text._ZN7rocprim6detail16transform_kernelINS0_24wrapped_transform_configINS_14default_configEiEEiPiS5_NS_8identityIiEEEEvT1_mT2_T3_,"axG",@progbits,_ZN7rocprim6detail16transform_kernelINS0_24wrapped_transform_configINS_14default_configEiEEiPiS5_NS_8identityIiEEEEvT1_mT2_T3_,comdat
.Lfunc_end4:
	.size	_ZN7rocprim6detail16transform_kernelINS0_24wrapped_transform_configINS_14default_configEiEEiPiS5_NS_8identityIiEEEEvT1_mT2_T3_, .Lfunc_end4-_ZN7rocprim6detail16transform_kernelINS0_24wrapped_transform_configINS_14default_configEiEEiPiS5_NS_8identityIiEEEEvT1_mT2_T3_
                                        ; -- End function
	.section	.AMDGPU.csdata,"",@progbits
; Kernel info:
; codeLenInByte = 512
; NumSgprs: 20
; NumVgprs: 10
; NumAgprs: 0
; TotalNumVgprs: 10
; ScratchSize: 0
; MemoryBound: 0
; FloatMode: 240
; IeeeMode: 1
; LDSByteSize: 0 bytes/workgroup (compile time only)
; SGPRBlocks: 2
; VGPRBlocks: 1
; NumSGPRsForWavesPerEU: 20
; NumVGPRsForWavesPerEU: 10
; AccumOffset: 12
; Occupancy: 8
; WaveLimiterHint : 1
; COMPUTE_PGM_RSRC2:SCRATCH_EN: 0
; COMPUTE_PGM_RSRC2:USER_SGPR: 2
; COMPUTE_PGM_RSRC2:TRAP_HANDLER: 0
; COMPUTE_PGM_RSRC2:TGID_X_EN: 1
; COMPUTE_PGM_RSRC2:TGID_Y_EN: 0
; COMPUTE_PGM_RSRC2:TGID_Z_EN: 0
; COMPUTE_PGM_RSRC2:TIDIG_COMP_CNT: 0
; COMPUTE_PGM_RSRC3_GFX90A:ACCUM_OFFSET: 2
; COMPUTE_PGM_RSRC3_GFX90A:TG_SPLIT: 0
	.section	.text._ZN7rocprim6detail18single_scan_kernelILb0ENS0_19wrapped_scan_configINS_14default_configEiEEN6hipcub22TransformInputIteratorIiNS5_6CastOpIiEEPilEEPlNS5_3SumEiiEEvT1_mT4_T2_T3_,"axG",@progbits,_ZN7rocprim6detail18single_scan_kernelILb0ENS0_19wrapped_scan_configINS_14default_configEiEEN6hipcub22TransformInputIteratorIiNS5_6CastOpIiEEPilEEPlNS5_3SumEiiEEvT1_mT4_T2_T3_,comdat
	.protected	_ZN7rocprim6detail18single_scan_kernelILb0ENS0_19wrapped_scan_configINS_14default_configEiEEN6hipcub22TransformInputIteratorIiNS5_6CastOpIiEEPilEEPlNS5_3SumEiiEEvT1_mT4_T2_T3_ ; -- Begin function _ZN7rocprim6detail18single_scan_kernelILb0ENS0_19wrapped_scan_configINS_14default_configEiEEN6hipcub22TransformInputIteratorIiNS5_6CastOpIiEEPilEEPlNS5_3SumEiiEEvT1_mT4_T2_T3_
	.globl	_ZN7rocprim6detail18single_scan_kernelILb0ENS0_19wrapped_scan_configINS_14default_configEiEEN6hipcub22TransformInputIteratorIiNS5_6CastOpIiEEPilEEPlNS5_3SumEiiEEvT1_mT4_T2_T3_
	.p2align	8
	.type	_ZN7rocprim6detail18single_scan_kernelILb0ENS0_19wrapped_scan_configINS_14default_configEiEEN6hipcub22TransformInputIteratorIiNS5_6CastOpIiEEPilEEPlNS5_3SumEiiEEvT1_mT4_T2_T3_,@function
_ZN7rocprim6detail18single_scan_kernelILb0ENS0_19wrapped_scan_configINS_14default_configEiEEN6hipcub22TransformInputIteratorIiNS5_6CastOpIiEEPilEEPlNS5_3SumEiiEEvT1_mT4_T2_T3_: ; @_ZN7rocprim6detail18single_scan_kernelILb0ENS0_19wrapped_scan_configINS_14default_configEiEEN6hipcub22TransformInputIteratorIiNS5_6CastOpIiEEPilEEPlNS5_3SumEiiEEvT1_mT4_T2_T3_
; %bb.0:
	s_load_dwordx2 s[2:3], s[0:1], 0x0
	s_load_dword s33, s[0:1], 0x10
	v_mov_b32_e32 v3, 0
	v_lshlrev_b32_e32 v2, 2, v0
	s_waitcnt lgkmcnt(0)
	s_load_dword s46, s[2:3], 0x0
	v_lshl_add_u64 v[4:5], s[2:3], 0, v[2:3]
	v_cmp_gt_u32_e64 s[2:3], s33, v0
	s_waitcnt lgkmcnt(0)
	v_mov_b32_e32 v1, s46
	s_and_saveexec_b64 s[4:5], s[2:3]
	s_cbranch_execz .LBB5_2
; %bb.1:
	global_load_dword v1, v[4:5], off
.LBB5_2:
	s_or_b64 exec, exec, s[4:5]
	v_or_b32_e32 v3, 0x100, v0
	v_cmp_gt_u32_e64 s[4:5], s33, v3
	v_mov_b32_e32 v3, s46
	s_and_saveexec_b64 s[6:7], s[4:5]
	s_cbranch_execz .LBB5_4
; %bb.3:
	global_load_dword v3, v[4:5], off offset:1024
.LBB5_4:
	s_or_b64 exec, exec, s[6:7]
	v_or_b32_e32 v6, 0x200, v0
	v_cmp_gt_u32_e64 s[10:11], s33, v6
	v_mov_b32_e32 v6, s46
	s_and_saveexec_b64 s[6:7], s[10:11]
	s_cbranch_execz .LBB5_6
; %bb.5:
	global_load_dword v6, v[4:5], off offset:2048
.LBB5_6:
	;; [unrolled: 9-line block ×3, first 2 shown]
	s_or_b64 exec, exec, s[8:9]
	v_or_b32_e32 v8, 0x400, v0
	v_cmp_gt_u32_e64 s[44:45], s33, v8
	v_mov_b32_e32 v8, s46
	s_and_saveexec_b64 s[8:9], s[44:45]
	s_cbranch_execz .LBB5_10
; %bb.9:
	v_add_co_u32_e32 v8, vcc, 0x1000, v4
	s_nop 1
	v_addc_co_u32_e32 v9, vcc, 0, v5, vcc
	global_load_dword v8, v[8:9], off
.LBB5_10:
	s_or_b64 exec, exec, s[8:9]
	v_or_b32_e32 v9, 0x500, v0
	v_cmp_gt_u32_e64 s[8:9], s33, v9
	v_mov_b32_e32 v9, s46
	s_and_saveexec_b64 s[12:13], s[8:9]
	s_cbranch_execz .LBB5_12
; %bb.11:
	v_add_co_u32_e32 v10, vcc, 0x1000, v4
	s_nop 1
	v_addc_co_u32_e32 v11, vcc, 0, v5, vcc
	global_load_dword v9, v[10:11], off offset:1024
.LBB5_12:
	s_or_b64 exec, exec, s[12:13]
	v_or_b32_e32 v10, 0x600, v0
	v_cmp_gt_u32_e64 s[12:13], s33, v10
	v_mov_b32_e32 v10, s46
	s_and_saveexec_b64 s[14:15], s[12:13]
	s_cbranch_execz .LBB5_14
; %bb.13:
	v_add_co_u32_e32 v10, vcc, 0x1000, v4
	s_nop 1
	v_addc_co_u32_e32 v11, vcc, 0, v5, vcc
	global_load_dword v10, v[10:11], off offset:2048
.LBB5_14:
	s_or_b64 exec, exec, s[14:15]
	v_or_b32_e32 v11, 0x700, v0
	v_cmp_gt_u32_e64 s[14:15], s33, v11
	v_mov_b32_e32 v11, s46
	s_and_saveexec_b64 s[16:17], s[14:15]
	s_cbranch_execz .LBB5_16
; %bb.15:
	v_add_co_u32_e32 v12, vcc, 0x1000, v4
	s_nop 1
	v_addc_co_u32_e32 v13, vcc, 0, v5, vcc
	global_load_dword v11, v[12:13], off offset:3072
.LBB5_16:
	s_or_b64 exec, exec, s[16:17]
	v_or_b32_e32 v12, 0x800, v0
	v_cmp_gt_u32_e64 s[16:17], s33, v12
	v_mov_b32_e32 v12, s46
	s_and_saveexec_b64 s[18:19], s[16:17]
	s_cbranch_execz .LBB5_18
; %bb.17:
	v_add_co_u32_e32 v12, vcc, 0x2000, v4
	s_nop 1
	v_addc_co_u32_e32 v13, vcc, 0, v5, vcc
	global_load_dword v12, v[12:13], off
.LBB5_18:
	s_or_b64 exec, exec, s[18:19]
	v_or_b32_e32 v13, 0x900, v0
	v_cmp_gt_u32_e64 s[18:19], s33, v13
	v_mov_b32_e32 v13, s46
	s_and_saveexec_b64 s[20:21], s[18:19]
	s_cbranch_execz .LBB5_20
; %bb.19:
	v_add_co_u32_e32 v14, vcc, 0x2000, v4
	s_nop 1
	v_addc_co_u32_e32 v15, vcc, 0, v5, vcc
	global_load_dword v13, v[14:15], off offset:1024
.LBB5_20:
	s_or_b64 exec, exec, s[20:21]
	v_or_b32_e32 v14, 0xa00, v0
	v_cmp_gt_u32_e64 s[20:21], s33, v14
	v_mov_b32_e32 v14, s46
	s_and_saveexec_b64 s[22:23], s[20:21]
	s_cbranch_execz .LBB5_22
; %bb.21:
	v_add_co_u32_e32 v14, vcc, 0x2000, v4
	s_nop 1
	v_addc_co_u32_e32 v15, vcc, 0, v5, vcc
	global_load_dword v14, v[14:15], off offset:2048
.LBB5_22:
	s_or_b64 exec, exec, s[22:23]
	v_or_b32_e32 v15, 0xb00, v0
	v_cmp_gt_u32_e64 s[22:23], s33, v15
	v_mov_b32_e32 v15, s46
	s_and_saveexec_b64 s[24:25], s[22:23]
	s_cbranch_execz .LBB5_24
; %bb.23:
	v_add_co_u32_e32 v16, vcc, 0x2000, v4
	s_nop 1
	v_addc_co_u32_e32 v17, vcc, 0, v5, vcc
	global_load_dword v15, v[16:17], off offset:3072
.LBB5_24:
	;; [unrolled: 48-line block ×4, first 2 shown]
	s_or_b64 exec, exec, s[42:43]
	v_or_b32_e32 v24, 0x1400, v0
	v_cmp_gt_u32_e64 s[42:43], s33, v24
	v_mov_b32_e32 v24, s46
	s_and_saveexec_b64 s[46:47], s[42:43]
	s_cbranch_execz .LBB5_42
; %bb.41:
	v_add_co_u32_e32 v4, vcc, 0x5000, v4
	s_nop 1
	v_addc_co_u32_e32 v5, vcc, 0, v5, vcc
	global_load_dword v24, v[4:5], off
.LBB5_42:
	s_or_b64 exec, exec, s[46:47]
	s_movk_i32 s33, 0x50
	s_waitcnt vmcnt(0)
	ds_write2st64_b32 v2, v1, v3 offset1:4
	ds_write2st64_b32 v2, v6, v7 offset0:8 offset1:12
	ds_write2st64_b32 v2, v8, v9 offset0:16 offset1:20
	;; [unrolled: 1-line block ×9, first 2 shown]
	ds_write_b32 v2, v24 offset:20480
	v_mad_u32_u24 v1, v0, s33, v2
	s_waitcnt lgkmcnt(0)
	s_barrier
	ds_read2_b32 v[22:23], v1 offset1:1
	ds_read2_b32 v[20:21], v1 offset0:2 offset1:3
	ds_read2_b32 v[18:19], v1 offset0:4 offset1:5
	;; [unrolled: 1-line block ×9, first 2 shown]
	ds_read_b32 v1, v1 offset:80
	s_waitcnt lgkmcnt(9)
	v_add3_u32 v3, v23, v22, v20
	s_waitcnt lgkmcnt(8)
	v_add3_u32 v3, v3, v21, v18
	;; [unrolled: 2-line block ×10, first 2 shown]
	v_mbcnt_lo_u32_b32 v3, -1, 0
	v_mbcnt_hi_u32_b32 v3, -1, v3
	v_and_b32_e32 v25, 15, v3
	v_mov_b32_dpp v26, v24 row_shr:1 row_mask:0xf bank_mask:0xf
	v_cmp_ne_u32_e32 vcc, 0, v25
	s_barrier
	s_nop 0
	v_cndmask_b32_e32 v26, 0, v26, vcc
	v_add_u32_e32 v24, v26, v24
	v_cmp_lt_u32_e32 vcc, 1, v25
	s_nop 0
	v_mov_b32_dpp v26, v24 row_shr:2 row_mask:0xf bank_mask:0xf
	v_cndmask_b32_e32 v26, 0, v26, vcc
	v_add_u32_e32 v24, v24, v26
	v_cmp_lt_u32_e32 vcc, 3, v25
	s_nop 0
	v_mov_b32_dpp v26, v24 row_shr:4 row_mask:0xf bank_mask:0xf
	;; [unrolled: 5-line block ×3, first 2 shown]
	v_cndmask_b32_e32 v25, 0, v26, vcc
	v_add_u32_e32 v24, v24, v25
	v_bfe_i32 v26, v3, 4, 1
	v_cmp_lt_u32_e32 vcc, 31, v3
	v_mov_b32_dpp v25, v24 row_bcast:15 row_mask:0xf bank_mask:0xf
	v_and_b32_e32 v25, v26, v25
	v_add_u32_e32 v24, v24, v25
	v_lshrrev_b32_e32 v26, 6, v0
	s_nop 0
	v_mov_b32_dpp v25, v24 row_bcast:31 row_mask:0xf bank_mask:0xf
	v_cndmask_b32_e32 v25, 0, v25, vcc
	v_add_u32_e32 v24, v24, v25
	v_or_b32_e32 v25, 63, v0
	v_cmp_eq_u32_e32 vcc, v25, v0
	s_and_saveexec_b64 s[46:47], vcc
	s_cbranch_execz .LBB5_44
; %bb.43:
	v_lshlrev_b32_e32 v25, 2, v26
	ds_write_b32 v25, v24
.LBB5_44:
	s_or_b64 exec, exec, s[46:47]
	v_cmp_gt_u32_e32 vcc, 4, v0
	s_waitcnt lgkmcnt(0)
	s_barrier
	s_and_saveexec_b64 s[46:47], vcc
	s_cbranch_execz .LBB5_46
; %bb.45:
	ds_read_b32 v25, v2
	v_and_b32_e32 v27, 3, v3
	v_cmp_ne_u32_e32 vcc, 0, v27
	s_waitcnt lgkmcnt(0)
	v_mov_b32_dpp v28, v25 row_shr:1 row_mask:0xf bank_mask:0xf
	v_cndmask_b32_e32 v28, 0, v28, vcc
	v_add_u32_e32 v25, v28, v25
	v_cmp_lt_u32_e32 vcc, 1, v27
	s_nop 0
	v_mov_b32_dpp v28, v25 row_shr:2 row_mask:0xf bank_mask:0xf
	v_cndmask_b32_e32 v27, 0, v28, vcc
	v_add_u32_e32 v25, v25, v27
	ds_write_b32 v2, v25
.LBB5_46:
	s_or_b64 exec, exec, s[46:47]
	v_mul_u32_u24_e32 v25, 0x50, v0
	v_cmp_lt_u32_e32 vcc, 63, v0
	s_waitcnt lgkmcnt(0)
	s_barrier
	s_waitcnt lgkmcnt(0)
                                        ; implicit-def: $vgpr27
	s_and_saveexec_b64 s[46:47], vcc
	s_cbranch_execz .LBB5_48
; %bb.47:
	v_lshl_add_u32 v26, v26, 2, -4
	ds_read_b32 v27, v26
	s_waitcnt lgkmcnt(0)
	v_add_u32_e32 v24, v27, v24
.LBB5_48:
	s_or_b64 exec, exec, s[46:47]
	v_add_u32_e32 v26, -1, v3
	v_and_b32_e32 v28, 64, v3
	v_cmp_lt_i32_e32 vcc, v26, v28
	s_barrier
	s_nop 0
	v_cndmask_b32_e32 v26, v26, v3, vcc
	v_lshlrev_b32_e32 v26, 2, v26
	ds_bpermute_b32 v24, v26, v24
	v_cmp_eq_u32_e32 vcc, 0, v3
	s_waitcnt lgkmcnt(0)
	s_load_dwordx2 s[0:1], s[0:1], 0x20
	v_cndmask_b32_e32 v3, v24, v27, vcc
	v_cmp_ne_u32_e32 vcc, 0, v0
	v_lshlrev_b32_e32 v0, 3, v0
	s_nop 0
	v_cndmask_b32_e32 v3, 0, v3, vcc
	v_add_u32_e32 v3, v3, v22
	v_add_u32_e32 v22, v3, v23
	;; [unrolled: 1-line block ×22, first 2 shown]
	ds_write2_b32 v23, v3, v22 offset1:1
	ds_write2_b32 v23, v20, v21 offset0:2 offset1:3
	ds_write2_b32 v23, v18, v19 offset0:4 offset1:5
	;; [unrolled: 1-line block ×9, first 2 shown]
	ds_write_b32 v23, v1 offset:80
	s_waitcnt lgkmcnt(0)
	s_barrier
	ds_read2st64_b32 v[22:23], v2 offset0:4 offset1:8
	ds_read2st64_b32 v[20:21], v2 offset0:12 offset1:16
	;; [unrolled: 1-line block ×10, first 2 shown]
	v_mov_b32_e32 v1, 0
	v_lshl_add_u64 v[0:1], s[0:1], 0, v[0:1]
	s_and_saveexec_b64 s[0:1], s[2:3]
	s_cbranch_execnz .LBB5_70
; %bb.49:
	s_or_b64 exec, exec, s[0:1]
	s_and_saveexec_b64 s[0:1], s[4:5]
	s_cbranch_execnz .LBB5_71
.LBB5_50:
	s_or_b64 exec, exec, s[0:1]
	s_and_saveexec_b64 s[0:1], s[10:11]
	s_cbranch_execnz .LBB5_72
.LBB5_51:
	s_or_b64 exec, exec, s[0:1]
	s_and_saveexec_b64 s[0:1], s[6:7]
	s_cbranch_execnz .LBB5_73
.LBB5_52:
	s_or_b64 exec, exec, s[0:1]
	s_and_saveexec_b64 s[0:1], s[44:45]
	s_cbranch_execnz .LBB5_74
.LBB5_53:
	s_or_b64 exec, exec, s[0:1]
	s_and_saveexec_b64 s[0:1], s[8:9]
	s_cbranch_execnz .LBB5_75
.LBB5_54:
	s_or_b64 exec, exec, s[0:1]
	s_and_saveexec_b64 s[0:1], s[12:13]
	s_cbranch_execnz .LBB5_76
.LBB5_55:
	s_or_b64 exec, exec, s[0:1]
	s_and_saveexec_b64 s[0:1], s[14:15]
	s_cbranch_execnz .LBB5_77
.LBB5_56:
	s_or_b64 exec, exec, s[0:1]
	s_and_saveexec_b64 s[0:1], s[16:17]
	s_cbranch_execnz .LBB5_78
.LBB5_57:
	s_or_b64 exec, exec, s[0:1]
	s_and_saveexec_b64 s[0:1], s[18:19]
	s_cbranch_execnz .LBB5_79
.LBB5_58:
	s_or_b64 exec, exec, s[0:1]
	s_and_saveexec_b64 s[0:1], s[20:21]
	s_cbranch_execnz .LBB5_80
.LBB5_59:
	s_or_b64 exec, exec, s[0:1]
	s_and_saveexec_b64 s[0:1], s[22:23]
	s_cbranch_execnz .LBB5_81
.LBB5_60:
	s_or_b64 exec, exec, s[0:1]
	s_and_saveexec_b64 s[0:1], s[24:25]
	s_cbranch_execnz .LBB5_82
.LBB5_61:
	s_or_b64 exec, exec, s[0:1]
	s_and_saveexec_b64 s[0:1], s[26:27]
	s_cbranch_execnz .LBB5_83
.LBB5_62:
	s_or_b64 exec, exec, s[0:1]
	s_and_saveexec_b64 s[0:1], s[28:29]
	s_cbranch_execnz .LBB5_84
.LBB5_63:
	s_or_b64 exec, exec, s[0:1]
	s_and_saveexec_b64 s[0:1], s[30:31]
	s_cbranch_execnz .LBB5_85
.LBB5_64:
	s_or_b64 exec, exec, s[0:1]
	s_and_saveexec_b64 s[0:1], s[34:35]
	s_cbranch_execnz .LBB5_86
.LBB5_65:
	s_or_b64 exec, exec, s[0:1]
	s_and_saveexec_b64 s[0:1], s[36:37]
	s_cbranch_execnz .LBB5_87
.LBB5_66:
	s_or_b64 exec, exec, s[0:1]
	s_and_saveexec_b64 s[0:1], s[38:39]
	s_cbranch_execnz .LBB5_88
.LBB5_67:
	s_or_b64 exec, exec, s[0:1]
	s_and_saveexec_b64 s[0:1], s[40:41]
	s_cbranch_execnz .LBB5_89
.LBB5_68:
	s_or_b64 exec, exec, s[0:1]
	s_and_saveexec_b64 s[0:1], s[42:43]
	s_cbranch_execnz .LBB5_90
.LBB5_69:
	s_endpgm
.LBB5_70:
	ds_read_b32 v2, v2
	s_waitcnt lgkmcnt(0)
	v_ashrrev_i32_e32 v3, 31, v2
	global_store_dwordx2 v[0:1], v[2:3], off
	s_or_b64 exec, exec, s[0:1]
	s_and_saveexec_b64 s[0:1], s[4:5]
	s_cbranch_execz .LBB5_50
.LBB5_71:
	s_waitcnt lgkmcnt(9)
	v_ashrrev_i32_e32 v3, 31, v22
	v_mov_b32_e32 v2, v22
	global_store_dwordx2 v[0:1], v[2:3], off offset:2048
	s_or_b64 exec, exec, s[0:1]
	s_and_saveexec_b64 s[0:1], s[10:11]
	s_cbranch_execz .LBB5_51
.LBB5_72:
	s_waitcnt lgkmcnt(9)
	v_add_co_u32_e32 v22, vcc, 0x1000, v0
	v_ashrrev_i32_e32 v3, 31, v23
	v_mov_b32_e32 v2, v23
	v_addc_co_u32_e32 v23, vcc, 0, v1, vcc
	global_store_dwordx2 v[22:23], v[2:3], off
	s_or_b64 exec, exec, s[0:1]
	s_and_saveexec_b64 s[0:1], s[6:7]
	s_cbranch_execz .LBB5_52
.LBB5_73:
	s_waitcnt lgkmcnt(9)
	v_add_co_u32_e32 v22, vcc, 0x1000, v0
	s_waitcnt lgkmcnt(8)
	v_ashrrev_i32_e32 v3, 31, v20
	v_mov_b32_e32 v2, v20
	v_addc_co_u32_e32 v23, vcc, 0, v1, vcc
	global_store_dwordx2 v[22:23], v[2:3], off offset:2048
	s_or_b64 exec, exec, s[0:1]
	s_and_saveexec_b64 s[0:1], s[44:45]
	s_cbranch_execz .LBB5_53
.LBB5_74:
	s_waitcnt lgkmcnt(8)
	v_add_co_u32_e32 v20, vcc, 0x2000, v0
	v_ashrrev_i32_e32 v3, 31, v21
	v_mov_b32_e32 v2, v21
	v_addc_co_u32_e32 v21, vcc, 0, v1, vcc
	global_store_dwordx2 v[20:21], v[2:3], off
	s_or_b64 exec, exec, s[0:1]
	s_and_saveexec_b64 s[0:1], s[8:9]
	s_cbranch_execz .LBB5_54
.LBB5_75:
	s_waitcnt lgkmcnt(8)
	v_add_co_u32_e32 v20, vcc, 0x2000, v0
	s_waitcnt lgkmcnt(7)
	v_ashrrev_i32_e32 v3, 31, v18
	v_mov_b32_e32 v2, v18
	v_addc_co_u32_e32 v21, vcc, 0, v1, vcc
	global_store_dwordx2 v[20:21], v[2:3], off offset:2048
	s_or_b64 exec, exec, s[0:1]
	s_and_saveexec_b64 s[0:1], s[12:13]
	s_cbranch_execz .LBB5_55
.LBB5_76:
	s_waitcnt lgkmcnt(7)
	v_add_co_u32_e32 v18, vcc, 0x3000, v0
	v_ashrrev_i32_e32 v3, 31, v19
	v_mov_b32_e32 v2, v19
	v_addc_co_u32_e32 v19, vcc, 0, v1, vcc
	global_store_dwordx2 v[18:19], v[2:3], off
	s_or_b64 exec, exec, s[0:1]
	s_and_saveexec_b64 s[0:1], s[14:15]
	s_cbranch_execz .LBB5_56
.LBB5_77:
	s_waitcnt lgkmcnt(7)
	v_add_co_u32_e32 v18, vcc, 0x3000, v0
	s_waitcnt lgkmcnt(6)
	v_ashrrev_i32_e32 v3, 31, v16
	v_mov_b32_e32 v2, v16
	v_addc_co_u32_e32 v19, vcc, 0, v1, vcc
	global_store_dwordx2 v[18:19], v[2:3], off offset:2048
	s_or_b64 exec, exec, s[0:1]
	s_and_saveexec_b64 s[0:1], s[16:17]
	s_cbranch_execz .LBB5_57
.LBB5_78:
	s_waitcnt lgkmcnt(6)
	v_add_co_u32_e32 v16, vcc, 0x4000, v0
	v_ashrrev_i32_e32 v3, 31, v17
	v_mov_b32_e32 v2, v17
	v_addc_co_u32_e32 v17, vcc, 0, v1, vcc
	global_store_dwordx2 v[16:17], v[2:3], off
	s_or_b64 exec, exec, s[0:1]
	s_and_saveexec_b64 s[0:1], s[18:19]
	s_cbranch_execz .LBB5_58
.LBB5_79:
	s_waitcnt lgkmcnt(6)
	v_add_co_u32_e32 v16, vcc, 0x4000, v0
	s_waitcnt lgkmcnt(5)
	v_ashrrev_i32_e32 v3, 31, v14
	v_mov_b32_e32 v2, v14
	v_addc_co_u32_e32 v17, vcc, 0, v1, vcc
	global_store_dwordx2 v[16:17], v[2:3], off offset:2048
	s_or_b64 exec, exec, s[0:1]
	s_and_saveexec_b64 s[0:1], s[20:21]
	s_cbranch_execz .LBB5_59
.LBB5_80:
	s_waitcnt lgkmcnt(5)
	v_add_co_u32_e32 v14, vcc, 0x5000, v0
	v_ashrrev_i32_e32 v3, 31, v15
	v_mov_b32_e32 v2, v15
	v_addc_co_u32_e32 v15, vcc, 0, v1, vcc
	global_store_dwordx2 v[14:15], v[2:3], off
	s_or_b64 exec, exec, s[0:1]
	s_and_saveexec_b64 s[0:1], s[22:23]
	s_cbranch_execz .LBB5_60
.LBB5_81:
	s_waitcnt lgkmcnt(5)
	v_add_co_u32_e32 v14, vcc, 0x5000, v0
	s_waitcnt lgkmcnt(4)
	v_ashrrev_i32_e32 v3, 31, v12
	v_mov_b32_e32 v2, v12
	v_addc_co_u32_e32 v15, vcc, 0, v1, vcc
	global_store_dwordx2 v[14:15], v[2:3], off offset:2048
	s_or_b64 exec, exec, s[0:1]
	s_and_saveexec_b64 s[0:1], s[24:25]
	s_cbranch_execz .LBB5_61
.LBB5_82:
	s_waitcnt lgkmcnt(4)
	v_add_co_u32_e32 v12, vcc, 0x6000, v0
	v_ashrrev_i32_e32 v3, 31, v13
	v_mov_b32_e32 v2, v13
	v_addc_co_u32_e32 v13, vcc, 0, v1, vcc
	global_store_dwordx2 v[12:13], v[2:3], off
	s_or_b64 exec, exec, s[0:1]
	s_and_saveexec_b64 s[0:1], s[26:27]
	s_cbranch_execz .LBB5_62
.LBB5_83:
	s_waitcnt lgkmcnt(4)
	v_add_co_u32_e32 v12, vcc, 0x6000, v0
	s_waitcnt lgkmcnt(3)
	v_ashrrev_i32_e32 v3, 31, v10
	v_mov_b32_e32 v2, v10
	v_addc_co_u32_e32 v13, vcc, 0, v1, vcc
	global_store_dwordx2 v[12:13], v[2:3], off offset:2048
	s_or_b64 exec, exec, s[0:1]
	s_and_saveexec_b64 s[0:1], s[28:29]
	s_cbranch_execz .LBB5_63
.LBB5_84:
	s_waitcnt lgkmcnt(3)
	v_add_co_u32_e32 v10, vcc, 0x7000, v0
	v_ashrrev_i32_e32 v3, 31, v11
	v_mov_b32_e32 v2, v11
	v_addc_co_u32_e32 v11, vcc, 0, v1, vcc
	global_store_dwordx2 v[10:11], v[2:3], off
	s_or_b64 exec, exec, s[0:1]
	s_and_saveexec_b64 s[0:1], s[30:31]
	s_cbranch_execz .LBB5_64
.LBB5_85:
	s_waitcnt lgkmcnt(3)
	v_add_co_u32_e32 v10, vcc, 0x7000, v0
	s_waitcnt lgkmcnt(2)
	v_ashrrev_i32_e32 v3, 31, v8
	v_mov_b32_e32 v2, v8
	v_addc_co_u32_e32 v11, vcc, 0, v1, vcc
	global_store_dwordx2 v[10:11], v[2:3], off offset:2048
	s_or_b64 exec, exec, s[0:1]
	s_and_saveexec_b64 s[0:1], s[34:35]
	s_cbranch_execz .LBB5_65
.LBB5_86:
	s_waitcnt lgkmcnt(2)
	v_add_co_u32_e32 v8, vcc, 0x8000, v0
	v_ashrrev_i32_e32 v3, 31, v9
	v_mov_b32_e32 v2, v9
	v_addc_co_u32_e32 v9, vcc, 0, v1, vcc
	global_store_dwordx2 v[8:9], v[2:3], off
	s_or_b64 exec, exec, s[0:1]
	s_and_saveexec_b64 s[0:1], s[36:37]
	s_cbranch_execz .LBB5_66
.LBB5_87:
	s_waitcnt lgkmcnt(2)
	v_add_co_u32_e32 v8, vcc, 0x8000, v0
	s_waitcnt lgkmcnt(1)
	v_ashrrev_i32_e32 v3, 31, v6
	v_mov_b32_e32 v2, v6
	v_addc_co_u32_e32 v9, vcc, 0, v1, vcc
	global_store_dwordx2 v[8:9], v[2:3], off offset:2048
	s_or_b64 exec, exec, s[0:1]
	s_and_saveexec_b64 s[0:1], s[38:39]
	s_cbranch_execz .LBB5_67
.LBB5_88:
	s_waitcnt lgkmcnt(1)
	v_add_co_u32_e32 v6, vcc, 0x9000, v0
	v_ashrrev_i32_e32 v3, 31, v7
	v_mov_b32_e32 v2, v7
	v_addc_co_u32_e32 v7, vcc, 0, v1, vcc
	global_store_dwordx2 v[6:7], v[2:3], off
	s_or_b64 exec, exec, s[0:1]
	s_and_saveexec_b64 s[0:1], s[40:41]
	s_cbranch_execz .LBB5_68
.LBB5_89:
	s_waitcnt lgkmcnt(1)
	v_add_co_u32_e32 v6, vcc, 0x9000, v0
	s_waitcnt lgkmcnt(0)
	v_ashrrev_i32_e32 v3, 31, v4
	v_mov_b32_e32 v2, v4
	v_addc_co_u32_e32 v7, vcc, 0, v1, vcc
	global_store_dwordx2 v[6:7], v[2:3], off offset:2048
	s_or_b64 exec, exec, s[0:1]
	s_and_saveexec_b64 s[0:1], s[42:43]
	s_cbranch_execz .LBB5_69
.LBB5_90:
	v_add_co_u32_e32 v0, vcc, 0xa000, v0
	s_waitcnt lgkmcnt(0)
	v_ashrrev_i32_e32 v3, 31, v5
	v_mov_b32_e32 v2, v5
	v_addc_co_u32_e32 v1, vcc, 0, v1, vcc
	global_store_dwordx2 v[0:1], v[2:3], off
	s_endpgm
	.section	.rodata,"a",@progbits
	.p2align	6, 0x0
	.amdhsa_kernel _ZN7rocprim6detail18single_scan_kernelILb0ENS0_19wrapped_scan_configINS_14default_configEiEEN6hipcub22TransformInputIteratorIiNS5_6CastOpIiEEPilEEPlNS5_3SumEiiEEvT1_mT4_T2_T3_
		.amdhsa_group_segment_fixed_size 21504
		.amdhsa_private_segment_fixed_size 0
		.amdhsa_kernarg_size 44
		.amdhsa_user_sgpr_count 2
		.amdhsa_user_sgpr_dispatch_ptr 0
		.amdhsa_user_sgpr_queue_ptr 0
		.amdhsa_user_sgpr_kernarg_segment_ptr 1
		.amdhsa_user_sgpr_dispatch_id 0
		.amdhsa_user_sgpr_kernarg_preload_length 0
		.amdhsa_user_sgpr_kernarg_preload_offset 0
		.amdhsa_user_sgpr_private_segment_size 0
		.amdhsa_uses_dynamic_stack 0
		.amdhsa_enable_private_segment 0
		.amdhsa_system_sgpr_workgroup_id_x 1
		.amdhsa_system_sgpr_workgroup_id_y 0
		.amdhsa_system_sgpr_workgroup_id_z 0
		.amdhsa_system_sgpr_workgroup_info 0
		.amdhsa_system_vgpr_workitem_id 0
		.amdhsa_next_free_vgpr 29
		.amdhsa_next_free_sgpr 48
		.amdhsa_accum_offset 32
		.amdhsa_reserve_vcc 1
		.amdhsa_float_round_mode_32 0
		.amdhsa_float_round_mode_16_64 0
		.amdhsa_float_denorm_mode_32 3
		.amdhsa_float_denorm_mode_16_64 3
		.amdhsa_dx10_clamp 1
		.amdhsa_ieee_mode 1
		.amdhsa_fp16_overflow 0
		.amdhsa_tg_split 0
		.amdhsa_exception_fp_ieee_invalid_op 0
		.amdhsa_exception_fp_denorm_src 0
		.amdhsa_exception_fp_ieee_div_zero 0
		.amdhsa_exception_fp_ieee_overflow 0
		.amdhsa_exception_fp_ieee_underflow 0
		.amdhsa_exception_fp_ieee_inexact 0
		.amdhsa_exception_int_div_zero 0
	.end_amdhsa_kernel
	.section	.text._ZN7rocprim6detail18single_scan_kernelILb0ENS0_19wrapped_scan_configINS_14default_configEiEEN6hipcub22TransformInputIteratorIiNS5_6CastOpIiEEPilEEPlNS5_3SumEiiEEvT1_mT4_T2_T3_,"axG",@progbits,_ZN7rocprim6detail18single_scan_kernelILb0ENS0_19wrapped_scan_configINS_14default_configEiEEN6hipcub22TransformInputIteratorIiNS5_6CastOpIiEEPilEEPlNS5_3SumEiiEEvT1_mT4_T2_T3_,comdat
.Lfunc_end5:
	.size	_ZN7rocprim6detail18single_scan_kernelILb0ENS0_19wrapped_scan_configINS_14default_configEiEEN6hipcub22TransformInputIteratorIiNS5_6CastOpIiEEPilEEPlNS5_3SumEiiEEvT1_mT4_T2_T3_, .Lfunc_end5-_ZN7rocprim6detail18single_scan_kernelILb0ENS0_19wrapped_scan_configINS_14default_configEiEEN6hipcub22TransformInputIteratorIiNS5_6CastOpIiEEPilEEPlNS5_3SumEiiEEvT1_mT4_T2_T3_
                                        ; -- End function
	.section	.AMDGPU.csdata,"",@progbits
; Kernel info:
; codeLenInByte = 3360
; NumSgprs: 54
; NumVgprs: 29
; NumAgprs: 0
; TotalNumVgprs: 29
; ScratchSize: 0
; MemoryBound: 0
; FloatMode: 240
; IeeeMode: 1
; LDSByteSize: 21504 bytes/workgroup (compile time only)
; SGPRBlocks: 6
; VGPRBlocks: 3
; NumSGPRsForWavesPerEU: 54
; NumVGPRsForWavesPerEU: 29
; AccumOffset: 32
; Occupancy: 3
; WaveLimiterHint : 0
; COMPUTE_PGM_RSRC2:SCRATCH_EN: 0
; COMPUTE_PGM_RSRC2:USER_SGPR: 2
; COMPUTE_PGM_RSRC2:TRAP_HANDLER: 0
; COMPUTE_PGM_RSRC2:TGID_X_EN: 1
; COMPUTE_PGM_RSRC2:TGID_Y_EN: 0
; COMPUTE_PGM_RSRC2:TGID_Z_EN: 0
; COMPUTE_PGM_RSRC2:TIDIG_COMP_CNT: 0
; COMPUTE_PGM_RSRC3_GFX90A:ACCUM_OFFSET: 7
; COMPUTE_PGM_RSRC3_GFX90A:TG_SPLIT: 0
	.section	.text._ZN7rocprim6detail31init_lookback_scan_state_kernelINS0_19lookback_scan_stateI6__halfLb1ELb1EEEEEvT_jjPNS5_10value_typeE,"axG",@progbits,_ZN7rocprim6detail31init_lookback_scan_state_kernelINS0_19lookback_scan_stateI6__halfLb1ELb1EEEEEvT_jjPNS5_10value_typeE,comdat
	.protected	_ZN7rocprim6detail31init_lookback_scan_state_kernelINS0_19lookback_scan_stateI6__halfLb1ELb1EEEEEvT_jjPNS5_10value_typeE ; -- Begin function _ZN7rocprim6detail31init_lookback_scan_state_kernelINS0_19lookback_scan_stateI6__halfLb1ELb1EEEEEvT_jjPNS5_10value_typeE
	.globl	_ZN7rocprim6detail31init_lookback_scan_state_kernelINS0_19lookback_scan_stateI6__halfLb1ELb1EEEEEvT_jjPNS5_10value_typeE
	.p2align	8
	.type	_ZN7rocprim6detail31init_lookback_scan_state_kernelINS0_19lookback_scan_stateI6__halfLb1ELb1EEEEEvT_jjPNS5_10value_typeE,@function
_ZN7rocprim6detail31init_lookback_scan_state_kernelINS0_19lookback_scan_stateI6__halfLb1ELb1EEEEEvT_jjPNS5_10value_typeE: ; @_ZN7rocprim6detail31init_lookback_scan_state_kernelINS0_19lookback_scan_stateI6__halfLb1ELb1EEEEEvT_jjPNS5_10value_typeE
; %bb.0:
	s_load_dword s3, s[0:1], 0x24
	s_load_dwordx2 s[8:9], s[0:1], 0x10
	s_load_dwordx4 s[4:7], s[0:1], 0x0
	s_waitcnt lgkmcnt(0)
	s_and_b32 s0, s3, 0xffff
	s_mul_i32 s2, s2, s0
	s_cmp_eq_u64 s[8:9], 0
	v_add_u32_e32 v0, s2, v0
	s_cbranch_scc1 .LBB6_9
; %bb.1:
	s_cmp_lt_u32 s7, s6
	s_cselect_b32 s0, s7, 0
	s_mov_b32 s3, 0
	v_cmp_eq_u32_e32 vcc, s0, v0
	s_and_saveexec_b64 s[0:1], vcc
	s_cbranch_execz .LBB6_8
; %bb.2:
	s_add_i32 s2, s7, 64
	s_lshl_b64 s[2:3], s[2:3], 2
	s_add_u32 s2, s4, s2
	s_addc_u32 s3, s5, s3
	v_mov_b32_e32 v1, 0
	global_load_dword v2, v1, s[2:3] sc1
	s_waitcnt vmcnt(0)
	v_and_b32_e32 v3, 0xff0000, v2
	v_cmp_ne_u32_e32 vcc, 0, v3
	s_cbranch_vccnz .LBB6_7
; %bb.3:
	s_mov_b32 s7, 1
.LBB6_4:                                ; =>This Loop Header: Depth=1
                                        ;     Child Loop BB6_5 Depth 2
	s_max_u32 s10, s7, 1
.LBB6_5:                                ;   Parent Loop BB6_4 Depth=1
                                        ; =>  This Inner Loop Header: Depth=2
	s_add_i32 s10, s10, -1
	s_cmp_eq_u32 s10, 0
	s_sleep 1
	s_cbranch_scc0 .LBB6_5
; %bb.6:                                ;   in Loop: Header=BB6_4 Depth=1
	global_load_dword v2, v1, s[2:3] sc1
	s_cmp_lt_u32 s7, 32
	s_cselect_b64 s[10:11], -1, 0
	s_cmp_lg_u64 s[10:11], 0
	s_addc_u32 s7, s7, 0
	s_waitcnt vmcnt(0)
	v_and_b32_e32 v3, 0xff0000, v2
	v_cmp_ne_u32_e32 vcc, 0, v3
	s_cbranch_vccz .LBB6_4
.LBB6_7:
	v_mov_b32_e32 v1, 0
	global_store_short v1, v2, s[8:9]
.LBB6_8:
	s_or_b64 exec, exec, s[0:1]
.LBB6_9:
	v_cmp_gt_u32_e32 vcc, s6, v0
	s_and_saveexec_b64 s[0:1], vcc
	s_cbranch_execnz .LBB6_12
; %bb.10:
	s_or_b64 exec, exec, s[0:1]
	v_cmp_gt_u32_e32 vcc, 64, v0
	s_and_saveexec_b64 s[0:1], vcc
	s_cbranch_execnz .LBB6_13
.LBB6_11:
	s_endpgm
.LBB6_12:
	v_add_u32_e32 v2, 64, v0
	v_mov_b32_e32 v3, 0
	v_lshl_add_u64 v[4:5], v[2:3], 2, s[4:5]
	global_store_dword v[4:5], v3, off
	s_or_b64 exec, exec, s[0:1]
	v_cmp_gt_u32_e32 vcc, 64, v0
	s_and_saveexec_b64 s[0:1], vcc
	s_cbranch_execz .LBB6_11
.LBB6_13:
	v_mov_b32_e32 v1, 0
	v_lshl_add_u64 v[0:1], v[0:1], 2, s[4:5]
	v_mov_b32_e32 v2, 0xff0000
	global_store_dword v[0:1], v2, off
	s_endpgm
	.section	.rodata,"a",@progbits
	.p2align	6, 0x0
	.amdhsa_kernel _ZN7rocprim6detail31init_lookback_scan_state_kernelINS0_19lookback_scan_stateI6__halfLb1ELb1EEEEEvT_jjPNS5_10value_typeE
		.amdhsa_group_segment_fixed_size 0
		.amdhsa_private_segment_fixed_size 0
		.amdhsa_kernarg_size 280
		.amdhsa_user_sgpr_count 2
		.amdhsa_user_sgpr_dispatch_ptr 0
		.amdhsa_user_sgpr_queue_ptr 0
		.amdhsa_user_sgpr_kernarg_segment_ptr 1
		.amdhsa_user_sgpr_dispatch_id 0
		.amdhsa_user_sgpr_kernarg_preload_length 0
		.amdhsa_user_sgpr_kernarg_preload_offset 0
		.amdhsa_user_sgpr_private_segment_size 0
		.amdhsa_uses_dynamic_stack 0
		.amdhsa_enable_private_segment 0
		.amdhsa_system_sgpr_workgroup_id_x 1
		.amdhsa_system_sgpr_workgroup_id_y 0
		.amdhsa_system_sgpr_workgroup_id_z 0
		.amdhsa_system_sgpr_workgroup_info 0
		.amdhsa_system_vgpr_workitem_id 0
		.amdhsa_next_free_vgpr 6
		.amdhsa_next_free_sgpr 12
		.amdhsa_accum_offset 8
		.amdhsa_reserve_vcc 1
		.amdhsa_float_round_mode_32 0
		.amdhsa_float_round_mode_16_64 0
		.amdhsa_float_denorm_mode_32 3
		.amdhsa_float_denorm_mode_16_64 3
		.amdhsa_dx10_clamp 1
		.amdhsa_ieee_mode 1
		.amdhsa_fp16_overflow 0
		.amdhsa_tg_split 0
		.amdhsa_exception_fp_ieee_invalid_op 0
		.amdhsa_exception_fp_denorm_src 0
		.amdhsa_exception_fp_ieee_div_zero 0
		.amdhsa_exception_fp_ieee_overflow 0
		.amdhsa_exception_fp_ieee_underflow 0
		.amdhsa_exception_fp_ieee_inexact 0
		.amdhsa_exception_int_div_zero 0
	.end_amdhsa_kernel
	.section	.text._ZN7rocprim6detail31init_lookback_scan_state_kernelINS0_19lookback_scan_stateI6__halfLb1ELb1EEEEEvT_jjPNS5_10value_typeE,"axG",@progbits,_ZN7rocprim6detail31init_lookback_scan_state_kernelINS0_19lookback_scan_stateI6__halfLb1ELb1EEEEEvT_jjPNS5_10value_typeE,comdat
.Lfunc_end6:
	.size	_ZN7rocprim6detail31init_lookback_scan_state_kernelINS0_19lookback_scan_stateI6__halfLb1ELb1EEEEEvT_jjPNS5_10value_typeE, .Lfunc_end6-_ZN7rocprim6detail31init_lookback_scan_state_kernelINS0_19lookback_scan_stateI6__halfLb1ELb1EEEEEvT_jjPNS5_10value_typeE
                                        ; -- End function
	.section	.AMDGPU.csdata,"",@progbits
; Kernel info:
; codeLenInByte = 312
; NumSgprs: 18
; NumVgprs: 6
; NumAgprs: 0
; TotalNumVgprs: 6
; ScratchSize: 0
; MemoryBound: 0
; FloatMode: 240
; IeeeMode: 1
; LDSByteSize: 0 bytes/workgroup (compile time only)
; SGPRBlocks: 2
; VGPRBlocks: 0
; NumSGPRsForWavesPerEU: 18
; NumVGPRsForWavesPerEU: 6
; AccumOffset: 8
; Occupancy: 8
; WaveLimiterHint : 0
; COMPUTE_PGM_RSRC2:SCRATCH_EN: 0
; COMPUTE_PGM_RSRC2:USER_SGPR: 2
; COMPUTE_PGM_RSRC2:TRAP_HANDLER: 0
; COMPUTE_PGM_RSRC2:TGID_X_EN: 1
; COMPUTE_PGM_RSRC2:TGID_Y_EN: 0
; COMPUTE_PGM_RSRC2:TGID_Z_EN: 0
; COMPUTE_PGM_RSRC2:TIDIG_COMP_CNT: 0
; COMPUTE_PGM_RSRC3_GFX90A:ACCUM_OFFSET: 1
; COMPUTE_PGM_RSRC3_GFX90A:TG_SPLIT: 0
	.section	.text._ZN7rocprim6detail31init_lookback_scan_state_kernelINS0_19lookback_scan_stateI6__halfLb0ELb1EEEEEvT_jjPNS5_10value_typeE,"axG",@progbits,_ZN7rocprim6detail31init_lookback_scan_state_kernelINS0_19lookback_scan_stateI6__halfLb0ELb1EEEEEvT_jjPNS5_10value_typeE,comdat
	.protected	_ZN7rocprim6detail31init_lookback_scan_state_kernelINS0_19lookback_scan_stateI6__halfLb0ELb1EEEEEvT_jjPNS5_10value_typeE ; -- Begin function _ZN7rocprim6detail31init_lookback_scan_state_kernelINS0_19lookback_scan_stateI6__halfLb0ELb1EEEEEvT_jjPNS5_10value_typeE
	.globl	_ZN7rocprim6detail31init_lookback_scan_state_kernelINS0_19lookback_scan_stateI6__halfLb0ELb1EEEEEvT_jjPNS5_10value_typeE
	.p2align	8
	.type	_ZN7rocprim6detail31init_lookback_scan_state_kernelINS0_19lookback_scan_stateI6__halfLb0ELb1EEEEEvT_jjPNS5_10value_typeE,@function
_ZN7rocprim6detail31init_lookback_scan_state_kernelINS0_19lookback_scan_stateI6__halfLb0ELb1EEEEEvT_jjPNS5_10value_typeE: ; @_ZN7rocprim6detail31init_lookback_scan_state_kernelINS0_19lookback_scan_stateI6__halfLb0ELb1EEEEEvT_jjPNS5_10value_typeE
; %bb.0:
	s_load_dword s3, s[0:1], 0x24
	s_load_dwordx2 s[8:9], s[0:1], 0x10
	s_load_dwordx4 s[4:7], s[0:1], 0x0
	s_waitcnt lgkmcnt(0)
	s_and_b32 s0, s3, 0xffff
	s_mul_i32 s2, s2, s0
	s_cmp_eq_u64 s[8:9], 0
	v_add_u32_e32 v0, s2, v0
	s_cbranch_scc1 .LBB7_6
; %bb.1:
	s_cmp_lt_u32 s7, s6
	s_cselect_b32 s0, s7, 0
	s_mov_b32 s3, 0
	v_cmp_eq_u32_e32 vcc, s0, v0
	s_and_saveexec_b64 s[0:1], vcc
	s_cbranch_execz .LBB7_5
; %bb.2:
	s_add_i32 s2, s7, 64
	s_lshl_b64 s[2:3], s[2:3], 2
	s_add_u32 s2, s4, s2
	s_addc_u32 s3, s5, s3
	v_mov_b32_e32 v2, 0
	global_load_dword v1, v2, s[2:3] sc1
	s_waitcnt vmcnt(0)
	v_and_b32_e32 v3, 0xff0000, v1
	v_cmp_ne_u32_e32 vcc, 0, v3
	s_cbranch_vccnz .LBB7_4
.LBB7_3:                                ; =>This Inner Loop Header: Depth=1
	global_load_dword v1, v2, s[2:3] sc1
	s_waitcnt vmcnt(0)
	v_and_b32_e32 v3, 0xff0000, v1
	v_cmp_eq_u32_e32 vcc, 0, v3
	s_cbranch_vccnz .LBB7_3
.LBB7_4:
	v_mov_b32_e32 v2, 0
	global_store_short v2, v1, s[8:9]
.LBB7_5:
	s_or_b64 exec, exec, s[0:1]
.LBB7_6:
	v_cmp_gt_u32_e32 vcc, s6, v0
	s_and_saveexec_b64 s[0:1], vcc
	s_cbranch_execnz .LBB7_9
; %bb.7:
	s_or_b64 exec, exec, s[0:1]
	v_cmp_gt_u32_e32 vcc, 64, v0
	s_and_saveexec_b64 s[0:1], vcc
	s_cbranch_execnz .LBB7_10
.LBB7_8:
	s_endpgm
.LBB7_9:
	v_add_u32_e32 v2, 64, v0
	v_mov_b32_e32 v3, 0
	v_lshl_add_u64 v[4:5], v[2:3], 2, s[4:5]
	global_store_dword v[4:5], v3, off
	s_or_b64 exec, exec, s[0:1]
	v_cmp_gt_u32_e32 vcc, 64, v0
	s_and_saveexec_b64 s[0:1], vcc
	s_cbranch_execz .LBB7_8
.LBB7_10:
	v_mov_b32_e32 v1, 0
	v_lshl_add_u64 v[0:1], v[0:1], 2, s[4:5]
	v_mov_b32_e32 v2, 0xff0000
	global_store_dword v[0:1], v2, off
	s_endpgm
	.section	.rodata,"a",@progbits
	.p2align	6, 0x0
	.amdhsa_kernel _ZN7rocprim6detail31init_lookback_scan_state_kernelINS0_19lookback_scan_stateI6__halfLb0ELb1EEEEEvT_jjPNS5_10value_typeE
		.amdhsa_group_segment_fixed_size 0
		.amdhsa_private_segment_fixed_size 0
		.amdhsa_kernarg_size 280
		.amdhsa_user_sgpr_count 2
		.amdhsa_user_sgpr_dispatch_ptr 0
		.amdhsa_user_sgpr_queue_ptr 0
		.amdhsa_user_sgpr_kernarg_segment_ptr 1
		.amdhsa_user_sgpr_dispatch_id 0
		.amdhsa_user_sgpr_kernarg_preload_length 0
		.amdhsa_user_sgpr_kernarg_preload_offset 0
		.amdhsa_user_sgpr_private_segment_size 0
		.amdhsa_uses_dynamic_stack 0
		.amdhsa_enable_private_segment 0
		.amdhsa_system_sgpr_workgroup_id_x 1
		.amdhsa_system_sgpr_workgroup_id_y 0
		.amdhsa_system_sgpr_workgroup_id_z 0
		.amdhsa_system_sgpr_workgroup_info 0
		.amdhsa_system_vgpr_workitem_id 0
		.amdhsa_next_free_vgpr 6
		.amdhsa_next_free_sgpr 10
		.amdhsa_accum_offset 8
		.amdhsa_reserve_vcc 1
		.amdhsa_float_round_mode_32 0
		.amdhsa_float_round_mode_16_64 0
		.amdhsa_float_denorm_mode_32 3
		.amdhsa_float_denorm_mode_16_64 3
		.amdhsa_dx10_clamp 1
		.amdhsa_ieee_mode 1
		.amdhsa_fp16_overflow 0
		.amdhsa_tg_split 0
		.amdhsa_exception_fp_ieee_invalid_op 0
		.amdhsa_exception_fp_denorm_src 0
		.amdhsa_exception_fp_ieee_div_zero 0
		.amdhsa_exception_fp_ieee_overflow 0
		.amdhsa_exception_fp_ieee_underflow 0
		.amdhsa_exception_fp_ieee_inexact 0
		.amdhsa_exception_int_div_zero 0
	.end_amdhsa_kernel
	.section	.text._ZN7rocprim6detail31init_lookback_scan_state_kernelINS0_19lookback_scan_stateI6__halfLb0ELb1EEEEEvT_jjPNS5_10value_typeE,"axG",@progbits,_ZN7rocprim6detail31init_lookback_scan_state_kernelINS0_19lookback_scan_stateI6__halfLb0ELb1EEEEEvT_jjPNS5_10value_typeE,comdat
.Lfunc_end7:
	.size	_ZN7rocprim6detail31init_lookback_scan_state_kernelINS0_19lookback_scan_stateI6__halfLb0ELb1EEEEEvT_jjPNS5_10value_typeE, .Lfunc_end7-_ZN7rocprim6detail31init_lookback_scan_state_kernelINS0_19lookback_scan_stateI6__halfLb0ELb1EEEEEvT_jjPNS5_10value_typeE
                                        ; -- End function
	.section	.AMDGPU.csdata,"",@progbits
; Kernel info:
; codeLenInByte = 272
; NumSgprs: 16
; NumVgprs: 6
; NumAgprs: 0
; TotalNumVgprs: 6
; ScratchSize: 0
; MemoryBound: 0
; FloatMode: 240
; IeeeMode: 1
; LDSByteSize: 0 bytes/workgroup (compile time only)
; SGPRBlocks: 1
; VGPRBlocks: 0
; NumSGPRsForWavesPerEU: 16
; NumVGPRsForWavesPerEU: 6
; AccumOffset: 8
; Occupancy: 8
; WaveLimiterHint : 0
; COMPUTE_PGM_RSRC2:SCRATCH_EN: 0
; COMPUTE_PGM_RSRC2:USER_SGPR: 2
; COMPUTE_PGM_RSRC2:TRAP_HANDLER: 0
; COMPUTE_PGM_RSRC2:TGID_X_EN: 1
; COMPUTE_PGM_RSRC2:TGID_Y_EN: 0
; COMPUTE_PGM_RSRC2:TGID_Z_EN: 0
; COMPUTE_PGM_RSRC2:TIDIG_COMP_CNT: 0
; COMPUTE_PGM_RSRC3_GFX90A:ACCUM_OFFSET: 1
; COMPUTE_PGM_RSRC3_GFX90A:TG_SPLIT: 0
	.section	.text._ZN7rocprim6detail20lookback_scan_kernelILNS0_25lookback_scan_determinismE0ELb0ENS0_19wrapped_scan_configINS_14default_configE6__halfEEPS5_S7_N6hipcub3MaxES5_S5_NS0_19lookback_scan_stateIS5_Lb1ELb1EEEEEvT2_T3_mT5_T4_T7_jPT6_SI_bb,"axG",@progbits,_ZN7rocprim6detail20lookback_scan_kernelILNS0_25lookback_scan_determinismE0ELb0ENS0_19wrapped_scan_configINS_14default_configE6__halfEEPS5_S7_N6hipcub3MaxES5_S5_NS0_19lookback_scan_stateIS5_Lb1ELb1EEEEEvT2_T3_mT5_T4_T7_jPT6_SI_bb,comdat
	.protected	_ZN7rocprim6detail20lookback_scan_kernelILNS0_25lookback_scan_determinismE0ELb0ENS0_19wrapped_scan_configINS_14default_configE6__halfEEPS5_S7_N6hipcub3MaxES5_S5_NS0_19lookback_scan_stateIS5_Lb1ELb1EEEEEvT2_T3_mT5_T4_T7_jPT6_SI_bb ; -- Begin function _ZN7rocprim6detail20lookback_scan_kernelILNS0_25lookback_scan_determinismE0ELb0ENS0_19wrapped_scan_configINS_14default_configE6__halfEEPS5_S7_N6hipcub3MaxES5_S5_NS0_19lookback_scan_stateIS5_Lb1ELb1EEEEEvT2_T3_mT5_T4_T7_jPT6_SI_bb
	.globl	_ZN7rocprim6detail20lookback_scan_kernelILNS0_25lookback_scan_determinismE0ELb0ENS0_19wrapped_scan_configINS_14default_configE6__halfEEPS5_S7_N6hipcub3MaxES5_S5_NS0_19lookback_scan_stateIS5_Lb1ELb1EEEEEvT2_T3_mT5_T4_T7_jPT6_SI_bb
	.p2align	8
	.type	_ZN7rocprim6detail20lookback_scan_kernelILNS0_25lookback_scan_determinismE0ELb0ENS0_19wrapped_scan_configINS_14default_configE6__halfEEPS5_S7_N6hipcub3MaxES5_S5_NS0_19lookback_scan_stateIS5_Lb1ELb1EEEEEvT2_T3_mT5_T4_T7_jPT6_SI_bb,@function
_ZN7rocprim6detail20lookback_scan_kernelILNS0_25lookback_scan_determinismE0ELb0ENS0_19wrapped_scan_configINS_14default_configE6__halfEEPS5_S7_N6hipcub3MaxES5_S5_NS0_19lookback_scan_stateIS5_Lb1ELb1EEEEEvT2_T3_mT5_T4_T7_jPT6_SI_bb: ; @_ZN7rocprim6detail20lookback_scan_kernelILNS0_25lookback_scan_determinismE0ELb0ENS0_19wrapped_scan_configINS_14default_configE6__halfEEPS5_S7_N6hipcub3MaxES5_S5_NS0_19lookback_scan_stateIS5_Lb1ELb1EEEEEvT2_T3_mT5_T4_T7_jPT6_SI_bb
; %bb.0:
	s_endpgm
	.section	.rodata,"a",@progbits
	.p2align	6, 0x0
	.amdhsa_kernel _ZN7rocprim6detail20lookback_scan_kernelILNS0_25lookback_scan_determinismE0ELb0ENS0_19wrapped_scan_configINS_14default_configE6__halfEEPS5_S7_N6hipcub3MaxES5_S5_NS0_19lookback_scan_stateIS5_Lb1ELb1EEEEEvT2_T3_mT5_T4_T7_jPT6_SI_bb
		.amdhsa_group_segment_fixed_size 0
		.amdhsa_private_segment_fixed_size 0
		.amdhsa_kernarg_size 68
		.amdhsa_user_sgpr_count 2
		.amdhsa_user_sgpr_dispatch_ptr 0
		.amdhsa_user_sgpr_queue_ptr 0
		.amdhsa_user_sgpr_kernarg_segment_ptr 1
		.amdhsa_user_sgpr_dispatch_id 0
		.amdhsa_user_sgpr_kernarg_preload_length 0
		.amdhsa_user_sgpr_kernarg_preload_offset 0
		.amdhsa_user_sgpr_private_segment_size 0
		.amdhsa_uses_dynamic_stack 0
		.amdhsa_enable_private_segment 0
		.amdhsa_system_sgpr_workgroup_id_x 1
		.amdhsa_system_sgpr_workgroup_id_y 0
		.amdhsa_system_sgpr_workgroup_id_z 0
		.amdhsa_system_sgpr_workgroup_info 0
		.amdhsa_system_vgpr_workitem_id 0
		.amdhsa_next_free_vgpr 1
		.amdhsa_next_free_sgpr 0
		.amdhsa_accum_offset 4
		.amdhsa_reserve_vcc 0
		.amdhsa_float_round_mode_32 0
		.amdhsa_float_round_mode_16_64 0
		.amdhsa_float_denorm_mode_32 3
		.amdhsa_float_denorm_mode_16_64 3
		.amdhsa_dx10_clamp 1
		.amdhsa_ieee_mode 1
		.amdhsa_fp16_overflow 0
		.amdhsa_tg_split 0
		.amdhsa_exception_fp_ieee_invalid_op 0
		.amdhsa_exception_fp_denorm_src 0
		.amdhsa_exception_fp_ieee_div_zero 0
		.amdhsa_exception_fp_ieee_overflow 0
		.amdhsa_exception_fp_ieee_underflow 0
		.amdhsa_exception_fp_ieee_inexact 0
		.amdhsa_exception_int_div_zero 0
	.end_amdhsa_kernel
	.section	.text._ZN7rocprim6detail20lookback_scan_kernelILNS0_25lookback_scan_determinismE0ELb0ENS0_19wrapped_scan_configINS_14default_configE6__halfEEPS5_S7_N6hipcub3MaxES5_S5_NS0_19lookback_scan_stateIS5_Lb1ELb1EEEEEvT2_T3_mT5_T4_T7_jPT6_SI_bb,"axG",@progbits,_ZN7rocprim6detail20lookback_scan_kernelILNS0_25lookback_scan_determinismE0ELb0ENS0_19wrapped_scan_configINS_14default_configE6__halfEEPS5_S7_N6hipcub3MaxES5_S5_NS0_19lookback_scan_stateIS5_Lb1ELb1EEEEEvT2_T3_mT5_T4_T7_jPT6_SI_bb,comdat
.Lfunc_end8:
	.size	_ZN7rocprim6detail20lookback_scan_kernelILNS0_25lookback_scan_determinismE0ELb0ENS0_19wrapped_scan_configINS_14default_configE6__halfEEPS5_S7_N6hipcub3MaxES5_S5_NS0_19lookback_scan_stateIS5_Lb1ELb1EEEEEvT2_T3_mT5_T4_T7_jPT6_SI_bb, .Lfunc_end8-_ZN7rocprim6detail20lookback_scan_kernelILNS0_25lookback_scan_determinismE0ELb0ENS0_19wrapped_scan_configINS_14default_configE6__halfEEPS5_S7_N6hipcub3MaxES5_S5_NS0_19lookback_scan_stateIS5_Lb1ELb1EEEEEvT2_T3_mT5_T4_T7_jPT6_SI_bb
                                        ; -- End function
	.section	.AMDGPU.csdata,"",@progbits
; Kernel info:
; codeLenInByte = 4
; NumSgprs: 6
; NumVgprs: 0
; NumAgprs: 0
; TotalNumVgprs: 0
; ScratchSize: 0
; MemoryBound: 0
; FloatMode: 240
; IeeeMode: 1
; LDSByteSize: 0 bytes/workgroup (compile time only)
; SGPRBlocks: 0
; VGPRBlocks: 0
; NumSGPRsForWavesPerEU: 6
; NumVGPRsForWavesPerEU: 1
; AccumOffset: 4
; Occupancy: 8
; WaveLimiterHint : 0
; COMPUTE_PGM_RSRC2:SCRATCH_EN: 0
; COMPUTE_PGM_RSRC2:USER_SGPR: 2
; COMPUTE_PGM_RSRC2:TRAP_HANDLER: 0
; COMPUTE_PGM_RSRC2:TGID_X_EN: 1
; COMPUTE_PGM_RSRC2:TGID_Y_EN: 0
; COMPUTE_PGM_RSRC2:TGID_Z_EN: 0
; COMPUTE_PGM_RSRC2:TIDIG_COMP_CNT: 0
; COMPUTE_PGM_RSRC3_GFX90A:ACCUM_OFFSET: 0
; COMPUTE_PGM_RSRC3_GFX90A:TG_SPLIT: 0
	.section	.text._ZN7rocprim6detail20lookback_scan_kernelILNS0_25lookback_scan_determinismE0ELb0ENS0_19wrapped_scan_configINS_14default_configE6__halfEEPS5_S7_N6hipcub3MaxES5_S5_NS0_19lookback_scan_stateIS5_Lb0ELb1EEEEEvT2_T3_mT5_T4_T7_jPT6_SI_bb,"axG",@progbits,_ZN7rocprim6detail20lookback_scan_kernelILNS0_25lookback_scan_determinismE0ELb0ENS0_19wrapped_scan_configINS_14default_configE6__halfEEPS5_S7_N6hipcub3MaxES5_S5_NS0_19lookback_scan_stateIS5_Lb0ELb1EEEEEvT2_T3_mT5_T4_T7_jPT6_SI_bb,comdat
	.protected	_ZN7rocprim6detail20lookback_scan_kernelILNS0_25lookback_scan_determinismE0ELb0ENS0_19wrapped_scan_configINS_14default_configE6__halfEEPS5_S7_N6hipcub3MaxES5_S5_NS0_19lookback_scan_stateIS5_Lb0ELb1EEEEEvT2_T3_mT5_T4_T7_jPT6_SI_bb ; -- Begin function _ZN7rocprim6detail20lookback_scan_kernelILNS0_25lookback_scan_determinismE0ELb0ENS0_19wrapped_scan_configINS_14default_configE6__halfEEPS5_S7_N6hipcub3MaxES5_S5_NS0_19lookback_scan_stateIS5_Lb0ELb1EEEEEvT2_T3_mT5_T4_T7_jPT6_SI_bb
	.globl	_ZN7rocprim6detail20lookback_scan_kernelILNS0_25lookback_scan_determinismE0ELb0ENS0_19wrapped_scan_configINS_14default_configE6__halfEEPS5_S7_N6hipcub3MaxES5_S5_NS0_19lookback_scan_stateIS5_Lb0ELb1EEEEEvT2_T3_mT5_T4_T7_jPT6_SI_bb
	.p2align	8
	.type	_ZN7rocprim6detail20lookback_scan_kernelILNS0_25lookback_scan_determinismE0ELb0ENS0_19wrapped_scan_configINS_14default_configE6__halfEEPS5_S7_N6hipcub3MaxES5_S5_NS0_19lookback_scan_stateIS5_Lb0ELb1EEEEEvT2_T3_mT5_T4_T7_jPT6_SI_bb,@function
_ZN7rocprim6detail20lookback_scan_kernelILNS0_25lookback_scan_determinismE0ELb0ENS0_19wrapped_scan_configINS_14default_configE6__halfEEPS5_S7_N6hipcub3MaxES5_S5_NS0_19lookback_scan_stateIS5_Lb0ELb1EEEEEvT2_T3_mT5_T4_T7_jPT6_SI_bb: ; @_ZN7rocprim6detail20lookback_scan_kernelILNS0_25lookback_scan_determinismE0ELb0ENS0_19wrapped_scan_configINS_14default_configE6__halfEEPS5_S7_N6hipcub3MaxES5_S5_NS0_19lookback_scan_stateIS5_Lb0ELb1EEEEEvT2_T3_mT5_T4_T7_jPT6_SI_bb
; %bb.0:
	s_load_dword s3, s[0:1], 0x28
	s_load_dwordx4 s[16:19], s[0:1], 0x0
	s_load_dwordx2 s[4:5], s[0:1], 0x10
	s_mul_i32 s6, s2, 0x1800
	s_mov_b32 s7, 0
	s_waitcnt lgkmcnt(0)
	s_add_i32 s3, s3, -1
	s_mul_i32 s8, s3, 0x1800
	s_sub_u32 s28, s4, s8
	s_subb_u32 s29, s5, 0
	s_cmp_lg_u32 s2, s3
	s_cselect_b64 s[20:21], -1, 0
	s_lshl_b64 s[22:23], s[6:7], 1
	s_add_u32 s6, s16, s22
	s_addc_u32 s7, s17, s23
	s_mov_b64 s[4:5], -1
	s_and_b64 vcc, exec, s[20:21]
	v_lshlrev_b32_e32 v14, 1, v0
	s_cbranch_vccz .LBB9_2
; %bb.1:
	v_mov_b32_e32 v15, 0
	v_lshl_add_u64 v[2:3], s[6:7], 0, v[14:15]
	v_add_co_u32_e32 v4, vcc, 0x1000, v2
	global_load_ushort v1, v14, s[6:7]
	global_load_ushort v6, v14, s[6:7] offset:512
	global_load_ushort v7, v14, s[6:7] offset:1024
	;; [unrolled: 1-line block ×7, first 2 shown]
	v_addc_co_u32_e32 v5, vcc, 0, v3, vcc
	v_add_co_u32_e32 v2, vcc, 0x2000, v2
	global_load_ushort v13, v[4:5], off
	global_load_ushort v15, v[4:5], off offset:512
	global_load_ushort v16, v[4:5], off offset:1024
	;; [unrolled: 1-line block ×7, first 2 shown]
	v_addc_co_u32_e32 v3, vcc, 0, v3, vcc
	global_load_ushort v4, v[2:3], off
	global_load_ushort v5, v[2:3], off offset:512
	global_load_ushort v22, v[2:3], off offset:1024
	global_load_ushort v23, v[2:3], off offset:1536
	global_load_ushort v24, v[2:3], off offset:2048
	global_load_ushort v25, v[2:3], off offset:2560
	global_load_ushort v26, v[2:3], off offset:3072
	global_load_ushort v27, v[2:3], off offset:3584
	s_mov_b64 s[4:5], 0
	s_waitcnt vmcnt(23)
	ds_write_b16 v14, v1
	s_waitcnt vmcnt(22)
	ds_write_b16 v14, v6 offset:512
	s_waitcnt vmcnt(21)
	ds_write_b16 v14, v7 offset:1024
	;; [unrolled: 2-line block ×23, first 2 shown]
	s_waitcnt lgkmcnt(0)
	s_barrier
.LBB9_2:
	s_andn2_b64 vcc, exec, s[4:5]
	v_cmp_gt_u32_e64 s[4:5], s28, v0
	s_cbranch_vccnz .LBB9_52
; %bb.3:
	v_mov_b32_e32 v15, 0
	global_load_ushort v1, v15, s[6:7]
	v_lshl_add_u64 v[2:3], s[6:7], 0, v[14:15]
	s_waitcnt vmcnt(0)
	v_mov_b32_e32 v4, v1
	s_and_saveexec_b64 s[6:7], s[4:5]
	s_cbranch_execz .LBB9_5
; %bb.4:
	global_load_ushort v4, v[2:3], off
.LBB9_5:
	s_or_b64 exec, exec, s[6:7]
	v_or_b32_e32 v5, 0x100, v0
	v_cmp_gt_u32_e32 vcc, s28, v5
	v_mov_b32_e32 v5, v1
	s_and_saveexec_b64 s[4:5], vcc
	s_cbranch_execz .LBB9_7
; %bb.6:
	global_load_ushort v5, v[2:3], off offset:512
.LBB9_7:
	s_or_b64 exec, exec, s[4:5]
	v_or_b32_e32 v6, 0x200, v0
	v_cmp_gt_u32_e32 vcc, s28, v6
	v_mov_b32_e32 v6, v1
	s_and_saveexec_b64 s[4:5], vcc
	s_cbranch_execz .LBB9_9
; %bb.8:
	global_load_ushort v6, v[2:3], off offset:1024
.LBB9_9:
	;; [unrolled: 9-line block ×7, first 2 shown]
	s_or_b64 exec, exec, s[4:5]
	v_or_b32_e32 v12, 0x800, v0
	v_cmp_gt_u32_e32 vcc, s28, v12
	v_mov_b32_e32 v12, v1
	s_and_saveexec_b64 s[4:5], vcc
	s_cbranch_execz .LBB9_21
; %bb.20:
	v_add_co_u32_e32 v12, vcc, 0x1000, v2
	s_nop 1
	v_addc_co_u32_e32 v13, vcc, 0, v3, vcc
	global_load_ushort v12, v[12:13], off
.LBB9_21:
	s_or_b64 exec, exec, s[4:5]
	v_or_b32_e32 v13, 0x900, v0
	v_cmp_gt_u32_e32 vcc, s28, v13
	v_mov_b32_e32 v13, v1
	s_and_saveexec_b64 s[4:5], vcc
	s_cbranch_execz .LBB9_23
; %bb.22:
	v_add_co_u32_e32 v16, vcc, 0x1000, v2
	s_nop 1
	v_addc_co_u32_e32 v17, vcc, 0, v3, vcc
	global_load_ushort v13, v[16:17], off offset:512
.LBB9_23:
	s_or_b64 exec, exec, s[4:5]
	v_or_b32_e32 v15, 0xa00, v0
	v_cmp_gt_u32_e32 vcc, s28, v15
	v_mov_b32_e32 v15, v1
	s_and_saveexec_b64 s[4:5], vcc
	s_cbranch_execz .LBB9_25
; %bb.24:
	v_add_co_u32_e32 v16, vcc, 0x1000, v2
	s_nop 1
	v_addc_co_u32_e32 v17, vcc, 0, v3, vcc
	global_load_ushort v15, v[16:17], off offset:1024
.LBB9_25:
	;; [unrolled: 12-line block ×7, first 2 shown]
	s_or_b64 exec, exec, s[4:5]
	v_or_b32_e32 v21, 0x1000, v0
	v_cmp_gt_u32_e32 vcc, s28, v21
	v_mov_b32_e32 v21, v1
	s_and_saveexec_b64 s[4:5], vcc
	s_cbranch_execz .LBB9_37
; %bb.36:
	v_add_co_u32_e32 v22, vcc, 0x2000, v2
	s_nop 1
	v_addc_co_u32_e32 v23, vcc, 0, v3, vcc
	global_load_ushort v21, v[22:23], off
.LBB9_37:
	s_or_b64 exec, exec, s[4:5]
	v_or_b32_e32 v22, 0x1100, v0
	v_cmp_gt_u32_e32 vcc, s28, v22
	v_mov_b32_e32 v22, v1
	s_and_saveexec_b64 s[4:5], vcc
	s_cbranch_execz .LBB9_39
; %bb.38:
	v_add_co_u32_e32 v22, vcc, 0x2000, v2
	s_nop 1
	v_addc_co_u32_e32 v23, vcc, 0, v3, vcc
	global_load_ushort v22, v[22:23], off offset:512
.LBB9_39:
	s_or_b64 exec, exec, s[4:5]
	v_or_b32_e32 v23, 0x1200, v0
	v_cmp_gt_u32_e32 vcc, s28, v23
	v_mov_b32_e32 v23, v1
	s_and_saveexec_b64 s[4:5], vcc
	s_cbranch_execz .LBB9_41
; %bb.40:
	v_add_co_u32_e32 v24, vcc, 0x2000, v2
	s_nop 1
	v_addc_co_u32_e32 v25, vcc, 0, v3, vcc
	global_load_ushort v23, v[24:25], off offset:1024
.LBB9_41:
	;; [unrolled: 12-line block ×6, first 2 shown]
	s_or_b64 exec, exec, s[4:5]
	v_or_b32_e32 v28, 0x1700, v0
	v_cmp_gt_u32_e32 vcc, s28, v28
	s_and_saveexec_b64 s[4:5], vcc
	s_cbranch_execz .LBB9_51
; %bb.50:
	v_add_co_u32_e32 v2, vcc, 0x2000, v2
	s_nop 1
	v_addc_co_u32_e32 v3, vcc, 0, v3, vcc
	global_load_ushort v1, v[2:3], off offset:3584
.LBB9_51:
	s_or_b64 exec, exec, s[4:5]
	s_waitcnt vmcnt(0)
	ds_write_b16 v14, v4
	ds_write_b16 v14, v5 offset:512
	ds_write_b16 v14, v6 offset:1024
	;; [unrolled: 1-line block ×23, first 2 shown]
	s_waitcnt lgkmcnt(0)
	s_barrier
.LBB9_52:
	v_mul_u32_u24_e32 v22, 24, v0
	v_lshlrev_b32_e32 v1, 1, v22
	ds_read_b128 v[10:13], v1
	ds_read_b128 v[6:9], v1 offset:16
	ds_read_b128 v[2:5], v1 offset:32
	s_load_dwordx2 s[24:25], s[0:1], 0x20
	s_cmp_lg_u32 s2, 0
	v_mbcnt_lo_u32_b32 v36, -1, 0
	s_waitcnt lgkmcnt(0)
	v_lshrrev_b32_e32 v33, 16, v10
	v_lshrrev_b32_e32 v32, 16, v11
	;; [unrolled: 1-line block ×13, first 2 shown]
	v_or_b32_e32 v35, 63, v0
	s_barrier
	s_cbranch_scc0 .LBB9_79
; %bb.53:
	v_cmp_lt_f16_e32 vcc, v10, v33
	v_mbcnt_hi_u32_b32 v17, -1, v36
	v_and_b32_e32 v18, 15, v17
	v_cndmask_b32_e32 v16, v10, v33, vcc
	v_cmp_lt_f16_e32 vcc, v16, v11
	s_nop 1
	v_cndmask_b32_e32 v16, v16, v11, vcc
	v_cmp_lt_f16_e32 vcc, v16, v32
	s_nop 1
	;; [unrolled: 3-line block ×22, first 2 shown]
	v_cndmask_b32_e32 v16, v16, v15, vcc
	v_and_b32_e32 v19, 0xffff, v16
	v_cmp_eq_u32_e32 vcc, 0, v18
	s_nop 0
	v_mov_b32_dpp v19, v19 row_shr:1 row_mask:0xf bank_mask:0xf
	v_cmp_gt_f16_e64 s[4:5], v16, v19
	s_or_b64 vcc, vcc, s[4:5]
	v_cndmask_b32_e32 v16, v19, v16, vcc
	v_and_b32_e32 v19, 0xffff, v16
	s_nop 1
	v_mov_b32_dpp v19, v19 row_shr:2 row_mask:0xf bank_mask:0xf
	v_cmp_gt_f16_e32 vcc, v16, v19
	s_nop 1
	v_cndmask_b32_e32 v19, v19, v16, vcc
	v_cmp_lt_u32_e32 vcc, 1, v18
	s_nop 1
	v_cndmask_b32_e32 v16, v16, v19, vcc
	v_and_b32_e32 v19, 0xffff, v16
	s_nop 1
	v_mov_b32_dpp v19, v19 row_shr:4 row_mask:0xf bank_mask:0xf
	v_cmp_gt_f16_e32 vcc, v16, v19
	s_nop 1
	v_cndmask_b32_e32 v19, v19, v16, vcc
	v_cmp_lt_u32_e32 vcc, 3, v18
	s_nop 1
	;; [unrolled: 9-line block ×3, first 2 shown]
	v_cndmask_b32_e32 v16, v16, v19, vcc
	v_and_b32_e32 v18, 0xffff, v16
	v_and_b32_e32 v19, 16, v17
	v_cmp_eq_u32_e32 vcc, 0, v19
	v_mov_b32_dpp v18, v18 row_bcast:15 row_mask:0xf bank_mask:0xf
	v_cmp_gt_f16_e64 s[4:5], v16, v18
	s_or_b64 vcc, vcc, s[4:5]
	v_cndmask_b32_e32 v16, v18, v16, vcc
	v_and_b32_e32 v18, 0xffff, v16
	s_nop 1
	v_mov_b32_dpp v18, v18 row_bcast:31 row_mask:0xf bank_mask:0xf
	v_cmp_gt_f16_e32 vcc, v16, v18
	s_nop 1
	v_cndmask_b32_e32 v18, v18, v16, vcc
	v_cmp_lt_u32_e32 vcc, 31, v17
	s_nop 1
	v_cndmask_b32_e32 v16, v16, v18, vcc
	v_cmp_eq_u32_e32 vcc, v35, v0
	s_and_saveexec_b64 s[4:5], vcc
	s_cbranch_execz .LBB9_55
; %bb.54:
	v_lshlrev_b32_e32 v18, 1, v34
	ds_write_b16 v18, v16
.LBB9_55:
	s_or_b64 exec, exec, s[4:5]
	v_cmp_gt_u32_e32 vcc, 4, v0
	s_waitcnt lgkmcnt(0)
	s_barrier
	s_and_saveexec_b64 s[6:7], vcc
	s_cbranch_execz .LBB9_57
; %bb.56:
	ds_read_u16 v18, v14
	v_and_b32_e32 v19, 3, v17
	v_cmp_eq_u32_e32 vcc, 0, v19
	s_waitcnt lgkmcnt(0)
	v_and_b32_e32 v20, 0xffff, v18
	s_nop 1
	v_mov_b32_dpp v20, v20 row_shr:1 row_mask:0xf bank_mask:0xf
	v_cmp_lt_f16_e64 s[4:5], v20, v18
	s_or_b64 vcc, vcc, s[4:5]
	v_cndmask_b32_e32 v18, v20, v18, vcc
	v_and_b32_e32 v20, 0xffff, v18
	s_nop 1
	v_mov_b32_dpp v20, v20 row_shr:2 row_mask:0xf bank_mask:0xf
	v_cmp_gt_f16_e32 vcc, v18, v20
	s_nop 1
	v_cndmask_b32_e32 v20, v20, v18, vcc
	v_cmp_lt_u32_e32 vcc, 1, v19
	s_nop 1
	v_cndmask_b32_e32 v18, v18, v20, vcc
	ds_write_b16 v14, v18
.LBB9_57:
	s_or_b64 exec, exec, s[6:7]
	v_cmp_gt_u32_e32 vcc, 64, v0
	v_cmp_lt_u32_e64 s[4:5], 63, v0
	s_waitcnt lgkmcnt(0)
	s_barrier
	s_waitcnt lgkmcnt(0)
                                        ; implicit-def: $vgpr37
	s_and_saveexec_b64 s[6:7], s[4:5]
	s_cbranch_execz .LBB9_59
; %bb.58:
	v_lshl_add_u32 v18, v34, 1, -2
	ds_read_u16 v37, v18
	s_waitcnt lgkmcnt(0)
	v_cmp_lt_f16_e64 s[4:5], v37, v16
	s_nop 1
	v_cndmask_b32_e64 v16, v37, v16, s[4:5]
.LBB9_59:
	s_or_b64 exec, exec, s[6:7]
	v_add_u32_e32 v18, -1, v17
	v_and_b32_e32 v19, 64, v17
	v_cmp_lt_i32_e64 s[4:5], v18, v19
	v_and_b32_e32 v16, 0xffff, v16
	s_nop 0
	v_cndmask_b32_e64 v18, v18, v17, s[4:5]
	v_lshlrev_b32_e32 v18, 2, v18
	ds_bpermute_b32 v38, v18, v16
	v_cmp_eq_u32_e64 s[4:5], 0, v17
	s_and_saveexec_b64 s[26:27], vcc
	s_cbranch_execz .LBB9_78
; %bb.60:
	v_mov_b32_e32 v19, 0
	ds_read_u16 v39, v19 offset:6
	s_and_saveexec_b64 s[6:7], s[4:5]
	s_cbranch_execz .LBB9_62
; %bb.61:
	s_add_i32 s8, s2, 64
	s_mov_b32 s9, 0
	s_lshl_b64 s[8:9], s[8:9], 2
	s_add_u32 s8, s24, s8
	s_mov_b32 s3, 0x10000
	s_addc_u32 s9, s25, s9
	s_waitcnt lgkmcnt(0)
	v_or_b32_sdwa v16, v39, s3 dst_sel:DWORD dst_unused:UNUSED_PAD src0_sel:WORD_0 src1_sel:DWORD
	global_store_dword v19, v16, s[8:9] sc1
.LBB9_62:
	s_or_b64 exec, exec, s[6:7]
	v_xad_u32 v16, v17, -1, s2
	v_add_u32_e32 v18, 64, v16
	v_lshl_add_u64 v[20:21], v[18:19], 2, s[24:25]
	global_load_dword v52, v[20:21], off sc1
	s_waitcnt vmcnt(0)
	v_lshrrev_b32_e32 v40, 16, v52
	v_cmp_eq_u16_sdwa s[8:9], v40, v19 src0_sel:BYTE_0 src1_sel:DWORD
	s_and_saveexec_b64 s[6:7], s[8:9]
	s_cbranch_execz .LBB9_66
; %bb.63:
	s_mov_b64 s[8:9], 0
	v_mov_b32_e32 v18, 0
.LBB9_64:                               ; =>This Inner Loop Header: Depth=1
	global_load_dword v52, v[20:21], off sc1
	s_waitcnt vmcnt(0)
	v_lshrrev_b32_e32 v40, 16, v52
	v_cmp_ne_u16_sdwa s[10:11], v40, v18 src0_sel:BYTE_0 src1_sel:DWORD
	s_or_b64 s[8:9], s[10:11], s[8:9]
	s_andn2_b64 exec, exec, s[8:9]
	s_cbranch_execnz .LBB9_64
; %bb.65:
	s_or_b64 exec, exec, s[8:9]
.LBB9_66:
	s_or_b64 exec, exec, s[6:7]
	v_and_b32_e32 v53, 63, v17
	v_cmp_ne_u32_e32 vcc, 63, v53
	v_and_b32_e32 v44, 0xffff, v52
	v_mov_b32_e32 v41, 2
	v_addc_co_u32_e32 v42, vcc, 0, v17, vcc
	v_lshlrev_b32_e32 v42, 2, v42
	ds_bpermute_b32 v45, v42, v44
	v_cmp_eq_u16_sdwa s[6:7], v40, v41 src0_sel:BYTE_0 src1_sel:DWORD
	v_lshlrev_b64 v[18:19], v17, -1
	v_add_u32_e32 v43, 1, v17
	v_and_b32_e32 v20, s7, v19
	v_or_b32_e32 v20, 0x80000000, v20
	v_and_b32_e32 v21, s6, v18
	v_ffbl_b32_e32 v20, v20
	v_add_u32_e32 v20, 32, v20
	v_ffbl_b32_e32 v21, v21
	s_waitcnt lgkmcnt(0)
	v_cmp_gt_f16_e32 vcc, v52, v45
	v_min_u32_e32 v20, v21, v20
	v_cmp_gt_u32_e64 s[6:7], 62, v53
	v_cndmask_b32_e32 v21, v45, v52, vcc
	v_and_b32_e32 v45, 0xffff, v21
	v_cmp_le_u32_e32 vcc, v43, v20
	v_cmp_gt_u32_e64 s[8:9], 60, v53
	v_cmp_gt_u32_e64 s[10:11], 56, v53
	v_cndmask_b32_e32 v46, v44, v45, vcc
	v_cndmask_b32_e64 v44, 0, 1, s[6:7]
	v_lshlrev_b32_e32 v44, 1, v44
	v_add_lshl_u32 v44, v44, v17, 2
	ds_bpermute_b32 v47, v44, v46
	v_cndmask_b32_e32 v21, v52, v21, vcc
	v_add_u32_e32 v45, 2, v17
	v_cmp_gt_u32_e64 s[12:13], 48, v53
	v_cmp_gt_u32_e64 s[14:15], 32, v53
	s_waitcnt lgkmcnt(0)
	v_cmp_gt_f16_e64 s[6:7], v21, v47
	v_cndmask_b32_e64 v53, 0, 1, s[14:15]
	s_nop 0
	v_cndmask_b32_e64 v47, v47, v21, s[6:7]
	v_and_b32_e32 v48, 0xffff, v47
	v_cmp_le_u32_e64 s[6:7], v45, v20
	v_lshlrev_b32_e32 v53, 5, v53
	v_add_lshl_u32 v53, v53, v17, 2
	v_cndmask_b32_e64 v48, v46, v48, s[6:7]
	v_cndmask_b32_e64 v46, 0, 1, s[8:9]
	v_lshlrev_b32_e32 v46, 2, v46
	v_add_lshl_u32 v46, v46, v17, 2
	ds_bpermute_b32 v49, v46, v48
	v_cndmask_b32_e64 v21, v21, v47, s[6:7]
	v_add_u32_e32 v47, 4, v17
	s_waitcnt lgkmcnt(0)
	v_cmp_gt_f16_e64 s[8:9], v21, v49
	s_nop 1
	v_cndmask_b32_e64 v49, v49, v21, s[8:9]
	v_and_b32_e32 v50, 0xffff, v49
	v_cmp_le_u32_e64 s[8:9], v47, v20
	s_nop 1
	v_cndmask_b32_e64 v50, v48, v50, s[8:9]
	v_cndmask_b32_e64 v48, 0, 1, s[10:11]
	v_lshlrev_b32_e32 v48, 3, v48
	v_add_lshl_u32 v48, v48, v17, 2
	ds_bpermute_b32 v51, v48, v50
	v_cndmask_b32_e64 v21, v21, v49, s[8:9]
	v_add_u32_e32 v49, 8, v17
	s_waitcnt lgkmcnt(0)
	v_cmp_gt_f16_e64 s[10:11], v21, v51
	s_nop 1
	v_cndmask_b32_e64 v51, v51, v21, s[10:11]
	v_and_b32_e32 v54, 0xffff, v51
	v_cmp_le_u32_e64 s[10:11], v49, v20
	s_nop 1
	;; [unrolled: 14-line block ×3, first 2 shown]
	v_cndmask_b32_e64 v54, v54, v56, s[12:13]
	ds_bpermute_b32 v56, v53, v54
	v_add_u32_e32 v54, 32, v17
	v_cmp_le_u32_e64 s[16:17], v54, v20
	s_or_b64 s[6:7], s[6:7], s[16:17]
	s_or_b64 s[6:7], vcc, s[6:7]
	v_cndmask_b32_e64 v17, v21, v55, s[12:13]
	v_cmp_gt_u32_e64 s[14:15], v54, v20
	s_or_b64 s[6:7], s[8:9], s[6:7]
	s_waitcnt lgkmcnt(0)
	v_cmp_gt_f16_e32 vcc, v17, v56
	s_or_b64 s[6:7], s[10:11], s[6:7]
	s_or_b64 vcc, s[14:15], vcc
	v_cndmask_b32_e32 v17, v56, v17, vcc
	s_or_b64 vcc, s[12:13], s[6:7]
	v_cndmask_b32_e32 v20, v52, v17, vcc
	v_mov_b32_e32 v17, 0
	s_branch .LBB9_68
.LBB9_67:                               ;   in Loop: Header=BB9_68 Depth=1
	s_or_b64 exec, exec, s[6:7]
	v_and_b32_e32 v56, 0xffff, v55
	ds_bpermute_b32 v57, v42, v56
	v_cmp_eq_u16_sdwa s[6:7], v40, v41 src0_sel:BYTE_0 src1_sel:DWORD
	v_subrev_u32_e32 v16, 64, v16
	s_waitcnt lgkmcnt(0)
	v_cmp_gt_f16_e32 vcc, v55, v57
	v_and_b32_e32 v20, s7, v19
	v_or_b32_e32 v20, 0x80000000, v20
	v_and_b32_e32 v21, s6, v18
	v_ffbl_b32_e32 v20, v20
	v_add_u32_e32 v20, 32, v20
	v_ffbl_b32_e32 v21, v21
	v_min_u32_e32 v20, v21, v20
	v_cndmask_b32_e32 v21, v57, v55, vcc
	v_and_b32_e32 v57, 0xffff, v21
	v_cmp_le_u32_e32 vcc, v43, v20
	v_cmp_le_u32_e64 s[16:17], v54, v20
	v_cmp_gt_u32_e64 s[14:15], v54, v20
	v_cndmask_b32_e32 v56, v56, v57, vcc
	ds_bpermute_b32 v57, v44, v56
	v_cndmask_b32_e32 v21, v55, v21, vcc
	s_waitcnt lgkmcnt(0)
	v_cmp_gt_f16_e64 s[6:7], v21, v57
	s_nop 1
	v_cndmask_b32_e64 v57, v57, v21, s[6:7]
	v_and_b32_e32 v58, 0xffff, v57
	v_cmp_le_u32_e64 s[6:7], v45, v20
	s_nop 1
	v_cndmask_b32_e64 v56, v56, v58, s[6:7]
	ds_bpermute_b32 v58, v46, v56
	v_cndmask_b32_e64 v21, v21, v57, s[6:7]
	s_or_b64 s[6:7], s[6:7], s[16:17]
	s_or_b64 s[6:7], vcc, s[6:7]
	s_waitcnt lgkmcnt(0)
	v_cmp_gt_f16_e64 s[8:9], v21, v58
	s_nop 1
	v_cndmask_b32_e64 v57, v58, v21, s[8:9]
	v_and_b32_e32 v58, 0xffff, v57
	v_cmp_le_u32_e64 s[8:9], v47, v20
	s_or_b64 s[6:7], s[8:9], s[6:7]
	s_nop 0
	v_cndmask_b32_e64 v56, v56, v58, s[8:9]
	ds_bpermute_b32 v58, v48, v56
	v_cndmask_b32_e64 v21, v21, v57, s[8:9]
	s_waitcnt lgkmcnt(0)
	v_cmp_gt_f16_e64 s[10:11], v21, v58
	s_nop 1
	v_cndmask_b32_e64 v57, v58, v21, s[10:11]
	v_and_b32_e32 v58, 0xffff, v57
	v_cmp_le_u32_e64 s[10:11], v49, v20
	s_or_b64 s[6:7], s[10:11], s[6:7]
	s_nop 0
	v_cndmask_b32_e64 v56, v56, v58, s[10:11]
	ds_bpermute_b32 v58, v50, v56
	v_cndmask_b32_e64 v21, v21, v57, s[10:11]
	s_waitcnt lgkmcnt(0)
	v_cmp_gt_f16_e64 s[12:13], v21, v58
	s_nop 1
	v_cndmask_b32_e64 v57, v58, v21, s[12:13]
	v_and_b32_e32 v58, 0xffff, v57
	v_cmp_le_u32_e64 s[12:13], v51, v20
	s_nop 1
	v_cndmask_b32_e64 v56, v56, v58, s[12:13]
	ds_bpermute_b32 v56, v53, v56
	v_cndmask_b32_e64 v20, v21, v57, s[12:13]
	s_waitcnt lgkmcnt(0)
	v_cmp_gt_f16_e32 vcc, v20, v56
	s_or_b64 vcc, s[14:15], vcc
	s_nop 0
	v_cndmask_b32_e32 v20, v56, v20, vcc
	s_or_b64 vcc, s[12:13], s[6:7]
	v_cndmask_b32_e32 v20, v55, v20, vcc
	v_cmp_lt_f16_e32 vcc, v20, v52
	s_nop 1
	v_cndmask_b32_e32 v20, v20, v52, vcc
.LBB9_68:                               ; =>This Loop Header: Depth=1
                                        ;     Child Loop BB9_71 Depth 2
	v_cmp_ne_u16_sdwa s[6:7], v40, v41 src0_sel:BYTE_0 src1_sel:DWORD
	v_mov_b32_e32 v52, v20
	s_nop 0
	v_cndmask_b32_e64 v21, 0, 1, s[6:7]
	;;#ASMSTART
	;;#ASMEND
	s_nop 0
	v_cmp_ne_u32_e32 vcc, 0, v21
	s_cmp_lg_u64 vcc, exec
	s_cbranch_scc1 .LBB9_73
; %bb.69:                               ;   in Loop: Header=BB9_68 Depth=1
	v_lshl_add_u64 v[20:21], v[16:17], 2, s[24:25]
	global_load_dword v55, v[20:21], off sc1
	s_waitcnt vmcnt(0)
	v_lshrrev_b32_e32 v40, 16, v55
	v_cmp_eq_u16_sdwa s[8:9], v40, v17 src0_sel:BYTE_0 src1_sel:DWORD
	s_and_saveexec_b64 s[6:7], s[8:9]
	s_cbranch_execz .LBB9_67
; %bb.70:                               ;   in Loop: Header=BB9_68 Depth=1
	s_mov_b64 s[8:9], 0
.LBB9_71:                               ;   Parent Loop BB9_68 Depth=1
                                        ; =>  This Inner Loop Header: Depth=2
	global_load_dword v55, v[20:21], off sc1
	s_waitcnt vmcnt(0)
	v_lshrrev_b32_e32 v40, 16, v55
	v_cmp_ne_u16_sdwa s[10:11], v40, v17 src0_sel:BYTE_0 src1_sel:DWORD
	s_or_b64 s[8:9], s[10:11], s[8:9]
	s_andn2_b64 exec, exec, s[8:9]
	s_cbranch_execnz .LBB9_71
; %bb.72:                               ;   in Loop: Header=BB9_68 Depth=1
	s_or_b64 exec, exec, s[8:9]
	s_branch .LBB9_67
.LBB9_73:                               ;   in Loop: Header=BB9_68 Depth=1
                                        ; implicit-def: $vgpr20
                                        ; implicit-def: $vgpr40
	s_cbranch_execz .LBB9_68
; %bb.74:
	s_and_saveexec_b64 s[6:7], s[4:5]
	s_cbranch_execz .LBB9_76
; %bb.75:
	s_add_i32 s2, s2, 64
	s_mov_b32 s3, 0
	s_lshl_b64 s[2:3], s[2:3], 2
	v_cmp_lt_f16_e32 vcc, v52, v39
	s_add_u32 s2, s24, s2
	s_mov_b32 s8, 0x20000
	v_cndmask_b32_e32 v17, v52, v39, vcc
	s_addc_u32 s3, s25, s3
	v_mov_b32_e32 v16, 0
	v_or_b32_sdwa v17, v17, s8 dst_sel:DWORD dst_unused:UNUSED_PAD src0_sel:WORD_0 src1_sel:DWORD
	global_store_dword v16, v17, s[2:3] sc1
.LBB9_76:
	s_or_b64 exec, exec, s[6:7]
	v_cmp_eq_u32_e32 vcc, 0, v0
	s_and_b64 exec, exec, vcc
	s_cbranch_execz .LBB9_78
; %bb.77:
	v_mov_b32_e32 v16, 0
	ds_write_b16 v16, v52 offset:6
.LBB9_78:
	s_or_b64 exec, exec, s[26:27]
	v_mov_b32_e32 v17, 0
	s_waitcnt lgkmcnt(0)
	s_barrier
	ds_read_u16 v17, v17 offset:6
	v_cndmask_b32_e64 v16, v38, v37, s[4:5]
	v_cmp_eq_u32_e32 vcc, 0, v0
	v_cmp_gt_f16_e64 s[2:3], v10, v16
	s_or_b64 vcc, vcc, s[2:3]
	v_cndmask_b32_e32 v16, v16, v10, vcc
	s_waitcnt lgkmcnt(0)
	v_cmp_lt_f16_e32 vcc, v17, v16
	s_nop 1
	v_cndmask_b32_e32 v16, v17, v16, vcc
	v_cmp_lt_f16_e32 vcc, v16, v33
	s_nop 1
	v_cndmask_b32_e32 v17, v16, v33, vcc
	;; [unrolled: 3-line block ×24, first 2 shown]
	s_load_dwordx4 s[4:7], s[0:1], 0x30
	s_branch .LBB9_91
.LBB9_79:
                                        ; implicit-def: $vgpr16
                                        ; implicit-def: $vgpr17
                                        ; implicit-def: $vgpr18
                                        ; implicit-def: $vgpr19
                                        ; implicit-def: $vgpr20
                                        ; implicit-def: $vgpr21
                                        ; implicit-def: $vgpr38
                                        ; implicit-def: $vgpr40
                                        ; implicit-def: $vgpr37
                                        ; implicit-def: $vgpr39
                                        ; implicit-def: $vgpr41
                                        ; implicit-def: $vgpr42
                                        ; implicit-def: $vgpr43
                                        ; implicit-def: $vgpr44
                                        ; implicit-def: $vgpr46
                                        ; implicit-def: $vgpr48
                                        ; implicit-def: $vgpr45
                                        ; implicit-def: $vgpr47
                                        ; implicit-def: $vgpr49
                                        ; implicit-def: $vgpr50
                                        ; implicit-def: $vgpr51
                                        ; implicit-def: $vgpr52
                                        ; implicit-def: $vgpr53
                                        ; implicit-def: $vgpr54
	s_load_dwordx4 s[4:7], s[0:1], 0x30
	s_cbranch_execz .LBB9_91
; %bb.80:
	s_load_dword s2, s[0:1], 0x40
	v_cmp_eq_u32_e32 vcc, 0, v0
	s_waitcnt lgkmcnt(0)
	s_bitcmp1_b32 s2, 0
	s_cselect_b64 s[2:3], -1, 0
	s_and_b64 s[2:3], vcc, s[2:3]
	s_and_saveexec_b64 s[8:9], s[2:3]
	s_cbranch_execz .LBB9_82
; %bb.81:
	v_mov_b32_e32 v16, 0
	global_load_ushort v16, v16, s[4:5]
	s_waitcnt vmcnt(0)
	v_cmp_lt_f16_e64 s[2:3], v16, v10
	s_nop 1
	v_cndmask_b32_e64 v10, v16, v10, s[2:3]
.LBB9_82:
	s_or_b64 exec, exec, s[8:9]
	v_cmp_lt_f16_e64 s[2:3], v10, v33
	s_nop 1
	v_cndmask_b32_e64 v16, v10, v33, s[2:3]
	v_cmp_lt_f16_e64 s[2:3], v16, v11
	s_nop 1
	v_cndmask_b32_e64 v16, v16, v11, s[2:3]
	;; [unrolled: 3-line block ×23, first 2 shown]
	v_mbcnt_hi_u32_b32 v16, -1, v36
	v_and_b32_e32 v19, 0xffff, v17
	v_and_b32_e32 v18, 15, v16
	v_cmp_eq_u32_e64 s[2:3], 0, v18
	v_mov_b32_dpp v19, v19 row_shr:1 row_mask:0xf bank_mask:0xf
	v_cmp_gt_f16_e64 s[4:5], v17, v19
	s_or_b64 s[2:3], s[2:3], s[4:5]
	v_cndmask_b32_e64 v17, v19, v17, s[2:3]
	v_and_b32_e32 v19, 0xffff, v17
	s_nop 1
	v_mov_b32_dpp v19, v19 row_shr:2 row_mask:0xf bank_mask:0xf
	v_cmp_gt_f16_e64 s[2:3], v17, v19
	s_nop 1
	v_cndmask_b32_e64 v19, v19, v17, s[2:3]
	v_cmp_lt_u32_e64 s[2:3], 1, v18
	s_nop 1
	v_cndmask_b32_e64 v17, v17, v19, s[2:3]
	v_and_b32_e32 v19, 0xffff, v17
	s_nop 1
	v_mov_b32_dpp v19, v19 row_shr:4 row_mask:0xf bank_mask:0xf
	v_cmp_gt_f16_e64 s[2:3], v17, v19
	s_nop 1
	v_cndmask_b32_e64 v19, v19, v17, s[2:3]
	v_cmp_lt_u32_e64 s[2:3], 3, v18
	s_nop 1
	;; [unrolled: 9-line block ×3, first 2 shown]
	v_cndmask_b32_e64 v17, v17, v19, s[2:3]
	v_and_b32_e32 v18, 0xffff, v17
	v_and_b32_e32 v19, 16, v16
	v_cmp_eq_u32_e64 s[2:3], 0, v19
	v_mov_b32_dpp v18, v18 row_bcast:15 row_mask:0xf bank_mask:0xf
	v_cmp_gt_f16_e64 s[4:5], v17, v18
	s_or_b64 s[2:3], s[2:3], s[4:5]
	v_cndmask_b32_e64 v17, v18, v17, s[2:3]
	v_and_b32_e32 v18, 0xffff, v17
	s_nop 1
	v_mov_b32_dpp v18, v18 row_bcast:31 row_mask:0xf bank_mask:0xf
	v_cmp_gt_f16_e64 s[2:3], v17, v18
	s_nop 1
	v_cndmask_b32_e64 v18, v18, v17, s[2:3]
	v_cmp_lt_u32_e64 s[2:3], 31, v16
	s_nop 1
	v_cndmask_b32_e64 v17, v17, v18, s[2:3]
	v_cmp_eq_u32_e64 s[2:3], v35, v0
	s_and_saveexec_b64 s[4:5], s[2:3]
	s_cbranch_execz .LBB9_84
; %bb.83:
	v_lshlrev_b32_e32 v18, 1, v34
	ds_write_b16 v18, v17
.LBB9_84:
	s_or_b64 exec, exec, s[4:5]
	v_cmp_gt_u32_e64 s[2:3], 4, v0
	s_waitcnt lgkmcnt(0)
	s_barrier
	s_and_saveexec_b64 s[8:9], s[2:3]
	s_cbranch_execz .LBB9_86
; %bb.85:
	s_movk_i32 s2, 0xffd2
	v_mad_i32_i24 v18, v0, s2, v1
	ds_read_u16 v19, v18
	v_and_b32_e32 v20, 3, v16
	v_cmp_eq_u32_e64 s[2:3], 0, v20
	s_waitcnt lgkmcnt(0)
	v_and_b32_e32 v21, 0xffff, v19
	s_nop 1
	v_mov_b32_dpp v21, v21 row_shr:1 row_mask:0xf bank_mask:0xf
	v_cmp_lt_f16_e64 s[4:5], v21, v19
	s_or_b64 s[2:3], s[2:3], s[4:5]
	v_cndmask_b32_e64 v19, v21, v19, s[2:3]
	v_and_b32_e32 v21, 0xffff, v19
	s_nop 1
	v_mov_b32_dpp v21, v21 row_shr:2 row_mask:0xf bank_mask:0xf
	v_cmp_gt_f16_e64 s[2:3], v19, v21
	s_nop 1
	v_cndmask_b32_e64 v21, v21, v19, s[2:3]
	v_cmp_lt_u32_e64 s[2:3], 1, v20
	s_nop 1
	v_cndmask_b32_e64 v19, v19, v21, s[2:3]
	ds_write_b16 v18, v19
.LBB9_86:
	s_or_b64 exec, exec, s[8:9]
	v_cmp_lt_u32_e64 s[2:3], 63, v0
	s_waitcnt lgkmcnt(0)
	s_barrier
	s_waitcnt lgkmcnt(0)
                                        ; implicit-def: $vgpr18
	s_and_saveexec_b64 s[4:5], s[2:3]
	s_cbranch_execz .LBB9_88
; %bb.87:
	v_lshl_add_u32 v18, v34, 1, -2
	ds_read_u16 v18, v18
	s_waitcnt lgkmcnt(0)
	v_cmp_lt_f16_e64 s[2:3], v18, v17
	s_nop 1
	v_cndmask_b32_e64 v17, v18, v17, s[2:3]
.LBB9_88:
	s_or_b64 exec, exec, s[4:5]
	v_add_u32_e32 v19, -1, v16
	v_and_b32_e32 v20, 64, v16
	v_cmp_lt_i32_e64 s[2:3], v19, v20
	v_and_b32_e32 v17, 0xffff, v17
	s_nop 0
	v_cndmask_b32_e64 v19, v19, v16, s[2:3]
	v_lshlrev_b32_e32 v19, 2, v19
	ds_bpermute_b32 v17, v19, v17
	v_cmp_eq_u32_e64 s[2:3], 0, v16
	s_waitcnt lgkmcnt(0)
	s_nop 0
	v_cndmask_b32_e64 v16, v17, v18, s[2:3]
	v_cmp_gt_f16_e64 s[2:3], v10, v16
	s_or_b64 s[2:3], vcc, s[2:3]
	s_nop 0
	v_cndmask_b32_e64 v16, v16, v10, s[2:3]
	v_cmp_lt_f16_e64 s[2:3], v16, v33
	s_nop 1
	v_cndmask_b32_e64 v17, v16, v33, s[2:3]
	v_cmp_lt_f16_e64 s[2:3], v17, v11
	;; [unrolled: 3-line block ×23, first 2 shown]
	s_and_saveexec_b64 s[4:5], vcc
	s_cbranch_execz .LBB9_90
; %bb.89:
	v_mov_b32_e32 v2, 0
	ds_read_u16 v3, v2 offset:6
	s_waitcnt lgkmcnt(0)
	v_or_b32_e32 v3, 0x20000, v3
	global_store_dword v2, v3, s[24:25] offset:256 sc1
.LBB9_90:
	s_or_b64 exec, exec, s[4:5]
	v_cndmask_b32_e64 v54, v53, v15, s[2:3]
.LBB9_91:
	s_add_u32 s2, s18, s22
	s_addc_u32 s3, s19, s23
	s_waitcnt lgkmcnt(0)
	s_mov_b64 s[4:5], -1
	s_and_b64 vcc, exec, s[20:21]
	s_barrier
	s_cbranch_vccz .LBB9_93
; %bb.92:
	s_mov_b32 s4, 0x5040100
	v_perm_b32 v5, v40, v38, s4
	v_perm_b32 v4, v21, v20, s4
	;; [unrolled: 1-line block ×4, first 2 shown]
	ds_write_b128 v1, v[2:5]
	v_perm_b32 v5, v48, v46, s4
	v_perm_b32 v4, v44, v43, s4
	;; [unrolled: 1-line block ×4, first 2 shown]
	ds_write_b128 v1, v[2:5] offset:16
	v_perm_b32 v5, v54, v53, s4
	v_perm_b32 v4, v52, v51, s4
	;; [unrolled: 1-line block ×4, first 2 shown]
	v_mov_b32_e32 v15, 0
	ds_write_b128 v1, v[2:5] offset:32
	s_waitcnt lgkmcnt(0)
	s_barrier
	ds_read_u16 v4, v14
	ds_read_u16 v5, v14 offset:512
	ds_read_u16 v6, v14 offset:1024
	ds_read_u16 v7, v14 offset:1536
	ds_read_u16 v8, v14 offset:2048
	ds_read_u16 v9, v14 offset:2560
	ds_read_u16 v10, v14 offset:3072
	ds_read_u16 v11, v14 offset:3584
	ds_read_u16 v12, v14 offset:4096
	ds_read_u16 v13, v14 offset:4608
	ds_read_u16 v23, v14 offset:5120
	ds_read_u16 v24, v14 offset:5632
	ds_read_u16 v25, v14 offset:6144
	ds_read_u16 v26, v14 offset:6656
	ds_read_u16 v27, v14 offset:7168
	ds_read_u16 v28, v14 offset:7680
	ds_read_u16 v29, v14 offset:8192
	ds_read_u16 v30, v14 offset:8704
	ds_read_u16 v31, v14 offset:9216
	ds_read_u16 v32, v14 offset:9728
	ds_read_u16 v33, v14 offset:10240
	ds_read_u16 v34, v14 offset:10752
	ds_read_u16 v35, v14 offset:11264
	ds_read_u16 v36, v14 offset:11776
	v_lshl_add_u64 v[2:3], s[2:3], 0, v[14:15]
	s_movk_i32 s4, 0x1000
	s_waitcnt lgkmcnt(14)
	global_store_short v14, v4, s[2:3]
	global_store_short v14, v5, s[2:3] offset:512
	global_store_short v14, v6, s[2:3] offset:1024
	;; [unrolled: 1-line block ×7, first 2 shown]
	v_add_co_u32_e32 v4, vcc, s4, v2
	s_mov_b64 s[4:5], 0
	s_nop 0
	v_addc_co_u32_e32 v5, vcc, 0, v3, vcc
	v_add_co_u32_e32 v2, vcc, 0x2000, v2
	global_store_short v[4:5], v12, off
	global_store_short v[4:5], v13, off offset:512
	s_waitcnt lgkmcnt(13)
	global_store_short v[4:5], v23, off offset:1024
	s_waitcnt lgkmcnt(12)
	;; [unrolled: 2-line block ×6, first 2 shown]
	global_store_short v[4:5], v28, off offset:3584
	v_addc_co_u32_e32 v3, vcc, 0, v3, vcc
	s_waitcnt lgkmcnt(7)
	global_store_short v[2:3], v29, off
	s_waitcnt lgkmcnt(6)
	global_store_short v[2:3], v30, off offset:512
	s_waitcnt lgkmcnt(5)
	global_store_short v[2:3], v31, off offset:1024
	;; [unrolled: 2-line block ×7, first 2 shown]
.LBB9_93:
	s_andn2_b64 vcc, exec, s[4:5]
	s_cbranch_vccnz .LBB9_150
; %bb.94:
	s_mov_b32 s4, 0x5040100
	v_perm_b32 v5, v40, v38, s4
	v_perm_b32 v4, v21, v20, s4
	;; [unrolled: 1-line block ×4, first 2 shown]
	ds_write_b128 v1, v[2:5]
	v_perm_b32 v5, v48, v46, s4
	v_perm_b32 v4, v44, v43, s4
	v_perm_b32 v3, v42, v41, s4
	v_perm_b32 v2, v39, v37, s4
	ds_write_b128 v1, v[2:5] offset:16
	v_perm_b32 v5, v54, v53, s4
	v_perm_b32 v4, v52, v51, s4
	;; [unrolled: 1-line block ×4, first 2 shown]
	s_movk_i32 s4, 0xffd2
	ds_write_b128 v1, v[2:5] offset:32
	v_mad_i32_i24 v1, v0, s4, v1
	s_waitcnt lgkmcnt(0)
	s_barrier
	ds_read_u16 v5, v1
	ds_read_u16 v4, v1 offset:512
	ds_read_u16 v7, v1 offset:1024
	;; [unrolled: 1-line block ×23, first 2 shown]
	v_mov_b32_e32 v15, 0
	v_lshl_add_u64 v[2:3], s[2:3], 0, v[14:15]
	v_cmp_gt_u32_e32 vcc, s28, v0
	s_and_saveexec_b64 s[2:3], vcc
	s_cbranch_execz .LBB9_96
; %bb.95:
	s_waitcnt lgkmcnt(14)
	global_store_short v[2:3], v5, off
.LBB9_96:
	s_or_b64 exec, exec, s[2:3]
	v_or_b32_e32 v1, 0x100, v0
	v_cmp_gt_u32_e32 vcc, s28, v1
	s_and_saveexec_b64 s[2:3], vcc
	s_cbranch_execz .LBB9_98
; %bb.97:
	s_waitcnt lgkmcnt(14)
	global_store_short v[2:3], v4, off offset:512
.LBB9_98:
	s_or_b64 exec, exec, s[2:3]
	v_or_b32_e32 v1, 0x200, v0
	v_cmp_gt_u32_e32 vcc, s28, v1
	s_and_saveexec_b64 s[2:3], vcc
	s_cbranch_execz .LBB9_100
; %bb.99:
	s_waitcnt lgkmcnt(14)
	global_store_short v[2:3], v7, off offset:1024
.LBB9_100:
	;; [unrolled: 9-line block ×7, first 2 shown]
	s_or_b64 exec, exec, s[2:3]
	v_or_b32_e32 v1, 0x800, v0
	v_cmp_gt_u32_e32 vcc, s28, v1
	s_and_saveexec_b64 s[2:3], vcc
	s_cbranch_execz .LBB9_112
; %bb.111:
	v_add_co_u32_e32 v32, vcc, 0x1000, v2
	s_nop 1
	v_addc_co_u32_e32 v33, vcc, 0, v3, vcc
	s_waitcnt lgkmcnt(14)
	global_store_short v[32:33], v18, off
.LBB9_112:
	s_or_b64 exec, exec, s[2:3]
	v_or_b32_e32 v1, 0x900, v0
	v_cmp_gt_u32_e32 vcc, s28, v1
	s_and_saveexec_b64 s[2:3], vcc
	s_cbranch_execz .LBB9_114
; %bb.113:
	v_add_co_u32_e32 v32, vcc, 0x1000, v2
	s_nop 1
	v_addc_co_u32_e32 v33, vcc, 0, v3, vcc
	s_waitcnt lgkmcnt(14)
	global_store_short v[32:33], v26, off offset:512
.LBB9_114:
	s_or_b64 exec, exec, s[2:3]
	v_or_b32_e32 v1, 0xa00, v0
	v_cmp_gt_u32_e32 vcc, s28, v1
	s_and_saveexec_b64 s[2:3], vcc
	s_cbranch_execz .LBB9_116
; %bb.115:
	v_add_co_u32_e32 v32, vcc, 0x1000, v2
	s_nop 1
	v_addc_co_u32_e32 v33, vcc, 0, v3, vcc
	s_waitcnt lgkmcnt(13)
	global_store_short v[32:33], v23, off offset:1024
.LBB9_116:
	;; [unrolled: 12-line block ×7, first 2 shown]
	s_or_b64 exec, exec, s[2:3]
	v_or_b32_e32 v1, 0x1000, v0
	v_cmp_gt_u32_e32 vcc, s28, v1
	s_and_saveexec_b64 s[2:3], vcc
	s_cbranch_execz .LBB9_128
; %bb.127:
	v_add_co_u32_e32 v32, vcc, 0x2000, v2
	s_nop 1
	v_addc_co_u32_e32 v33, vcc, 0, v3, vcc
	s_waitcnt lgkmcnt(7)
	global_store_short v[32:33], v25, off
.LBB9_128:
	s_or_b64 exec, exec, s[2:3]
	v_or_b32_e32 v1, 0x1100, v0
	v_cmp_gt_u32_e32 vcc, s28, v1
	s_and_saveexec_b64 s[2:3], vcc
	s_cbranch_execz .LBB9_130
; %bb.129:
	v_add_co_u32_e32 v32, vcc, 0x2000, v2
	s_nop 1
	v_addc_co_u32_e32 v33, vcc, 0, v3, vcc
	s_waitcnt lgkmcnt(6)
	global_store_short v[32:33], v28, off offset:512
.LBB9_130:
	s_or_b64 exec, exec, s[2:3]
	v_or_b32_e32 v1, 0x1200, v0
	v_cmp_gt_u32_e32 vcc, s28, v1
	s_and_saveexec_b64 s[2:3], vcc
	s_cbranch_execz .LBB9_132
; %bb.131:
	v_add_co_u32_e32 v32, vcc, 0x2000, v2
	s_nop 1
	v_addc_co_u32_e32 v33, vcc, 0, v3, vcc
	s_waitcnt lgkmcnt(5)
	global_store_short v[32:33], v27, off offset:1024
.LBB9_132:
	;; [unrolled: 12-line block ×7, first 2 shown]
	s_or_b64 exec, exec, s[2:3]
	s_load_dword s0, s[0:1], 0x40
	s_waitcnt lgkmcnt(0)
	s_bfe_u32 s0, s0, 0x10008
	s_cmp_eq_u32 s0, 0
	s_cbranch_scc1 .LBB9_150
; %bb.143:
	s_add_u32 s0, s28, -1
	s_addc_u32 s1, s29, -1
	s_add_u32 s2, 0, 0xaaaa0000
	s_addc_u32 s3, 0, 42
	s_add_i32 s3, s3, 0xaaaaa80
	s_mul_hi_u32 s9, s2, 0xffffffe8
	s_sub_i32 s9, s9, s2
	s_mul_i32 s10, s3, 0xffffffe8
	s_mul_i32 s4, s2, 0xffffffe8
	s_add_i32 s9, s9, s10
	s_mul_hi_u32 s5, s3, s4
	s_mul_i32 s8, s3, s4
	s_mul_i32 s11, s2, s9
	s_mul_hi_u32 s4, s2, s4
	s_mul_hi_u32 s10, s2, s9
	s_add_u32 s4, s4, s11
	s_addc_u32 s10, 0, s10
	s_add_u32 s4, s4, s8
	s_mul_hi_u32 s11, s3, s9
	s_addc_u32 s4, s10, s5
	s_addc_u32 s5, s11, 0
	s_mul_i32 s8, s3, s9
	s_add_u32 s4, s4, s8
	v_mov_b32_e32 v2, s4
	s_addc_u32 s5, 0, s5
	v_add_co_u32_e32 v2, vcc, s2, v2
	s_cmp_lg_u64 vcc, 0
	s_addc_u32 s2, s3, s5
	v_readfirstlane_b32 s5, v2
	s_mul_i32 s4, s0, s2
	s_mul_hi_u32 s8, s0, s5
	s_mul_hi_u32 s3, s0, s2
	s_add_u32 s4, s8, s4
	s_addc_u32 s3, 0, s3
	s_mul_hi_u32 s9, s1, s5
	s_mul_i32 s5, s1, s5
	s_add_u32 s4, s4, s5
	s_mul_hi_u32 s8, s1, s2
	s_addc_u32 s3, s3, s9
	s_addc_u32 s4, s8, 0
	s_mul_i32 s2, s1, s2
	s_add_u32 s2, s3, s2
	s_addc_u32 s3, 0, s4
	s_add_u32 s4, s2, 1
	s_addc_u32 s5, s3, 0
	s_add_u32 s8, s2, 2
	s_mul_i32 s10, s3, 24
	s_mul_hi_u32 s11, s2, 24
	s_addc_u32 s9, s3, 0
	s_add_i32 s11, s11, s10
	s_mul_i32 s10, s2, 24
	v_mov_b32_e32 v2, s10
	v_sub_co_u32_e32 v2, vcc, s0, v2
	s_cmp_lg_u64 vcc, 0
	s_subb_u32 s10, s1, s11
	v_subrev_co_u32_e32 v3, vcc, 24, v2
	s_cmp_lg_u64 vcc, 0
	s_subb_u32 s11, s10, 0
	v_readfirstlane_b32 s12, v3
	s_cmp_gt_u32 s12, 23
	s_cselect_b32 s12, -1, 0
	s_cmp_eq_u32 s11, 0
	s_cselect_b32 s11, s12, -1
	s_cmp_lg_u32 s11, 0
	s_cselect_b32 s4, s8, s4
	v_readfirstlane_b32 s8, v2
	s_cselect_b32 s5, s9, s5
	s_cmp_gt_u32 s8, 23
	s_cselect_b32 s8, -1, 0
	s_cmp_eq_u32 s10, 0
	s_cselect_b32 s8, s8, -1
	s_cmp_lg_u32 s8, 0
	v_mov_b32_e32 v1, v15
	s_cselect_b32 s3, s5, s3
	s_cselect_b32 s2, s4, s2
	v_cmp_eq_u64_e32 vcc, s[2:3], v[0:1]
	s_and_saveexec_b64 s[2:3], vcc
	s_cbranch_execz .LBB9_150
; %bb.144:
	v_mul_hi_u32_u24_e32 v1, 24, v0
	v_mov_b32_e32 v2, s1
	v_sub_co_u32_e32 v0, vcc, s0, v22
	s_mov_b64 s[0:1], 0
	s_nop 0
	v_subb_co_u32_e32 v1, vcc, v2, v1, vcc
	v_cmp_lt_i64_e32 vcc, 11, v[0:1]
	s_mov_b64 s[10:11], 0
	s_mov_b64 s[8:9], 0
	;; [unrolled: 1-line block ×3, first 2 shown]
	s_and_saveexec_b64 s[2:3], vcc
	s_xor_b64 s[2:3], exec, s[2:3]
	s_cbranch_execnz .LBB9_151
; %bb.145:
	s_andn2_saveexec_b64 s[2:3], s[2:3]
	s_cbranch_execnz .LBB9_196
.LBB9_146:
	s_or_b64 exec, exec, s[2:3]
	s_and_saveexec_b64 s[2:3], s[10:11]
	s_cbranch_execnz .LBB9_213
.LBB9_147:
	s_or_b64 exec, exec, s[2:3]
	s_and_saveexec_b64 s[2:3], s[8:9]
	s_cbranch_execnz .LBB9_214
.LBB9_148:
	s_or_b64 exec, exec, s[2:3]
	s_and_saveexec_b64 s[2:3], s[4:5]
	s_xor_b64 s[2:3], exec, s[2:3]
	s_cbranch_execnz .LBB9_215
.LBB9_149:
	s_or_b64 exec, exec, s[2:3]
	s_and_b64 exec, exec, s[0:1]
	s_cbranch_execnz .LBB9_216
.LBB9_150:
	s_endpgm
.LBB9_151:
	v_cmp_lt_i64_e32 vcc, 17, v[0:1]
	s_and_saveexec_b64 s[12:13], vcc
	s_xor_b64 s[12:13], exec, s[12:13]
	s_cbranch_execz .LBB9_173
; %bb.152:
	v_cmp_lt_i64_e32 vcc, 20, v[0:1]
                                        ; implicit-def: $vgpr10
	s_and_saveexec_b64 s[14:15], vcc
	s_xor_b64 s[14:15], exec, s[14:15]
	s_cbranch_execz .LBB9_162
; %bb.153:
	v_cmp_lt_i64_e32 vcc, 21, v[0:1]
	s_mov_b64 s[16:17], 0
                                        ; implicit-def: $vgpr10
	s_and_saveexec_b64 s[4:5], vcc
	s_xor_b64 s[4:5], exec, s[4:5]
	s_cbranch_execz .LBB9_159
; %bb.154:
	v_cmp_lt_i64_e32 vcc, 22, v[0:1]
	s_and_saveexec_b64 s[16:17], vcc
	s_xor_b64 s[16:17], exec, s[16:17]
	s_cbranch_execz .LBB9_156
; %bb.155:
	v_mov_b32_e32 v2, 0
	global_store_short v2, v30, s[6:7]
                                        ; implicit-def: $vgpr29
.LBB9_156:
	s_or_saveexec_b64 s[16:17], s[16:17]
	s_mov_b64 s[18:19], 0
	s_xor_b64 exec, exec, s[16:17]
; %bb.157:
	s_mov_b64 s[18:19], exec
; %bb.158:
	s_or_b64 exec, exec, s[16:17]
	s_and_b64 s[16:17], s[18:19], exec
	v_mov_b32_e32 v10, v29
                                        ; implicit-def: $vgpr11
.LBB9_159:
	s_andn2_saveexec_b64 s[4:5], s[4:5]
; %bb.160:
	s_mov_b64 s[8:9], exec
                                        ; implicit-def: $vgpr10
; %bb.161:
	s_or_b64 exec, exec, s[4:5]
	s_and_b64 s[4:5], s[16:17], exec
	s_and_b64 s[8:9], s[8:9], exec
                                        ; implicit-def: $vgpr27
                                        ; implicit-def: $vgpr12
                                        ; implicit-def: $vgpr24
.LBB9_162:
	s_andn2_saveexec_b64 s[14:15], s[14:15]
	s_cbranch_execz .LBB9_172
; %bb.163:
	v_cmp_lt_i64_e32 vcc, 18, v[0:1]
	s_mov_b64 s[16:17], 0
	s_and_saveexec_b64 s[10:11], vcc
	s_xor_b64 s[10:11], exec, s[10:11]
	s_cbranch_execz .LBB9_169
; %bb.164:
	v_cmp_lt_i64_e32 vcc, 19, v[0:1]
	s_and_saveexec_b64 s[18:19], vcc
	s_xor_b64 s[18:19], exec, s[18:19]
; %bb.165:
	s_mov_b64 s[16:17], exec
                                        ; implicit-def: $vgpr24
; %bb.166:
	s_andn2_saveexec_b64 s[18:19], s[18:19]
	s_cbranch_execz .LBB9_168
; %bb.167:
	v_mov_b32_e32 v2, 0
	global_store_short v2, v24, s[6:7]
                                        ; implicit-def: $vgpr12
.LBB9_168:
	s_or_b64 exec, exec, s[18:19]
	s_and_b64 s[16:17], s[16:17], exec
                                        ; implicit-def: $vgpr27
.LBB9_169:
	s_andn2_saveexec_b64 s[10:11], s[10:11]
	s_cbranch_execz .LBB9_171
; %bb.170:
	v_mov_b32_e32 v2, 0
	global_store_short v2, v27, s[6:7]
                                        ; implicit-def: $vgpr12
.LBB9_171:
	s_or_b64 exec, exec, s[10:11]
	s_and_b64 s[10:11], s[16:17], exec
                                        ; implicit-def: $vgpr10
                                        ; implicit-def: $vgpr11
.LBB9_172:
	s_or_b64 exec, exec, s[14:15]
	s_and_b64 s[4:5], s[4:5], exec
	s_and_b64 s[8:9], s[8:9], exec
	;; [unrolled: 1-line block ×3, first 2 shown]
                                        ; implicit-def: $vgpr20
                                        ; implicit-def: $vgpr13
                                        ; implicit-def: $vgpr16
                                        ; implicit-def: $vgpr25
                                        ; implicit-def: $vgpr28
.LBB9_173:
	s_andn2_saveexec_b64 s[12:13], s[12:13]
	s_cbranch_execz .LBB9_195
; %bb.174:
	v_cmp_lt_i64_e32 vcc, 14, v[0:1]
	s_mov_b64 s[14:15], s[4:5]
	s_and_saveexec_b64 s[16:17], vcc
	s_xor_b64 s[16:17], exec, s[16:17]
	s_cbranch_execz .LBB9_184
; %bb.175:
	v_cmp_lt_i64_e32 vcc, 15, v[0:1]
	s_and_saveexec_b64 s[14:15], vcc
	s_xor_b64 s[14:15], exec, s[14:15]
	s_cbranch_execz .LBB9_181
; %bb.176:
	v_cmp_lt_i64_e32 vcc, 16, v[0:1]
	s_and_saveexec_b64 s[18:19], vcc
	s_xor_b64 s[18:19], exec, s[18:19]
	s_cbranch_execz .LBB9_178
; %bb.177:
	v_mov_b32_e32 v2, 0
	global_store_short v2, v28, s[6:7]
                                        ; implicit-def: $vgpr25
.LBB9_178:
	s_andn2_saveexec_b64 s[18:19], s[18:19]
	s_cbranch_execz .LBB9_180
; %bb.179:
	v_mov_b32_e32 v2, 0
	global_store_short v2, v25, s[6:7]
.LBB9_180:
	s_or_b64 exec, exec, s[18:19]
                                        ; implicit-def: $vgpr10
.LBB9_181:
	s_or_saveexec_b64 s[14:15], s[14:15]
	s_mov_b64 s[18:19], s[4:5]
	s_xor_b64 exec, exec, s[14:15]
; %bb.182:
	s_or_b64 s[18:19], s[4:5], exec
; %bb.183:
	s_or_b64 exec, exec, s[14:15]
	s_andn2_b64 s[14:15], s[4:5], exec
	s_and_b64 s[18:19], s[18:19], exec
	s_or_b64 s[14:15], s[14:15], s[18:19]
                                        ; implicit-def: $vgpr20
                                        ; implicit-def: $vgpr13
                                        ; implicit-def: $vgpr16
.LBB9_184:
	s_or_saveexec_b64 s[16:17], s[16:17]
	s_mov_b64 s[18:19], s[8:9]
                                        ; implicit-def: $vgpr11
	s_xor_b64 exec, exec, s[16:17]
	s_cbranch_execz .LBB9_194
; %bb.185:
	v_cmp_lt_i64_e32 vcc, 12, v[0:1]
	s_mov_b64 s[20:21], s[8:9]
	s_mov_b64 s[22:23], s[14:15]
                                        ; implicit-def: $vgpr10
                                        ; implicit-def: $vgpr11
	s_and_saveexec_b64 s[18:19], vcc
	s_xor_b64 s[18:19], exec, s[18:19]
	s_cbranch_execz .LBB9_191
; %bb.186:
	v_cmp_lt_i64_e32 vcc, 13, v[0:1]
	s_mov_b64 s[20:21], s[14:15]
	s_and_saveexec_b64 s[22:23], vcc
	s_xor_b64 s[22:23], exec, s[22:23]
; %bb.187:
	s_or_b64 s[20:21], s[14:15], exec
                                        ; implicit-def: $vgpr13
; %bb.188:
	s_or_saveexec_b64 s[22:23], s[22:23]
	s_mov_b64 s[24:25], s[8:9]
	s_xor_b64 exec, exec, s[22:23]
; %bb.189:
	s_or_b64 s[24:25], s[8:9], exec
                                        ; implicit-def: $vgpr16
; %bb.190:
	s_or_b64 exec, exec, s[22:23]
	s_andn2_b64 s[22:23], s[14:15], exec
	s_and_b64 s[20:21], s[20:21], exec
	s_or_b64 s[22:23], s[22:23], s[20:21]
	s_andn2_b64 s[20:21], s[8:9], exec
	s_and_b64 s[24:25], s[24:25], exec
	s_or_b64 s[20:21], s[20:21], s[24:25]
	v_mov_b32_e32 v10, v16
	v_mov_b32_e32 v11, v13
                                        ; implicit-def: $vgpr20
.LBB9_191:
	s_andn2_saveexec_b64 s[18:19], s[18:19]
; %bb.192:
	s_or_b64 s[20:21], s[20:21], exec
                                        ; implicit-def: $vgpr10
	v_mov_b32_e32 v11, v20
; %bb.193:
	s_or_b64 exec, exec, s[18:19]
	s_andn2_b64 s[14:15], s[14:15], exec
	s_and_b64 s[18:19], s[22:23], exec
	s_or_b64 s[14:15], s[14:15], s[18:19]
	s_andn2_b64 s[18:19], s[8:9], exec
	s_and_b64 s[20:21], s[20:21], exec
	s_or_b64 s[18:19], s[18:19], s[20:21]
.LBB9_194:
	s_or_b64 exec, exec, s[16:17]
	s_andn2_b64 s[4:5], s[4:5], exec
	s_and_b64 s[14:15], s[14:15], exec
	s_or_b64 s[4:5], s[4:5], s[14:15]
	s_andn2_b64 s[8:9], s[8:9], exec
	s_and_b64 s[14:15], s[18:19], exec
	s_or_b64 s[8:9], s[8:9], s[14:15]
                                        ; implicit-def: $vgpr12
.LBB9_195:
	s_or_b64 exec, exec, s[12:13]
	s_and_b64 s[4:5], s[4:5], exec
	s_and_b64 s[8:9], s[8:9], exec
	;; [unrolled: 1-line block ×3, first 2 shown]
                                        ; implicit-def: $vgpr19
                                        ; implicit-def: $vgpr17
                                        ; implicit-def: $vgpr18
                                        ; implicit-def: $vgpr26
                                        ; implicit-def: $vgpr23
                                        ; implicit-def: $vgpr21
	s_andn2_saveexec_b64 s[2:3], s[2:3]
	s_cbranch_execz .LBB9_146
.LBB9_196:
	v_cmp_lt_i64_e32 vcc, 5, v[0:1]
	s_mov_b64 s[14:15], -1
	s_mov_b64 s[12:13], s[10:11]
	s_mov_b64 s[16:17], s[8:9]
	;; [unrolled: 1-line block ×3, first 2 shown]
                                        ; implicit-def: $vgpr10
                                        ; implicit-def: $vgpr11
                                        ; implicit-def: $vgpr12
	s_and_saveexec_b64 s[0:1], vcc
	s_cbranch_execz .LBB9_212
; %bb.197:
	v_cmp_lt_i64_e32 vcc, 8, v[0:1]
	s_mov_b64 s[12:13], s[10:11]
                                        ; implicit-def: $vgpr12
	s_and_saveexec_b64 s[14:15], vcc
	s_xor_b64 s[14:15], exec, s[14:15]
	s_cbranch_execz .LBB9_207
; %bb.198:
	v_cmp_lt_i64_e32 vcc, 9, v[0:1]
	s_and_saveexec_b64 s[12:13], vcc
	s_xor_b64 s[12:13], exec, s[12:13]
	s_cbranch_execz .LBB9_204
; %bb.199:
	v_cmp_lt_i64_e32 vcc, 10, v[0:1]
	s_and_saveexec_b64 s[16:17], vcc
	s_xor_b64 s[16:17], exec, s[16:17]
; %bb.200:
                                        ; implicit-def: $vgpr23
; %bb.201:
	s_andn2_saveexec_b64 s[16:17], s[16:17]
; %bb.202:
	v_mov_b32_e32 v21, v23
; %bb.203:
	s_or_b64 exec, exec, s[16:17]
                                        ; implicit-def: $vgpr26
.LBB9_204:
	s_andn2_saveexec_b64 s[12:13], s[12:13]
; %bb.205:
	v_mov_b32_e32 v21, v26
; %bb.206:
	s_or_b64 exec, exec, s[12:13]
	s_or_b64 s[12:13], s[10:11], exec
	v_mov_b32_e32 v12, v21
                                        ; implicit-def: $vgpr19
                                        ; implicit-def: $vgpr17
                                        ; implicit-def: $vgpr18
.LBB9_207:
	s_or_saveexec_b64 s[14:15], s[14:15]
	s_mov_b64 s[16:17], s[8:9]
	s_mov_b64 s[20:21], s[4:5]
                                        ; implicit-def: $vgpr10
                                        ; implicit-def: $vgpr11
	s_xor_b64 exec, exec, s[14:15]
	s_cbranch_execz .LBB9_211
; %bb.208:
	v_cmp_lt_i64_e32 vcc, 6, v[0:1]
	s_mov_b64 s[20:21], -1
	s_mov_b64 s[18:19], s[12:13]
	s_mov_b64 s[16:17], s[8:9]
	s_and_saveexec_b64 s[22:23], vcc
; %bb.209:
	v_cmp_lt_i64_e32 vcc, 7, v[0:1]
	s_andn2_b64 s[18:19], s[12:13], exec
	s_and_b64 s[24:25], vcc, exec
	s_xor_b64 s[20:21], exec, -1
	s_or_b64 s[16:17], s[8:9], exec
	s_or_b64 s[18:19], s[18:19], s[24:25]
                                        ; implicit-def: $vgpr19
; %bb.210:
	s_or_b64 exec, exec, s[22:23]
	s_andn2_b64 s[22:23], s[4:5], exec
	s_and_b64 s[20:21], s[20:21], exec
	s_or_b64 s[20:21], s[22:23], s[20:21]
	s_andn2_b64 s[22:23], s[8:9], exec
	s_and_b64 s[16:17], s[16:17], exec
	s_andn2_b64 s[12:13], s[12:13], exec
	s_and_b64 s[18:19], s[18:19], exec
	s_or_b64 s[16:17], s[22:23], s[16:17]
	s_or_b64 s[12:13], s[12:13], s[18:19]
	v_mov_b32_e32 v10, v19
	v_mov_b32_e32 v11, v17
	v_mov_b32_e32 v12, v18
.LBB9_211:
	s_or_b64 exec, exec, s[14:15]
	s_andn2_b64 s[18:19], s[4:5], exec
	s_and_b64 s[20:21], s[20:21], exec
	s_or_b64 s[18:19], s[18:19], s[20:21]
	s_andn2_b64 s[20:21], s[8:9], exec
	s_and_b64 s[16:17], s[16:17], exec
	s_or_b64 s[16:17], s[20:21], s[16:17]
	s_andn2_b64 s[20:21], s[10:11], exec
	s_and_b64 s[12:13], s[12:13], exec
	s_xor_b64 s[14:15], exec, -1
	s_or_b64 s[12:13], s[20:21], s[12:13]
.LBB9_212:
	s_or_b64 exec, exec, s[0:1]
	s_and_b64 s[0:1], s[14:15], exec
	s_andn2_b64 s[4:5], s[4:5], exec
	s_and_b64 s[14:15], s[18:19], exec
	s_or_b64 s[4:5], s[4:5], s[14:15]
	s_andn2_b64 s[8:9], s[8:9], exec
	s_and_b64 s[14:15], s[16:17], exec
	s_andn2_b64 s[10:11], s[10:11], exec
	s_and_b64 s[12:13], s[12:13], exec
	s_or_b64 s[8:9], s[8:9], s[14:15]
	s_or_b64 s[10:11], s[10:11], s[12:13]
	s_or_b64 exec, exec, s[2:3]
	s_and_saveexec_b64 s[2:3], s[10:11]
	s_cbranch_execz .LBB9_147
.LBB9_213:
	v_mov_b32_e32 v2, 0
	s_andn2_b64 s[8:9], s[8:9], exec
	global_store_short v2, v12, s[6:7]
                                        ; implicit-def: $vgpr10
                                        ; implicit-def: $vgpr11
	s_or_b64 exec, exec, s[2:3]
	s_and_saveexec_b64 s[2:3], s[8:9]
	s_cbranch_execz .LBB9_148
.LBB9_214:
	v_mov_b32_e32 v2, 0
	global_store_short v2, v11, s[6:7]
                                        ; implicit-def: $vgpr10
	s_or_b64 exec, exec, s[2:3]
	s_and_saveexec_b64 s[2:3], s[4:5]
	s_xor_b64 s[2:3], exec, s[2:3]
	s_cbranch_execz .LBB9_149
.LBB9_215:
	v_mov_b32_e32 v2, 0
	global_store_short v2, v10, s[6:7]
	s_or_b64 exec, exec, s[2:3]
	s_and_b64 exec, exec, s[0:1]
	s_cbranch_execz .LBB9_150
.LBB9_216:
	v_cmp_lt_i64_e32 vcc, 2, v[0:1]
	s_and_saveexec_b64 s[0:1], vcc
	s_xor_b64 s[0:1], exec, s[0:1]
	s_cbranch_execz .LBB9_226
; %bb.217:
	v_cmp_lt_i64_e32 vcc, 3, v[0:1]
	s_and_saveexec_b64 s[2:3], vcc
	s_xor_b64 s[2:3], exec, s[2:3]
	s_cbranch_execz .LBB9_223
; %bb.218:
	v_cmp_lt_i64_e32 vcc, 4, v[0:1]
	s_and_saveexec_b64 s[4:5], vcc
	s_xor_b64 s[4:5], exec, s[4:5]
	s_cbranch_execz .LBB9_220
; %bb.219:
	v_mov_b32_e32 v0, 0
	global_store_short v0, v9, s[6:7]
                                        ; implicit-def: $vgpr6
.LBB9_220:
	s_andn2_saveexec_b64 s[4:5], s[4:5]
	s_cbranch_execz .LBB9_222
; %bb.221:
	v_mov_b32_e32 v0, 0
	global_store_short v0, v6, s[6:7]
.LBB9_222:
	s_or_b64 exec, exec, s[4:5]
                                        ; implicit-def: $vgpr8
.LBB9_223:
	s_andn2_saveexec_b64 s[2:3], s[2:3]
	s_cbranch_execz .LBB9_225
; %bb.224:
	v_mov_b32_e32 v0, 0
	global_store_short v0, v8, s[6:7]
.LBB9_225:
	s_or_b64 exec, exec, s[2:3]
                                        ; implicit-def: $vgpr0_vgpr1
                                        ; implicit-def: $vgpr7
                                        ; implicit-def: $vgpr4
                                        ; implicit-def: $vgpr5
.LBB9_226:
	s_andn2_saveexec_b64 s[0:1], s[0:1]
	s_cbranch_execz .LBB9_150
; %bb.227:
	v_cmp_lt_i64_e32 vcc, 1, v[0:1]
	s_and_saveexec_b64 s[0:1], vcc
	s_xor_b64 s[0:1], exec, s[0:1]
	s_cbranch_execz .LBB9_229
; %bb.228:
	v_mov_b32_e32 v0, 0
	global_store_short v0, v7, s[6:7]
                                        ; implicit-def: $vgpr4
                                        ; implicit-def: $vgpr0_vgpr1
                                        ; implicit-def: $vgpr5
.LBB9_229:
	s_andn2_saveexec_b64 s[0:1], s[0:1]
	s_cbranch_execz .LBB9_150
; %bb.230:
	v_cmp_ne_u64_e32 vcc, 1, v[0:1]
	s_and_saveexec_b64 s[0:1], vcc
	s_xor_b64 s[0:1], exec, s[0:1]
	s_cbranch_execz .LBB9_232
; %bb.231:
	v_mov_b32_e32 v0, 0
	global_store_short v0, v5, s[6:7]
                                        ; implicit-def: $vgpr4
.LBB9_232:
	s_andn2_saveexec_b64 s[0:1], s[0:1]
	s_cbranch_execz .LBB9_150
; %bb.233:
	v_mov_b32_e32 v0, 0
	global_store_short v0, v4, s[6:7]
	s_endpgm
	.section	.rodata,"a",@progbits
	.p2align	6, 0x0
	.amdhsa_kernel _ZN7rocprim6detail20lookback_scan_kernelILNS0_25lookback_scan_determinismE0ELb0ENS0_19wrapped_scan_configINS_14default_configE6__halfEEPS5_S7_N6hipcub3MaxES5_S5_NS0_19lookback_scan_stateIS5_Lb0ELb1EEEEEvT2_T3_mT5_T4_T7_jPT6_SI_bb
		.amdhsa_group_segment_fixed_size 12288
		.amdhsa_private_segment_fixed_size 0
		.amdhsa_kernarg_size 68
		.amdhsa_user_sgpr_count 2
		.amdhsa_user_sgpr_dispatch_ptr 0
		.amdhsa_user_sgpr_queue_ptr 0
		.amdhsa_user_sgpr_kernarg_segment_ptr 1
		.amdhsa_user_sgpr_dispatch_id 0
		.amdhsa_user_sgpr_kernarg_preload_length 0
		.amdhsa_user_sgpr_kernarg_preload_offset 0
		.amdhsa_user_sgpr_private_segment_size 0
		.amdhsa_uses_dynamic_stack 0
		.amdhsa_enable_private_segment 0
		.amdhsa_system_sgpr_workgroup_id_x 1
		.amdhsa_system_sgpr_workgroup_id_y 0
		.amdhsa_system_sgpr_workgroup_id_z 0
		.amdhsa_system_sgpr_workgroup_info 0
		.amdhsa_system_vgpr_workitem_id 0
		.amdhsa_next_free_vgpr 59
		.amdhsa_next_free_sgpr 30
		.amdhsa_accum_offset 60
		.amdhsa_reserve_vcc 1
		.amdhsa_float_round_mode_32 0
		.amdhsa_float_round_mode_16_64 0
		.amdhsa_float_denorm_mode_32 3
		.amdhsa_float_denorm_mode_16_64 3
		.amdhsa_dx10_clamp 1
		.amdhsa_ieee_mode 1
		.amdhsa_fp16_overflow 0
		.amdhsa_tg_split 0
		.amdhsa_exception_fp_ieee_invalid_op 0
		.amdhsa_exception_fp_denorm_src 0
		.amdhsa_exception_fp_ieee_div_zero 0
		.amdhsa_exception_fp_ieee_overflow 0
		.amdhsa_exception_fp_ieee_underflow 0
		.amdhsa_exception_fp_ieee_inexact 0
		.amdhsa_exception_int_div_zero 0
	.end_amdhsa_kernel
	.section	.text._ZN7rocprim6detail20lookback_scan_kernelILNS0_25lookback_scan_determinismE0ELb0ENS0_19wrapped_scan_configINS_14default_configE6__halfEEPS5_S7_N6hipcub3MaxES5_S5_NS0_19lookback_scan_stateIS5_Lb0ELb1EEEEEvT2_T3_mT5_T4_T7_jPT6_SI_bb,"axG",@progbits,_ZN7rocprim6detail20lookback_scan_kernelILNS0_25lookback_scan_determinismE0ELb0ENS0_19wrapped_scan_configINS_14default_configE6__halfEEPS5_S7_N6hipcub3MaxES5_S5_NS0_19lookback_scan_stateIS5_Lb0ELb1EEEEEvT2_T3_mT5_T4_T7_jPT6_SI_bb,comdat
.Lfunc_end9:
	.size	_ZN7rocprim6detail20lookback_scan_kernelILNS0_25lookback_scan_determinismE0ELb0ENS0_19wrapped_scan_configINS_14default_configE6__halfEEPS5_S7_N6hipcub3MaxES5_S5_NS0_19lookback_scan_stateIS5_Lb0ELb1EEEEEvT2_T3_mT5_T4_T7_jPT6_SI_bb, .Lfunc_end9-_ZN7rocprim6detail20lookback_scan_kernelILNS0_25lookback_scan_determinismE0ELb0ENS0_19wrapped_scan_configINS_14default_configE6__halfEEPS5_S7_N6hipcub3MaxES5_S5_NS0_19lookback_scan_stateIS5_Lb0ELb1EEEEEvT2_T3_mT5_T4_T7_jPT6_SI_bb
                                        ; -- End function
	.section	.AMDGPU.csdata,"",@progbits
; Kernel info:
; codeLenInByte = 10304
; NumSgprs: 36
; NumVgprs: 59
; NumAgprs: 0
; TotalNumVgprs: 59
; ScratchSize: 0
; MemoryBound: 0
; FloatMode: 240
; IeeeMode: 1
; LDSByteSize: 12288 bytes/workgroup (compile time only)
; SGPRBlocks: 4
; VGPRBlocks: 7
; NumSGPRsForWavesPerEU: 36
; NumVGPRsForWavesPerEU: 59
; AccumOffset: 60
; Occupancy: 5
; WaveLimiterHint : 1
; COMPUTE_PGM_RSRC2:SCRATCH_EN: 0
; COMPUTE_PGM_RSRC2:USER_SGPR: 2
; COMPUTE_PGM_RSRC2:TRAP_HANDLER: 0
; COMPUTE_PGM_RSRC2:TGID_X_EN: 1
; COMPUTE_PGM_RSRC2:TGID_Y_EN: 0
; COMPUTE_PGM_RSRC2:TGID_Z_EN: 0
; COMPUTE_PGM_RSRC2:TIDIG_COMP_CNT: 0
; COMPUTE_PGM_RSRC3_GFX90A:ACCUM_OFFSET: 14
; COMPUTE_PGM_RSRC3_GFX90A:TG_SPLIT: 0
	.section	.text._ZN7rocprim6detail16transform_kernelINS0_24wrapped_transform_configINS_14default_configE6__halfEES4_PS4_S6_NS_8identityIS4_EEEEvT1_mT2_T3_,"axG",@progbits,_ZN7rocprim6detail16transform_kernelINS0_24wrapped_transform_configINS_14default_configE6__halfEES4_PS4_S6_NS_8identityIS4_EEEEvT1_mT2_T3_,comdat
	.protected	_ZN7rocprim6detail16transform_kernelINS0_24wrapped_transform_configINS_14default_configE6__halfEES4_PS4_S6_NS_8identityIS4_EEEEvT1_mT2_T3_ ; -- Begin function _ZN7rocprim6detail16transform_kernelINS0_24wrapped_transform_configINS_14default_configE6__halfEES4_PS4_S6_NS_8identityIS4_EEEEvT1_mT2_T3_
	.globl	_ZN7rocprim6detail16transform_kernelINS0_24wrapped_transform_configINS_14default_configE6__halfEES4_PS4_S6_NS_8identityIS4_EEEEvT1_mT2_T3_
	.p2align	8
	.type	_ZN7rocprim6detail16transform_kernelINS0_24wrapped_transform_configINS_14default_configE6__halfEES4_PS4_S6_NS_8identityIS4_EEEEvT1_mT2_T3_,@function
_ZN7rocprim6detail16transform_kernelINS0_24wrapped_transform_configINS_14default_configE6__halfEES4_PS4_S6_NS_8identityIS4_EEEEvT1_mT2_T3_: ; @_ZN7rocprim6detail16transform_kernelINS0_24wrapped_transform_configINS_14default_configE6__halfEES4_PS4_S6_NS_8identityIS4_EEEEvT1_mT2_T3_
; %bb.0:
	s_load_dword s3, s[0:1], 0x20
	s_load_dwordx4 s[4:7], s[0:1], 0x0
	s_load_dwordx2 s[28:29], s[0:1], 0x10
	s_lshl_b32 s0, s2, 11
	s_mov_b32 s1, 0
	s_waitcnt lgkmcnt(0)
	s_add_i32 s3, s3, -1
	s_lshl_b64 s[30:31], s[0:1], 1
	s_add_u32 s4, s4, s30
	s_addc_u32 s5, s5, s31
	v_mov_b32_e32 v3, 0
	v_lshlrev_b32_e32 v2, 1, v0
	s_cmp_lg_u32 s2, s3
	v_lshl_add_u64 v[4:5], s[4:5], 0, v[2:3]
	s_cbranch_scc0 .LBB10_2
; %bb.1:
	global_load_ushort v1, v[4:5], off
	global_load_ushort v3, v[4:5], off offset:256
	global_load_ushort v6, v[4:5], off offset:512
	;; [unrolled: 1-line block ×15, first 2 shown]
	s_add_u32 s4, s28, s30
	s_addc_u32 s5, s29, s31
	s_mov_b64 s[34:35], -1
	s_waitcnt vmcnt(15)
	global_store_short v2, v1, s[4:5]
	s_waitcnt vmcnt(15)
	global_store_short v2, v3, s[4:5] offset:256
	s_waitcnt vmcnt(15)
	global_store_short v2, v6, s[4:5] offset:512
	;; [unrolled: 2-line block ×14, first 2 shown]
	s_cbranch_execz .LBB10_3
	s_branch .LBB10_52
.LBB10_2:
	s_mov_b64 s[34:35], 0
                                        ; implicit-def: $vgpr8
.LBB10_3:
	s_sub_i32 s33, s6, s0
	v_cmp_gt_u32_e32 vcc, s33, v0
                                        ; implicit-def: $vgpr6
	s_and_saveexec_b64 s[0:1], vcc
	s_cbranch_execz .LBB10_5
; %bb.4:
	global_load_ushort v6, v[4:5], off
.LBB10_5:
	s_or_b64 exec, exec, s[0:1]
	v_or_b32_e32 v1, 0x80, v0
	v_cmp_gt_u32_e64 s[0:1], s33, v1
                                        ; implicit-def: $vgpr7
	s_and_saveexec_b64 s[2:3], s[0:1]
	s_cbranch_execz .LBB10_7
; %bb.6:
	global_load_ushort v7, v[4:5], off offset:256
.LBB10_7:
	s_or_b64 exec, exec, s[2:3]
	v_or_b32_e32 v1, 0x100, v0
	v_cmp_gt_u32_e64 s[2:3], s33, v1
                                        ; implicit-def: $vgpr9
	s_and_saveexec_b64 s[4:5], s[2:3]
	s_cbranch_execz .LBB10_9
; %bb.8:
	global_load_ushort v9, v[4:5], off offset:512
.LBB10_9:
	s_or_b64 exec, exec, s[4:5]
	v_or_b32_e32 v1, 0x180, v0
	v_cmp_gt_u32_e64 s[4:5], s33, v1
                                        ; implicit-def: $vgpr10
	s_and_saveexec_b64 s[6:7], s[4:5]
	s_cbranch_execz .LBB10_11
; %bb.10:
	global_load_ushort v10, v[4:5], off offset:768
.LBB10_11:
	s_or_b64 exec, exec, s[6:7]
	v_or_b32_e32 v1, 0x200, v0
	v_cmp_gt_u32_e64 s[6:7], s33, v1
                                        ; implicit-def: $vgpr11
	s_and_saveexec_b64 s[8:9], s[6:7]
	s_cbranch_execz .LBB10_13
; %bb.12:
	global_load_ushort v11, v[4:5], off offset:1024
.LBB10_13:
	s_or_b64 exec, exec, s[8:9]
	v_or_b32_e32 v1, 0x280, v0
	v_cmp_gt_u32_e64 s[8:9], s33, v1
                                        ; implicit-def: $vgpr12
	s_and_saveexec_b64 s[10:11], s[8:9]
	s_cbranch_execz .LBB10_15
; %bb.14:
	global_load_ushort v12, v[4:5], off offset:1280
.LBB10_15:
	s_or_b64 exec, exec, s[10:11]
	v_or_b32_e32 v1, 0x300, v0
	v_cmp_gt_u32_e64 s[10:11], s33, v1
                                        ; implicit-def: $vgpr13
	s_and_saveexec_b64 s[12:13], s[10:11]
	s_cbranch_execz .LBB10_17
; %bb.16:
	global_load_ushort v13, v[4:5], off offset:1536
.LBB10_17:
	s_or_b64 exec, exec, s[12:13]
	v_or_b32_e32 v1, 0x380, v0
	v_cmp_gt_u32_e64 s[12:13], s33, v1
                                        ; implicit-def: $vgpr14
	s_and_saveexec_b64 s[14:15], s[12:13]
	s_cbranch_execz .LBB10_19
; %bb.18:
	global_load_ushort v14, v[4:5], off offset:1792
.LBB10_19:
	s_or_b64 exec, exec, s[14:15]
	v_or_b32_e32 v1, 0x400, v0
	v_cmp_gt_u32_e64 s[14:15], s33, v1
                                        ; implicit-def: $vgpr15
	s_and_saveexec_b64 s[16:17], s[14:15]
	s_cbranch_execz .LBB10_21
; %bb.20:
	global_load_ushort v15, v[4:5], off offset:2048
.LBB10_21:
	s_or_b64 exec, exec, s[16:17]
	v_or_b32_e32 v1, 0x480, v0
	v_cmp_gt_u32_e64 s[16:17], s33, v1
                                        ; implicit-def: $vgpr16
	s_and_saveexec_b64 s[18:19], s[16:17]
	s_cbranch_execz .LBB10_23
; %bb.22:
	global_load_ushort v16, v[4:5], off offset:2304
.LBB10_23:
	s_or_b64 exec, exec, s[18:19]
	v_or_b32_e32 v1, 0x500, v0
	v_cmp_gt_u32_e64 s[18:19], s33, v1
                                        ; implicit-def: $vgpr17
	s_and_saveexec_b64 s[20:21], s[18:19]
	s_cbranch_execz .LBB10_25
; %bb.24:
	global_load_ushort v17, v[4:5], off offset:2560
.LBB10_25:
	s_or_b64 exec, exec, s[20:21]
	v_or_b32_e32 v1, 0x580, v0
	v_cmp_gt_u32_e64 s[20:21], s33, v1
                                        ; implicit-def: $vgpr18
	s_and_saveexec_b64 s[22:23], s[20:21]
	s_cbranch_execz .LBB10_27
; %bb.26:
	global_load_ushort v18, v[4:5], off offset:2816
.LBB10_27:
	s_or_b64 exec, exec, s[22:23]
	v_or_b32_e32 v1, 0x600, v0
	v_cmp_gt_u32_e64 s[22:23], s33, v1
                                        ; implicit-def: $vgpr19
	s_and_saveexec_b64 s[24:25], s[22:23]
	s_cbranch_execz .LBB10_29
; %bb.28:
	global_load_ushort v19, v[4:5], off offset:3072
.LBB10_29:
	s_or_b64 exec, exec, s[24:25]
	v_or_b32_e32 v1, 0x680, v0
	v_cmp_gt_u32_e64 s[24:25], s33, v1
                                        ; implicit-def: $vgpr20
	s_and_saveexec_b64 s[26:27], s[24:25]
	s_cbranch_execz .LBB10_31
; %bb.30:
	global_load_ushort v20, v[4:5], off offset:3328
.LBB10_31:
	s_or_b64 exec, exec, s[26:27]
	v_or_b32_e32 v1, 0x700, v0
	v_cmp_gt_u32_e64 s[26:27], s33, v1
                                        ; implicit-def: $vgpr21
	s_and_saveexec_b64 s[34:35], s[26:27]
	s_cbranch_execz .LBB10_33
; %bb.32:
	global_load_ushort v21, v[4:5], off offset:3584
.LBB10_33:
	s_or_b64 exec, exec, s[34:35]
	v_or_b32_e32 v0, 0x780, v0
	v_cmp_gt_u32_e64 s[34:35], s33, v0
                                        ; implicit-def: $vgpr8
	s_and_saveexec_b64 s[36:37], s[34:35]
	s_cbranch_execz .LBB10_35
; %bb.34:
	global_load_ushort v8, v[4:5], off offset:3840
.LBB10_35:
	s_or_b64 exec, exec, s[36:37]
	s_add_u32 s36, s28, s30
	s_addc_u32 s37, s29, s31
	v_mov_b32_e32 v3, 0
	v_lshl_add_u64 v[0:1], s[36:37], 0, v[2:3]
	s_and_saveexec_b64 s[36:37], vcc
	s_xor_b64 s[36:37], exec, s[36:37]
	s_cbranch_execnz .LBB10_55
; %bb.36:
	s_or_b64 exec, exec, s[36:37]
	s_and_saveexec_b64 s[36:37], s[0:1]
	s_cbranch_execnz .LBB10_56
.LBB10_37:
	s_or_b64 exec, exec, s[36:37]
	s_and_saveexec_b64 s[0:1], s[2:3]
	s_cbranch_execnz .LBB10_57
.LBB10_38:
	s_or_b64 exec, exec, s[0:1]
	s_and_saveexec_b64 s[0:1], s[4:5]
	s_cbranch_execnz .LBB10_58
.LBB10_39:
	s_or_b64 exec, exec, s[0:1]
	s_and_saveexec_b64 s[0:1], s[6:7]
	s_cbranch_execnz .LBB10_59
.LBB10_40:
	s_or_b64 exec, exec, s[0:1]
	s_and_saveexec_b64 s[0:1], s[8:9]
	s_cbranch_execnz .LBB10_60
.LBB10_41:
	s_or_b64 exec, exec, s[0:1]
	s_and_saveexec_b64 s[0:1], s[10:11]
	s_cbranch_execnz .LBB10_61
.LBB10_42:
	s_or_b64 exec, exec, s[0:1]
	s_and_saveexec_b64 s[0:1], s[12:13]
	s_cbranch_execnz .LBB10_62
.LBB10_43:
	s_or_b64 exec, exec, s[0:1]
	s_and_saveexec_b64 s[0:1], s[14:15]
	s_cbranch_execnz .LBB10_63
.LBB10_44:
	s_or_b64 exec, exec, s[0:1]
	s_and_saveexec_b64 s[0:1], s[16:17]
	s_cbranch_execnz .LBB10_64
.LBB10_45:
	s_or_b64 exec, exec, s[0:1]
	s_and_saveexec_b64 s[0:1], s[18:19]
	s_cbranch_execnz .LBB10_65
.LBB10_46:
	s_or_b64 exec, exec, s[0:1]
	s_and_saveexec_b64 s[0:1], s[20:21]
	s_cbranch_execnz .LBB10_66
.LBB10_47:
	s_or_b64 exec, exec, s[0:1]
	s_and_saveexec_b64 s[0:1], s[22:23]
	s_cbranch_execnz .LBB10_67
.LBB10_48:
	s_or_b64 exec, exec, s[0:1]
	s_and_saveexec_b64 s[0:1], s[24:25]
	s_cbranch_execnz .LBB10_68
.LBB10_49:
	s_or_b64 exec, exec, s[0:1]
	s_and_saveexec_b64 s[0:1], s[26:27]
	s_cbranch_execz .LBB10_51
.LBB10_50:
	s_waitcnt vmcnt(0)
	global_store_short v[0:1], v21, off offset:3584
.LBB10_51:
	s_or_b64 exec, exec, s[0:1]
.LBB10_52:
	s_and_saveexec_b64 s[0:1], s[34:35]
	s_cbranch_execnz .LBB10_54
; %bb.53:
	s_endpgm
.LBB10_54:
	s_add_u32 s0, s28, s30
	s_addc_u32 s1, s29, s31
	s_waitcnt vmcnt(0)
	global_store_short v2, v8, s[0:1] offset:3840
	s_endpgm
.LBB10_55:
	s_waitcnt vmcnt(0)
	global_store_short v[0:1], v6, off
	s_or_b64 exec, exec, s[36:37]
	s_and_saveexec_b64 s[36:37], s[0:1]
	s_cbranch_execz .LBB10_37
.LBB10_56:
	s_waitcnt vmcnt(0)
	global_store_short v[0:1], v7, off offset:256
	s_or_b64 exec, exec, s[36:37]
	s_and_saveexec_b64 s[0:1], s[2:3]
	s_cbranch_execz .LBB10_38
.LBB10_57:
	s_waitcnt vmcnt(0)
	global_store_short v[0:1], v9, off offset:512
	s_or_b64 exec, exec, s[0:1]
	s_and_saveexec_b64 s[0:1], s[4:5]
	s_cbranch_execz .LBB10_39
.LBB10_58:
	s_waitcnt vmcnt(0)
	global_store_short v[0:1], v10, off offset:768
	s_or_b64 exec, exec, s[0:1]
	s_and_saveexec_b64 s[0:1], s[6:7]
	s_cbranch_execz .LBB10_40
.LBB10_59:
	s_waitcnt vmcnt(0)
	global_store_short v[0:1], v11, off offset:1024
	s_or_b64 exec, exec, s[0:1]
	s_and_saveexec_b64 s[0:1], s[8:9]
	s_cbranch_execz .LBB10_41
.LBB10_60:
	s_waitcnt vmcnt(0)
	global_store_short v[0:1], v12, off offset:1280
	s_or_b64 exec, exec, s[0:1]
	s_and_saveexec_b64 s[0:1], s[10:11]
	s_cbranch_execz .LBB10_42
.LBB10_61:
	s_waitcnt vmcnt(0)
	global_store_short v[0:1], v13, off offset:1536
	s_or_b64 exec, exec, s[0:1]
	s_and_saveexec_b64 s[0:1], s[12:13]
	s_cbranch_execz .LBB10_43
.LBB10_62:
	s_waitcnt vmcnt(0)
	global_store_short v[0:1], v14, off offset:1792
	s_or_b64 exec, exec, s[0:1]
	s_and_saveexec_b64 s[0:1], s[14:15]
	s_cbranch_execz .LBB10_44
.LBB10_63:
	s_waitcnt vmcnt(0)
	global_store_short v[0:1], v15, off offset:2048
	s_or_b64 exec, exec, s[0:1]
	s_and_saveexec_b64 s[0:1], s[16:17]
	s_cbranch_execz .LBB10_45
.LBB10_64:
	s_waitcnt vmcnt(0)
	global_store_short v[0:1], v16, off offset:2304
	s_or_b64 exec, exec, s[0:1]
	s_and_saveexec_b64 s[0:1], s[18:19]
	s_cbranch_execz .LBB10_46
.LBB10_65:
	s_waitcnt vmcnt(0)
	global_store_short v[0:1], v17, off offset:2560
	s_or_b64 exec, exec, s[0:1]
	s_and_saveexec_b64 s[0:1], s[20:21]
	s_cbranch_execz .LBB10_47
.LBB10_66:
	s_waitcnt vmcnt(0)
	global_store_short v[0:1], v18, off offset:2816
	s_or_b64 exec, exec, s[0:1]
	s_and_saveexec_b64 s[0:1], s[22:23]
	s_cbranch_execz .LBB10_48
.LBB10_67:
	s_waitcnt vmcnt(0)
	global_store_short v[0:1], v19, off offset:3072
	s_or_b64 exec, exec, s[0:1]
	s_and_saveexec_b64 s[0:1], s[24:25]
	s_cbranch_execz .LBB10_49
.LBB10_68:
	s_waitcnt vmcnt(0)
	global_store_short v[0:1], v20, off offset:3328
	s_or_b64 exec, exec, s[0:1]
	s_and_saveexec_b64 s[0:1], s[26:27]
	s_cbranch_execnz .LBB10_50
	s_branch .LBB10_51
	.section	.rodata,"a",@progbits
	.p2align	6, 0x0
	.amdhsa_kernel _ZN7rocprim6detail16transform_kernelINS0_24wrapped_transform_configINS_14default_configE6__halfEES4_PS4_S6_NS_8identityIS4_EEEEvT1_mT2_T3_
		.amdhsa_group_segment_fixed_size 0
		.amdhsa_private_segment_fixed_size 0
		.amdhsa_kernarg_size 288
		.amdhsa_user_sgpr_count 2
		.amdhsa_user_sgpr_dispatch_ptr 0
		.amdhsa_user_sgpr_queue_ptr 0
		.amdhsa_user_sgpr_kernarg_segment_ptr 1
		.amdhsa_user_sgpr_dispatch_id 0
		.amdhsa_user_sgpr_kernarg_preload_length 0
		.amdhsa_user_sgpr_kernarg_preload_offset 0
		.amdhsa_user_sgpr_private_segment_size 0
		.amdhsa_uses_dynamic_stack 0
		.amdhsa_enable_private_segment 0
		.amdhsa_system_sgpr_workgroup_id_x 1
		.amdhsa_system_sgpr_workgroup_id_y 0
		.amdhsa_system_sgpr_workgroup_id_z 0
		.amdhsa_system_sgpr_workgroup_info 0
		.amdhsa_system_vgpr_workitem_id 0
		.amdhsa_next_free_vgpr 22
		.amdhsa_next_free_sgpr 38
		.amdhsa_accum_offset 24
		.amdhsa_reserve_vcc 1
		.amdhsa_float_round_mode_32 0
		.amdhsa_float_round_mode_16_64 0
		.amdhsa_float_denorm_mode_32 3
		.amdhsa_float_denorm_mode_16_64 3
		.amdhsa_dx10_clamp 1
		.amdhsa_ieee_mode 1
		.amdhsa_fp16_overflow 0
		.amdhsa_tg_split 0
		.amdhsa_exception_fp_ieee_invalid_op 0
		.amdhsa_exception_fp_denorm_src 0
		.amdhsa_exception_fp_ieee_div_zero 0
		.amdhsa_exception_fp_ieee_overflow 0
		.amdhsa_exception_fp_ieee_underflow 0
		.amdhsa_exception_fp_ieee_inexact 0
		.amdhsa_exception_int_div_zero 0
	.end_amdhsa_kernel
	.section	.text._ZN7rocprim6detail16transform_kernelINS0_24wrapped_transform_configINS_14default_configE6__halfEES4_PS4_S6_NS_8identityIS4_EEEEvT1_mT2_T3_,"axG",@progbits,_ZN7rocprim6detail16transform_kernelINS0_24wrapped_transform_configINS_14default_configE6__halfEES4_PS4_S6_NS_8identityIS4_EEEEvT1_mT2_T3_,comdat
.Lfunc_end10:
	.size	_ZN7rocprim6detail16transform_kernelINS0_24wrapped_transform_configINS_14default_configE6__halfEES4_PS4_S6_NS_8identityIS4_EEEEvT1_mT2_T3_, .Lfunc_end10-_ZN7rocprim6detail16transform_kernelINS0_24wrapped_transform_configINS_14default_configE6__halfEES4_PS4_S6_NS_8identityIS4_EEEEvT1_mT2_T3_
                                        ; -- End function
	.section	.AMDGPU.csdata,"",@progbits
; Kernel info:
; codeLenInByte = 1568
; NumSgprs: 44
; NumVgprs: 22
; NumAgprs: 0
; TotalNumVgprs: 22
; ScratchSize: 0
; MemoryBound: 0
; FloatMode: 240
; IeeeMode: 1
; LDSByteSize: 0 bytes/workgroup (compile time only)
; SGPRBlocks: 5
; VGPRBlocks: 2
; NumSGPRsForWavesPerEU: 44
; NumVGPRsForWavesPerEU: 22
; AccumOffset: 24
; Occupancy: 8
; WaveLimiterHint : 1
; COMPUTE_PGM_RSRC2:SCRATCH_EN: 0
; COMPUTE_PGM_RSRC2:USER_SGPR: 2
; COMPUTE_PGM_RSRC2:TRAP_HANDLER: 0
; COMPUTE_PGM_RSRC2:TGID_X_EN: 1
; COMPUTE_PGM_RSRC2:TGID_Y_EN: 0
; COMPUTE_PGM_RSRC2:TGID_Z_EN: 0
; COMPUTE_PGM_RSRC2:TIDIG_COMP_CNT: 0
; COMPUTE_PGM_RSRC3_GFX90A:ACCUM_OFFSET: 5
; COMPUTE_PGM_RSRC3_GFX90A:TG_SPLIT: 0
	.section	.text._ZN7rocprim6detail18single_scan_kernelILb0ENS0_19wrapped_scan_configINS_14default_configE6__halfEEPS4_S6_N6hipcub3MaxES4_S4_EEvT1_mT4_T2_T3_,"axG",@progbits,_ZN7rocprim6detail18single_scan_kernelILb0ENS0_19wrapped_scan_configINS_14default_configE6__halfEEPS4_S6_N6hipcub3MaxES4_S4_EEvT1_mT4_T2_T3_,comdat
	.protected	_ZN7rocprim6detail18single_scan_kernelILb0ENS0_19wrapped_scan_configINS_14default_configE6__halfEEPS4_S6_N6hipcub3MaxES4_S4_EEvT1_mT4_T2_T3_ ; -- Begin function _ZN7rocprim6detail18single_scan_kernelILb0ENS0_19wrapped_scan_configINS_14default_configE6__halfEEPS4_S6_N6hipcub3MaxES4_S4_EEvT1_mT4_T2_T3_
	.globl	_ZN7rocprim6detail18single_scan_kernelILb0ENS0_19wrapped_scan_configINS_14default_configE6__halfEEPS4_S6_N6hipcub3MaxES4_S4_EEvT1_mT4_T2_T3_
	.p2align	8
	.type	_ZN7rocprim6detail18single_scan_kernelILb0ENS0_19wrapped_scan_configINS_14default_configE6__halfEEPS4_S6_N6hipcub3MaxES4_S4_EEvT1_mT4_T2_T3_,@function
_ZN7rocprim6detail18single_scan_kernelILb0ENS0_19wrapped_scan_configINS_14default_configE6__halfEEPS4_S6_N6hipcub3MaxES4_S4_EEvT1_mT4_T2_T3_: ; @_ZN7rocprim6detail18single_scan_kernelILb0ENS0_19wrapped_scan_configINS_14default_configE6__halfEEPS4_S6_N6hipcub3MaxES4_S4_EEvT1_mT4_T2_T3_
; %bb.0:
	s_load_dwordx4 s[48:51], s[0:1], 0x0
	v_mov_b32_e32 v15, 0
	v_lshlrev_b32_e32 v14, 1, v0
	s_waitcnt lgkmcnt(0)
	global_load_ushort v1, v15, s[48:49]
	v_lshl_add_u64 v[2:3], s[48:49], 0, v[14:15]
	v_cmp_gt_u32_e64 s[48:49], s50, v0
	s_waitcnt vmcnt(0)
	v_mov_b32_e32 v4, v1
	s_and_saveexec_b64 s[2:3], s[48:49]
	s_cbranch_execz .LBB11_2
; %bb.1:
	global_load_ushort v4, v[2:3], off
.LBB11_2:
	s_or_b64 exec, exec, s[2:3]
	v_or_b32_e32 v5, 0x100, v0
	v_cmp_gt_u32_e64 s[2:3], s50, v5
	v_mov_b32_e32 v5, v1
	s_and_saveexec_b64 s[4:5], s[2:3]
	s_cbranch_execz .LBB11_4
; %bb.3:
	global_load_ushort v5, v[2:3], off offset:512
.LBB11_4:
	s_or_b64 exec, exec, s[4:5]
	v_or_b32_e32 v6, 0x200, v0
	v_cmp_gt_u32_e64 s[4:5], s50, v6
	v_mov_b32_e32 v6, v1
	s_and_saveexec_b64 s[6:7], s[4:5]
	s_cbranch_execz .LBB11_6
; %bb.5:
	global_load_ushort v6, v[2:3], off offset:1024
.LBB11_6:
	;; [unrolled: 9-line block ×7, first 2 shown]
	s_or_b64 exec, exec, s[16:17]
	v_or_b32_e32 v12, 0x800, v0
	v_cmp_gt_u32_e64 s[16:17], s50, v12
	v_mov_b32_e32 v12, v1
	s_and_saveexec_b64 s[18:19], s[16:17]
	s_cbranch_execz .LBB11_18
; %bb.17:
	v_add_co_u32_e32 v12, vcc, 0x1000, v2
	s_nop 1
	v_addc_co_u32_e32 v13, vcc, 0, v3, vcc
	global_load_ushort v12, v[12:13], off
.LBB11_18:
	s_or_b64 exec, exec, s[18:19]
	v_or_b32_e32 v13, 0x900, v0
	v_cmp_gt_u32_e64 s[18:19], s50, v13
	v_mov_b32_e32 v13, v1
	s_and_saveexec_b64 s[20:21], s[18:19]
	s_cbranch_execz .LBB11_20
; %bb.19:
	v_add_co_u32_e32 v16, vcc, 0x1000, v2
	s_nop 1
	v_addc_co_u32_e32 v17, vcc, 0, v3, vcc
	global_load_ushort v13, v[16:17], off offset:512
.LBB11_20:
	s_or_b64 exec, exec, s[20:21]
	v_or_b32_e32 v15, 0xa00, v0
	v_cmp_gt_u32_e64 s[20:21], s50, v15
	v_mov_b32_e32 v15, v1
	s_and_saveexec_b64 s[22:23], s[20:21]
	s_cbranch_execz .LBB11_22
; %bb.21:
	v_add_co_u32_e32 v16, vcc, 0x1000, v2
	s_nop 1
	v_addc_co_u32_e32 v17, vcc, 0, v3, vcc
	global_load_ushort v15, v[16:17], off offset:1024
.LBB11_22:
	;; [unrolled: 12-line block ×7, first 2 shown]
	s_or_b64 exec, exec, s[34:35]
	v_or_b32_e32 v21, 0x1000, v0
	v_cmp_gt_u32_e64 s[34:35], s50, v21
	v_mov_b32_e32 v21, v1
	s_and_saveexec_b64 s[36:37], s[34:35]
	s_cbranch_execz .LBB11_34
; %bb.33:
	v_add_co_u32_e32 v22, vcc, 0x2000, v2
	s_nop 1
	v_addc_co_u32_e32 v23, vcc, 0, v3, vcc
	global_load_ushort v21, v[22:23], off
.LBB11_34:
	s_or_b64 exec, exec, s[36:37]
	v_or_b32_e32 v22, 0x1100, v0
	v_cmp_gt_u32_e64 s[36:37], s50, v22
	v_mov_b32_e32 v22, v1
	s_and_saveexec_b64 s[38:39], s[36:37]
	s_cbranch_execz .LBB11_36
; %bb.35:
	v_add_co_u32_e32 v22, vcc, 0x2000, v2
	s_nop 1
	v_addc_co_u32_e32 v23, vcc, 0, v3, vcc
	global_load_ushort v22, v[22:23], off offset:512
.LBB11_36:
	s_or_b64 exec, exec, s[38:39]
	v_or_b32_e32 v23, 0x1200, v0
	v_cmp_gt_u32_e64 s[38:39], s50, v23
	v_mov_b32_e32 v23, v1
	s_and_saveexec_b64 s[40:41], s[38:39]
	s_cbranch_execz .LBB11_38
; %bb.37:
	v_add_co_u32_e32 v24, vcc, 0x2000, v2
	s_nop 1
	v_addc_co_u32_e32 v25, vcc, 0, v3, vcc
	global_load_ushort v23, v[24:25], off offset:1024
.LBB11_38:
	;; [unrolled: 12-line block ×6, first 2 shown]
	s_or_b64 exec, exec, s[52:53]
	v_or_b32_e32 v28, 0x1700, v0
	v_cmp_gt_u32_e64 s[50:51], s50, v28
	s_and_saveexec_b64 s[52:53], s[50:51]
	s_cbranch_execz .LBB11_48
; %bb.47:
	v_add_co_u32_e32 v2, vcc, 0x2000, v2
	s_nop 1
	v_addc_co_u32_e32 v3, vcc, 0, v3, vcc
	global_load_ushort v1, v[2:3], off offset:3584
.LBB11_48:
	s_or_b64 exec, exec, s[52:53]
	s_waitcnt vmcnt(0)
	ds_write_b16 v14, v4
	ds_write_b16 v14, v5 offset:512
	ds_write_b16 v14, v6 offset:1024
	;; [unrolled: 1-line block ×23, first 2 shown]
	v_mad_u32_u24 v1, v0, 46, v14
	s_waitcnt lgkmcnt(0)
	s_barrier
	ds_read_b128 v[10:13], v1
	ds_read_b128 v[6:9], v1 offset:16
	ds_read_b128 v[2:5], v1 offset:32
	s_waitcnt lgkmcnt(0)
	s_barrier
	v_lshrrev_b32_e32 v26, 16, v10
	v_cmp_lt_f16_e32 vcc, v10, v26
	v_lshrrev_b32_e32 v25, 16, v11
	v_lshrrev_b32_e32 v24, 16, v12
	v_cndmask_b32_e32 v27, v10, v26, vcc
	v_cmp_lt_f16_e32 vcc, v27, v11
	v_lshrrev_b32_e32 v23, 16, v13
	v_lshrrev_b32_e32 v22, 16, v6
	v_cndmask_b32_e32 v27, v27, v11, vcc
	;; [unrolled: 4-line block ×5, first 2 shown]
	v_cmp_lt_f16_e32 vcc, v27, v13
	v_lshrrev_b32_e32 v15, 16, v5
	s_nop 0
	v_cndmask_b32_e32 v27, v27, v13, vcc
	v_cmp_lt_f16_e32 vcc, v27, v23
	s_nop 1
	v_cndmask_b32_e32 v27, v27, v23, vcc
	v_cmp_lt_f16_e32 vcc, v27, v6
	;; [unrolled: 3-line block ×17, first 2 shown]
	s_nop 1
	v_cndmask_b32_e32 v28, v27, v15, vcc
	v_mbcnt_lo_u32_b32 v27, -1, 0
	v_mbcnt_hi_u32_b32 v27, -1, v27
	v_and_b32_e32 v30, 0xffff, v28
	v_and_b32_e32 v29, 15, v27
	v_cmp_eq_u32_e32 vcc, 0, v29
	v_mov_b32_dpp v30, v30 row_shr:1 row_mask:0xf bank_mask:0xf
	v_cmp_gt_f16_e64 s[52:53], v28, v30
	s_or_b64 vcc, vcc, s[52:53]
	v_cndmask_b32_e32 v28, v30, v28, vcc
	v_and_b32_e32 v30, 0xffff, v28
	s_nop 1
	v_mov_b32_dpp v30, v30 row_shr:2 row_mask:0xf bank_mask:0xf
	v_cmp_gt_f16_e32 vcc, v28, v30
	s_nop 1
	v_cndmask_b32_e32 v30, v30, v28, vcc
	v_cmp_lt_u32_e32 vcc, 1, v29
	s_nop 1
	v_cndmask_b32_e32 v28, v28, v30, vcc
	v_and_b32_e32 v30, 0xffff, v28
	s_nop 1
	v_mov_b32_dpp v30, v30 row_shr:4 row_mask:0xf bank_mask:0xf
	v_cmp_gt_f16_e32 vcc, v28, v30
	s_nop 1
	v_cndmask_b32_e32 v30, v30, v28, vcc
	v_cmp_lt_u32_e32 vcc, 3, v29
	s_nop 1
	;; [unrolled: 9-line block ×3, first 2 shown]
	v_cndmask_b32_e32 v28, v28, v30, vcc
	v_and_b32_e32 v29, 0xffff, v28
	v_and_b32_e32 v30, 16, v27
	v_cmp_eq_u32_e32 vcc, 0, v30
	v_mov_b32_dpp v29, v29 row_bcast:15 row_mask:0xf bank_mask:0xf
	v_cmp_gt_f16_e64 s[52:53], v28, v29
	s_or_b64 vcc, vcc, s[52:53]
	v_cndmask_b32_e32 v28, v29, v28, vcc
	v_and_b32_e32 v29, 0xffff, v28
	v_or_b32_e32 v30, 63, v0
	s_nop 0
	v_mov_b32_dpp v29, v29 row_bcast:31 row_mask:0xf bank_mask:0xf
	v_cmp_gt_f16_e32 vcc, v28, v29
	s_nop 1
	v_cndmask_b32_e32 v29, v29, v28, vcc
	v_cmp_lt_u32_e32 vcc, 31, v27
	s_nop 1
	v_cndmask_b32_e32 v28, v28, v29, vcc
	v_lshrrev_b32_e32 v29, 6, v0
	v_cmp_eq_u32_e32 vcc, v30, v0
	s_and_saveexec_b64 s[52:53], vcc
	s_cbranch_execz .LBB11_50
; %bb.49:
	v_lshlrev_b32_e32 v30, 1, v29
	ds_write_b16 v30, v28
.LBB11_50:
	s_or_b64 exec, exec, s[52:53]
	v_cmp_gt_u32_e32 vcc, 4, v0
	s_waitcnt lgkmcnt(0)
	s_barrier
	s_and_saveexec_b64 s[54:55], vcc
	s_cbranch_execz .LBB11_52
; %bb.51:
	ds_read_u16 v30, v14
	v_and_b32_e32 v31, 3, v27
	v_cmp_eq_u32_e32 vcc, 0, v31
	s_waitcnt lgkmcnt(0)
	v_and_b32_e32 v32, 0xffff, v30
	s_nop 1
	v_mov_b32_dpp v32, v32 row_shr:1 row_mask:0xf bank_mask:0xf
	v_cmp_lt_f16_e64 s[52:53], v32, v30
	s_or_b64 vcc, vcc, s[52:53]
	v_cndmask_b32_e32 v30, v32, v30, vcc
	v_and_b32_e32 v32, 0xffff, v30
	s_nop 1
	v_mov_b32_dpp v32, v32 row_shr:2 row_mask:0xf bank_mask:0xf
	v_cmp_gt_f16_e32 vcc, v30, v32
	s_nop 1
	v_cndmask_b32_e32 v32, v32, v30, vcc
	v_cmp_lt_u32_e32 vcc, 1, v31
	s_nop 1
	v_cndmask_b32_e32 v30, v30, v32, vcc
	ds_write_b16 v14, v30
.LBB11_52:
	s_or_b64 exec, exec, s[54:55]
	v_cmp_lt_u32_e32 vcc, 63, v0
	s_waitcnt lgkmcnt(0)
	s_barrier
	s_waitcnt lgkmcnt(0)
                                        ; implicit-def: $vgpr30
	s_and_saveexec_b64 s[52:53], vcc
	s_cbranch_execz .LBB11_54
; %bb.53:
	v_lshl_add_u32 v29, v29, 1, -2
	ds_read_u16 v30, v29
	s_waitcnt lgkmcnt(0)
	v_cmp_lt_f16_e32 vcc, v30, v28
	s_nop 1
	v_cndmask_b32_e32 v28, v30, v28, vcc
.LBB11_54:
	s_or_b64 exec, exec, s[52:53]
	v_add_u32_e32 v29, -1, v27
	v_and_b32_e32 v31, 64, v27
	v_cmp_lt_i32_e32 vcc, v29, v31
	v_and_b32_e32 v28, 0xffff, v28
	s_load_dwordx2 s[52:53], s[0:1], 0x18
	v_cndmask_b32_e32 v29, v29, v27, vcc
	v_lshlrev_b32_e32 v29, 2, v29
	ds_bpermute_b32 v28, v29, v28
	v_cmp_eq_u32_e64 s[0:1], 0, v27
	v_cmp_eq_u32_e32 vcc, 0, v0
	s_waitcnt lgkmcnt(0)
	s_barrier
	v_cndmask_b32_e64 v27, v28, v30, s[0:1]
	v_cmp_gt_f16_e64 s[0:1], v10, v27
	s_or_b64 vcc, vcc, s[0:1]
	v_cndmask_b32_e32 v10, v27, v10, vcc
	v_cmp_lt_f16_e32 vcc, v10, v26
	s_mov_b32 s0, 0x5040100
	s_nop 0
	v_cndmask_b32_e32 v26, v10, v26, vcc
	v_cmp_lt_f16_e32 vcc, v26, v11
	s_nop 1
	v_cndmask_b32_e32 v11, v26, v11, vcc
	v_cmp_lt_f16_e32 vcc, v11, v25
	;; [unrolled: 3-line block ×16, first 2 shown]
	v_perm_b32 v2, v26, v10, s0
	s_nop 0
	v_cndmask_b32_e32 v18, v27, v18, vcc
	v_cmp_lt_f16_e32 vcc, v18, v3
	s_nop 1
	v_cndmask_b32_e32 v28, v18, v3, vcc
	v_cmp_lt_f16_e32 vcc, v28, v17
	v_perm_b32 v3, v25, v11, s0
	s_nop 0
	v_cndmask_b32_e32 v17, v28, v17, vcc
	v_cmp_lt_f16_e32 vcc, v17, v4
	s_nop 1
	v_cndmask_b32_e32 v29, v17, v4, vcc
	v_cmp_lt_f16_e32 vcc, v29, v16
	;; [unrolled: 7-line block ×3, first 2 shown]
	v_perm_b32 v5, v23, v13, s0
	ds_write_b128 v1, v[2:5]
	v_cndmask_b32_e32 v15, v30, v15, vcc
	v_perm_b32 v5, v19, v9, s0
	v_perm_b32 v4, v20, v8, s0
	;; [unrolled: 1-line block ×4, first 2 shown]
	ds_write_b128 v1, v[2:5] offset:16
	v_perm_b32 v5, v15, v30, s0
	v_perm_b32 v4, v16, v29, s0
	;; [unrolled: 1-line block ×4, first 2 shown]
	s_movk_i32 s0, 0xffd2
	v_mad_i32_i24 v0, v0, s0, v1
	ds_write_b128 v1, v[2:5] offset:32
	s_waitcnt lgkmcnt(0)
	s_barrier
	ds_read_u16 v25, v0 offset:512
	ds_read_u16 v24, v0 offset:1024
	;; [unrolled: 1-line block ×23, first 2 shown]
	v_mov_b32_e32 v15, 0
	v_lshl_add_u64 v[0:1], s[52:53], 0, v[14:15]
	s_and_saveexec_b64 s[0:1], s[48:49]
	s_cbranch_execnz .LBB11_79
; %bb.55:
	s_or_b64 exec, exec, s[0:1]
	s_and_saveexec_b64 s[0:1], s[2:3]
	s_cbranch_execnz .LBB11_80
.LBB11_56:
	s_or_b64 exec, exec, s[0:1]
	s_and_saveexec_b64 s[0:1], s[4:5]
	s_cbranch_execnz .LBB11_81
.LBB11_57:
	s_or_b64 exec, exec, s[0:1]
	s_and_saveexec_b64 s[0:1], s[6:7]
	s_cbranch_execnz .LBB11_82
.LBB11_58:
	s_or_b64 exec, exec, s[0:1]
	s_and_saveexec_b64 s[0:1], s[8:9]
	s_cbranch_execnz .LBB11_83
.LBB11_59:
	s_or_b64 exec, exec, s[0:1]
	s_and_saveexec_b64 s[0:1], s[10:11]
	s_cbranch_execnz .LBB11_84
.LBB11_60:
	s_or_b64 exec, exec, s[0:1]
	s_and_saveexec_b64 s[0:1], s[12:13]
	s_cbranch_execnz .LBB11_85
.LBB11_61:
	s_or_b64 exec, exec, s[0:1]
	s_and_saveexec_b64 s[0:1], s[14:15]
	s_cbranch_execnz .LBB11_86
.LBB11_62:
	s_or_b64 exec, exec, s[0:1]
	s_and_saveexec_b64 s[0:1], s[16:17]
	s_cbranch_execnz .LBB11_87
.LBB11_63:
	s_or_b64 exec, exec, s[0:1]
	s_and_saveexec_b64 s[0:1], s[18:19]
	s_cbranch_execnz .LBB11_88
.LBB11_64:
	s_or_b64 exec, exec, s[0:1]
	s_and_saveexec_b64 s[0:1], s[20:21]
	s_cbranch_execnz .LBB11_89
.LBB11_65:
	s_or_b64 exec, exec, s[0:1]
	s_and_saveexec_b64 s[0:1], s[22:23]
	s_cbranch_execnz .LBB11_90
.LBB11_66:
	s_or_b64 exec, exec, s[0:1]
	s_and_saveexec_b64 s[0:1], s[24:25]
	s_cbranch_execnz .LBB11_91
.LBB11_67:
	s_or_b64 exec, exec, s[0:1]
	s_and_saveexec_b64 s[0:1], s[26:27]
	s_cbranch_execnz .LBB11_92
.LBB11_68:
	s_or_b64 exec, exec, s[0:1]
	s_and_saveexec_b64 s[0:1], s[28:29]
	s_cbranch_execnz .LBB11_93
.LBB11_69:
	s_or_b64 exec, exec, s[0:1]
	s_and_saveexec_b64 s[0:1], s[30:31]
	s_cbranch_execnz .LBB11_94
.LBB11_70:
	s_or_b64 exec, exec, s[0:1]
	s_and_saveexec_b64 s[0:1], s[34:35]
	s_cbranch_execnz .LBB11_95
.LBB11_71:
	s_or_b64 exec, exec, s[0:1]
	s_and_saveexec_b64 s[0:1], s[36:37]
	s_cbranch_execnz .LBB11_96
.LBB11_72:
	s_or_b64 exec, exec, s[0:1]
	s_and_saveexec_b64 s[0:1], s[38:39]
	s_cbranch_execnz .LBB11_97
.LBB11_73:
	s_or_b64 exec, exec, s[0:1]
	s_and_saveexec_b64 s[0:1], s[40:41]
	s_cbranch_execnz .LBB11_98
.LBB11_74:
	s_or_b64 exec, exec, s[0:1]
	s_and_saveexec_b64 s[0:1], s[42:43]
	s_cbranch_execnz .LBB11_99
.LBB11_75:
	s_or_b64 exec, exec, s[0:1]
	s_and_saveexec_b64 s[0:1], s[44:45]
	s_cbranch_execnz .LBB11_100
.LBB11_76:
	s_or_b64 exec, exec, s[0:1]
	s_and_saveexec_b64 s[0:1], s[46:47]
	s_cbranch_execnz .LBB11_101
.LBB11_77:
	s_or_b64 exec, exec, s[0:1]
	s_and_saveexec_b64 s[0:1], s[50:51]
	s_cbranch_execnz .LBB11_102
.LBB11_78:
	s_endpgm
.LBB11_79:
	ds_read_u16 v14, v14
	s_waitcnt lgkmcnt(0)
	global_store_short v[0:1], v14, off
	s_or_b64 exec, exec, s[0:1]
	s_and_saveexec_b64 s[0:1], s[2:3]
	s_cbranch_execz .LBB11_56
.LBB11_80:
	s_waitcnt lgkmcnt(14)
	global_store_short v[0:1], v25, off offset:512
	s_or_b64 exec, exec, s[0:1]
	s_and_saveexec_b64 s[0:1], s[4:5]
	s_cbranch_execz .LBB11_57
.LBB11_81:
	s_waitcnt lgkmcnt(14)
	global_store_short v[0:1], v24, off offset:1024
	s_or_b64 exec, exec, s[0:1]
	s_and_saveexec_b64 s[0:1], s[6:7]
	s_cbranch_execz .LBB11_58
.LBB11_82:
	s_waitcnt lgkmcnt(14)
	global_store_short v[0:1], v23, off offset:1536
	s_or_b64 exec, exec, s[0:1]
	s_and_saveexec_b64 s[0:1], s[8:9]
	s_cbranch_execz .LBB11_59
.LBB11_83:
	s_waitcnt lgkmcnt(1)
	global_store_short v[0:1], v26, off offset:2048
	s_or_b64 exec, exec, s[0:1]
	s_and_saveexec_b64 s[0:1], s[10:11]
	s_cbranch_execz .LBB11_60
.LBB11_84:
	s_waitcnt lgkmcnt(14)
	global_store_short v[0:1], v22, off offset:2560
	s_or_b64 exec, exec, s[0:1]
	s_and_saveexec_b64 s[0:1], s[12:13]
	s_cbranch_execz .LBB11_61
.LBB11_85:
	s_waitcnt lgkmcnt(14)
	global_store_short v[0:1], v21, off offset:3072
	s_or_b64 exec, exec, s[0:1]
	s_and_saveexec_b64 s[0:1], s[14:15]
	s_cbranch_execz .LBB11_62
.LBB11_86:
	s_waitcnt lgkmcnt(14)
	global_store_short v[0:1], v20, off offset:3584
	s_or_b64 exec, exec, s[0:1]
	s_and_saveexec_b64 s[0:1], s[16:17]
	s_cbranch_execz .LBB11_63
.LBB11_87:
	v_add_co_u32_e32 v14, vcc, 0x1000, v0
	s_nop 1
	v_addc_co_u32_e32 v15, vcc, 0, v1, vcc
	s_waitcnt lgkmcnt(14)
	global_store_short v[14:15], v19, off
	s_or_b64 exec, exec, s[0:1]
	s_and_saveexec_b64 s[0:1], s[18:19]
	s_cbranch_execz .LBB11_64
.LBB11_88:
	v_add_co_u32_e32 v14, vcc, 0x1000, v0
	s_nop 1
	v_addc_co_u32_e32 v15, vcc, 0, v1, vcc
	s_waitcnt lgkmcnt(14)
	global_store_short v[14:15], v18, off offset:512
	s_or_b64 exec, exec, s[0:1]
	s_and_saveexec_b64 s[0:1], s[20:21]
	s_cbranch_execz .LBB11_65
.LBB11_89:
	v_add_co_u32_e32 v14, vcc, 0x1000, v0
	s_nop 1
	v_addc_co_u32_e32 v15, vcc, 0, v1, vcc
	s_waitcnt lgkmcnt(14)
	global_store_short v[14:15], v17, off offset:1024
	s_or_b64 exec, exec, s[0:1]
	s_and_saveexec_b64 s[0:1], s[22:23]
	s_cbranch_execz .LBB11_66
.LBB11_90:
	v_add_co_u32_e32 v14, vcc, 0x1000, v0
	s_nop 1
	v_addc_co_u32_e32 v15, vcc, 0, v1, vcc
	s_waitcnt lgkmcnt(10)
	global_store_short v[14:15], v16, off offset:1536
	s_or_b64 exec, exec, s[0:1]
	s_and_saveexec_b64 s[0:1], s[24:25]
	s_cbranch_execz .LBB11_67
.LBB11_91:
	v_add_co_u32_e32 v14, vcc, 0x1000, v0
	s_nop 1
	v_addc_co_u32_e32 v15, vcc, 0, v1, vcc
	s_waitcnt lgkmcnt(13)
	global_store_short v[14:15], v13, off offset:2048
	s_or_b64 exec, exec, s[0:1]
	s_and_saveexec_b64 s[0:1], s[26:27]
	s_cbranch_execz .LBB11_68
.LBB11_92:
	v_add_co_u32_e32 v14, vcc, 0x1000, v0
	s_nop 1
	v_addc_co_u32_e32 v15, vcc, 0, v1, vcc
	s_waitcnt lgkmcnt(9)
	global_store_short v[14:15], v12, off offset:2560
	s_or_b64 exec, exec, s[0:1]
	s_and_saveexec_b64 s[0:1], s[28:29]
	s_cbranch_execz .LBB11_69
.LBB11_93:
	s_waitcnt lgkmcnt(9)
	v_add_co_u32_e32 v12, vcc, 0x1000, v0
	s_nop 1
	v_addc_co_u32_e32 v13, vcc, 0, v1, vcc
	s_waitcnt lgkmcnt(8)
	global_store_short v[12:13], v11, off offset:3072
	s_or_b64 exec, exec, s[0:1]
	s_and_saveexec_b64 s[0:1], s[30:31]
	s_cbranch_execz .LBB11_70
.LBB11_94:
	s_waitcnt lgkmcnt(9)
	v_add_co_u32_e32 v12, vcc, 0x1000, v0
	s_nop 1
	v_addc_co_u32_e32 v13, vcc, 0, v1, vcc
	s_waitcnt lgkmcnt(7)
	global_store_short v[12:13], v10, off offset:3584
	s_or_b64 exec, exec, s[0:1]
	s_and_saveexec_b64 s[0:1], s[34:35]
	s_cbranch_execz .LBB11_71
.LBB11_95:
	s_waitcnt lgkmcnt(7)
	v_add_co_u32_e32 v10, vcc, 0x2000, v0
	s_nop 1
	v_addc_co_u32_e32 v11, vcc, 0, v1, vcc
	global_store_short v[10:11], v9, off
	s_or_b64 exec, exec, s[0:1]
	s_and_saveexec_b64 s[0:1], s[36:37]
	s_cbranch_execz .LBB11_72
.LBB11_96:
	s_waitcnt lgkmcnt(7)
	v_add_co_u32_e32 v10, vcc, 0x2000, v0
	s_nop 1
	v_addc_co_u32_e32 v11, vcc, 0, v1, vcc
	s_waitcnt lgkmcnt(6)
	global_store_short v[10:11], v8, off offset:512
	s_or_b64 exec, exec, s[0:1]
	s_and_saveexec_b64 s[0:1], s[38:39]
	s_cbranch_execz .LBB11_73
.LBB11_97:
	s_waitcnt lgkmcnt(6)
	v_add_co_u32_e32 v8, vcc, 0x2000, v0
	s_nop 1
	v_addc_co_u32_e32 v9, vcc, 0, v1, vcc
	s_waitcnt lgkmcnt(5)
	global_store_short v[8:9], v7, off offset:1024
	s_or_b64 exec, exec, s[0:1]
	s_and_saveexec_b64 s[0:1], s[40:41]
	s_cbranch_execz .LBB11_74
.LBB11_98:
	s_waitcnt lgkmcnt(6)
	v_add_co_u32_e32 v8, vcc, 0x2000, v0
	s_nop 1
	v_addc_co_u32_e32 v9, vcc, 0, v1, vcc
	s_waitcnt lgkmcnt(4)
	global_store_short v[8:9], v6, off offset:1536
	s_or_b64 exec, exec, s[0:1]
	s_and_saveexec_b64 s[0:1], s[42:43]
	s_cbranch_execz .LBB11_75
.LBB11_99:
	s_waitcnt lgkmcnt(4)
	v_add_co_u32_e32 v6, vcc, 0x2000, v0
	s_nop 1
	v_addc_co_u32_e32 v7, vcc, 0, v1, vcc
	global_store_short v[6:7], v5, off offset:2048
	s_or_b64 exec, exec, s[0:1]
	s_and_saveexec_b64 s[0:1], s[44:45]
	s_cbranch_execz .LBB11_76
.LBB11_100:
	s_waitcnt lgkmcnt(4)
	v_add_co_u32_e32 v6, vcc, 0x2000, v0
	s_nop 1
	v_addc_co_u32_e32 v7, vcc, 0, v1, vcc
	s_waitcnt lgkmcnt(3)
	global_store_short v[6:7], v4, off offset:2560
	s_or_b64 exec, exec, s[0:1]
	s_and_saveexec_b64 s[0:1], s[46:47]
	s_cbranch_execz .LBB11_77
.LBB11_101:
	s_waitcnt lgkmcnt(3)
	v_add_co_u32_e32 v4, vcc, 0x2000, v0
	s_nop 1
	v_addc_co_u32_e32 v5, vcc, 0, v1, vcc
	s_waitcnt lgkmcnt(2)
	global_store_short v[4:5], v3, off offset:3072
	s_or_b64 exec, exec, s[0:1]
	s_and_saveexec_b64 s[0:1], s[50:51]
	s_cbranch_execz .LBB11_78
.LBB11_102:
	v_add_co_u32_e32 v0, vcc, 0x2000, v0
	s_nop 1
	v_addc_co_u32_e32 v1, vcc, 0, v1, vcc
	s_waitcnt lgkmcnt(0)
	global_store_short v[0:1], v2, off offset:3584
	s_endpgm
	.section	.rodata,"a",@progbits
	.p2align	6, 0x0
	.amdhsa_kernel _ZN7rocprim6detail18single_scan_kernelILb0ENS0_19wrapped_scan_configINS_14default_configE6__halfEEPS4_S6_N6hipcub3MaxES4_S4_EEvT1_mT4_T2_T3_
		.amdhsa_group_segment_fixed_size 12288
		.amdhsa_private_segment_fixed_size 0
		.amdhsa_kernarg_size 36
		.amdhsa_user_sgpr_count 2
		.amdhsa_user_sgpr_dispatch_ptr 0
		.amdhsa_user_sgpr_queue_ptr 0
		.amdhsa_user_sgpr_kernarg_segment_ptr 1
		.amdhsa_user_sgpr_dispatch_id 0
		.amdhsa_user_sgpr_kernarg_preload_length 0
		.amdhsa_user_sgpr_kernarg_preload_offset 0
		.amdhsa_user_sgpr_private_segment_size 0
		.amdhsa_uses_dynamic_stack 0
		.amdhsa_enable_private_segment 0
		.amdhsa_system_sgpr_workgroup_id_x 1
		.amdhsa_system_sgpr_workgroup_id_y 0
		.amdhsa_system_sgpr_workgroup_id_z 0
		.amdhsa_system_sgpr_workgroup_info 0
		.amdhsa_system_vgpr_workitem_id 0
		.amdhsa_next_free_vgpr 33
		.amdhsa_next_free_sgpr 56
		.amdhsa_accum_offset 36
		.amdhsa_reserve_vcc 1
		.amdhsa_float_round_mode_32 0
		.amdhsa_float_round_mode_16_64 0
		.amdhsa_float_denorm_mode_32 3
		.amdhsa_float_denorm_mode_16_64 3
		.amdhsa_dx10_clamp 1
		.amdhsa_ieee_mode 1
		.amdhsa_fp16_overflow 0
		.amdhsa_tg_split 0
		.amdhsa_exception_fp_ieee_invalid_op 0
		.amdhsa_exception_fp_denorm_src 0
		.amdhsa_exception_fp_ieee_div_zero 0
		.amdhsa_exception_fp_ieee_overflow 0
		.amdhsa_exception_fp_ieee_underflow 0
		.amdhsa_exception_fp_ieee_inexact 0
		.amdhsa_exception_int_div_zero 0
	.end_amdhsa_kernel
	.section	.text._ZN7rocprim6detail18single_scan_kernelILb0ENS0_19wrapped_scan_configINS_14default_configE6__halfEEPS4_S6_N6hipcub3MaxES4_S4_EEvT1_mT4_T2_T3_,"axG",@progbits,_ZN7rocprim6detail18single_scan_kernelILb0ENS0_19wrapped_scan_configINS_14default_configE6__halfEEPS4_S6_N6hipcub3MaxES4_S4_EEvT1_mT4_T2_T3_,comdat
.Lfunc_end11:
	.size	_ZN7rocprim6detail18single_scan_kernelILb0ENS0_19wrapped_scan_configINS_14default_configE6__halfEEPS4_S6_N6hipcub3MaxES4_S4_EEvT1_mT4_T2_T3_, .Lfunc_end11-_ZN7rocprim6detail18single_scan_kernelILb0ENS0_19wrapped_scan_configINS_14default_configE6__halfEEPS4_S6_N6hipcub3MaxES4_S4_EEvT1_mT4_T2_T3_
                                        ; -- End function
	.section	.AMDGPU.csdata,"",@progbits
; Kernel info:
; codeLenInByte = 4144
; NumSgprs: 62
; NumVgprs: 33
; NumAgprs: 0
; TotalNumVgprs: 33
; ScratchSize: 0
; MemoryBound: 0
; FloatMode: 240
; IeeeMode: 1
; LDSByteSize: 12288 bytes/workgroup (compile time only)
; SGPRBlocks: 7
; VGPRBlocks: 4
; NumSGPRsForWavesPerEU: 62
; NumVGPRsForWavesPerEU: 33
; AccumOffset: 36
; Occupancy: 5
; WaveLimiterHint : 0
; COMPUTE_PGM_RSRC2:SCRATCH_EN: 0
; COMPUTE_PGM_RSRC2:USER_SGPR: 2
; COMPUTE_PGM_RSRC2:TRAP_HANDLER: 0
; COMPUTE_PGM_RSRC2:TGID_X_EN: 1
; COMPUTE_PGM_RSRC2:TGID_Y_EN: 0
; COMPUTE_PGM_RSRC2:TGID_Z_EN: 0
; COMPUTE_PGM_RSRC2:TIDIG_COMP_CNT: 0
; COMPUTE_PGM_RSRC3_GFX90A:ACCUM_OFFSET: 8
; COMPUTE_PGM_RSRC3_GFX90A:TG_SPLIT: 0
	.section	.text._ZN7rocprim6detail31init_lookback_scan_state_kernelINS0_19lookback_scan_stateI12hip_bfloat16Lb1ELb1EEEEEvT_jjPNS5_10value_typeE,"axG",@progbits,_ZN7rocprim6detail31init_lookback_scan_state_kernelINS0_19lookback_scan_stateI12hip_bfloat16Lb1ELb1EEEEEvT_jjPNS5_10value_typeE,comdat
	.protected	_ZN7rocprim6detail31init_lookback_scan_state_kernelINS0_19lookback_scan_stateI12hip_bfloat16Lb1ELb1EEEEEvT_jjPNS5_10value_typeE ; -- Begin function _ZN7rocprim6detail31init_lookback_scan_state_kernelINS0_19lookback_scan_stateI12hip_bfloat16Lb1ELb1EEEEEvT_jjPNS5_10value_typeE
	.globl	_ZN7rocprim6detail31init_lookback_scan_state_kernelINS0_19lookback_scan_stateI12hip_bfloat16Lb1ELb1EEEEEvT_jjPNS5_10value_typeE
	.p2align	8
	.type	_ZN7rocprim6detail31init_lookback_scan_state_kernelINS0_19lookback_scan_stateI12hip_bfloat16Lb1ELb1EEEEEvT_jjPNS5_10value_typeE,@function
_ZN7rocprim6detail31init_lookback_scan_state_kernelINS0_19lookback_scan_stateI12hip_bfloat16Lb1ELb1EEEEEvT_jjPNS5_10value_typeE: ; @_ZN7rocprim6detail31init_lookback_scan_state_kernelINS0_19lookback_scan_stateI12hip_bfloat16Lb1ELb1EEEEEvT_jjPNS5_10value_typeE
; %bb.0:
	s_load_dword s3, s[0:1], 0x24
	s_load_dwordx2 s[8:9], s[0:1], 0x10
	s_load_dwordx4 s[4:7], s[0:1], 0x0
	s_waitcnt lgkmcnt(0)
	s_and_b32 s0, s3, 0xffff
	s_mul_i32 s2, s2, s0
	s_cmp_eq_u64 s[8:9], 0
	v_add_u32_e32 v0, s2, v0
	s_cbranch_scc1 .LBB12_9
; %bb.1:
	s_cmp_lt_u32 s7, s6
	s_cselect_b32 s0, s7, 0
	s_mov_b32 s3, 0
	v_cmp_eq_u32_e32 vcc, s0, v0
	s_and_saveexec_b64 s[0:1], vcc
	s_cbranch_execz .LBB12_8
; %bb.2:
	s_add_i32 s2, s7, 64
	s_lshl_b64 s[2:3], s[2:3], 2
	s_add_u32 s2, s4, s2
	s_addc_u32 s3, s5, s3
	v_mov_b32_e32 v1, 0
	global_load_dword v2, v1, s[2:3] sc1
	s_waitcnt vmcnt(0)
	v_and_b32_e32 v3, 0xff0000, v2
	v_cmp_ne_u32_e32 vcc, 0, v3
	s_cbranch_vccnz .LBB12_7
; %bb.3:
	s_mov_b32 s7, 1
.LBB12_4:                               ; =>This Loop Header: Depth=1
                                        ;     Child Loop BB12_5 Depth 2
	s_max_u32 s10, s7, 1
.LBB12_5:                               ;   Parent Loop BB12_4 Depth=1
                                        ; =>  This Inner Loop Header: Depth=2
	s_add_i32 s10, s10, -1
	s_cmp_eq_u32 s10, 0
	s_sleep 1
	s_cbranch_scc0 .LBB12_5
; %bb.6:                                ;   in Loop: Header=BB12_4 Depth=1
	global_load_dword v2, v1, s[2:3] sc1
	s_cmp_lt_u32 s7, 32
	s_cselect_b64 s[10:11], -1, 0
	s_cmp_lg_u64 s[10:11], 0
	s_addc_u32 s7, s7, 0
	s_waitcnt vmcnt(0)
	v_and_b32_e32 v3, 0xff0000, v2
	v_cmp_ne_u32_e32 vcc, 0, v3
	s_cbranch_vccz .LBB12_4
.LBB12_7:
	v_mov_b32_e32 v1, 0
	global_store_short v1, v2, s[8:9]
.LBB12_8:
	s_or_b64 exec, exec, s[0:1]
.LBB12_9:
	v_cmp_gt_u32_e32 vcc, s6, v0
	s_and_saveexec_b64 s[0:1], vcc
	s_cbranch_execnz .LBB12_12
; %bb.10:
	s_or_b64 exec, exec, s[0:1]
	v_cmp_gt_u32_e32 vcc, 64, v0
	s_and_saveexec_b64 s[0:1], vcc
	s_cbranch_execnz .LBB12_13
.LBB12_11:
	s_endpgm
.LBB12_12:
	v_add_u32_e32 v2, 64, v0
	v_mov_b32_e32 v3, 0
	v_lshl_add_u64 v[4:5], v[2:3], 2, s[4:5]
	global_store_dword v[4:5], v3, off
	s_or_b64 exec, exec, s[0:1]
	v_cmp_gt_u32_e32 vcc, 64, v0
	s_and_saveexec_b64 s[0:1], vcc
	s_cbranch_execz .LBB12_11
.LBB12_13:
	v_mov_b32_e32 v1, 0
	v_lshl_add_u64 v[0:1], v[0:1], 2, s[4:5]
	v_mov_b32_e32 v2, 0xff0000
	global_store_dword v[0:1], v2, off
	s_endpgm
	.section	.rodata,"a",@progbits
	.p2align	6, 0x0
	.amdhsa_kernel _ZN7rocprim6detail31init_lookback_scan_state_kernelINS0_19lookback_scan_stateI12hip_bfloat16Lb1ELb1EEEEEvT_jjPNS5_10value_typeE
		.amdhsa_group_segment_fixed_size 0
		.amdhsa_private_segment_fixed_size 0
		.amdhsa_kernarg_size 280
		.amdhsa_user_sgpr_count 2
		.amdhsa_user_sgpr_dispatch_ptr 0
		.amdhsa_user_sgpr_queue_ptr 0
		.amdhsa_user_sgpr_kernarg_segment_ptr 1
		.amdhsa_user_sgpr_dispatch_id 0
		.amdhsa_user_sgpr_kernarg_preload_length 0
		.amdhsa_user_sgpr_kernarg_preload_offset 0
		.amdhsa_user_sgpr_private_segment_size 0
		.amdhsa_uses_dynamic_stack 0
		.amdhsa_enable_private_segment 0
		.amdhsa_system_sgpr_workgroup_id_x 1
		.amdhsa_system_sgpr_workgroup_id_y 0
		.amdhsa_system_sgpr_workgroup_id_z 0
		.amdhsa_system_sgpr_workgroup_info 0
		.amdhsa_system_vgpr_workitem_id 0
		.amdhsa_next_free_vgpr 6
		.amdhsa_next_free_sgpr 12
		.amdhsa_accum_offset 8
		.amdhsa_reserve_vcc 1
		.amdhsa_float_round_mode_32 0
		.amdhsa_float_round_mode_16_64 0
		.amdhsa_float_denorm_mode_32 3
		.amdhsa_float_denorm_mode_16_64 3
		.amdhsa_dx10_clamp 1
		.amdhsa_ieee_mode 1
		.amdhsa_fp16_overflow 0
		.amdhsa_tg_split 0
		.amdhsa_exception_fp_ieee_invalid_op 0
		.amdhsa_exception_fp_denorm_src 0
		.amdhsa_exception_fp_ieee_div_zero 0
		.amdhsa_exception_fp_ieee_overflow 0
		.amdhsa_exception_fp_ieee_underflow 0
		.amdhsa_exception_fp_ieee_inexact 0
		.amdhsa_exception_int_div_zero 0
	.end_amdhsa_kernel
	.section	.text._ZN7rocprim6detail31init_lookback_scan_state_kernelINS0_19lookback_scan_stateI12hip_bfloat16Lb1ELb1EEEEEvT_jjPNS5_10value_typeE,"axG",@progbits,_ZN7rocprim6detail31init_lookback_scan_state_kernelINS0_19lookback_scan_stateI12hip_bfloat16Lb1ELb1EEEEEvT_jjPNS5_10value_typeE,comdat
.Lfunc_end12:
	.size	_ZN7rocprim6detail31init_lookback_scan_state_kernelINS0_19lookback_scan_stateI12hip_bfloat16Lb1ELb1EEEEEvT_jjPNS5_10value_typeE, .Lfunc_end12-_ZN7rocprim6detail31init_lookback_scan_state_kernelINS0_19lookback_scan_stateI12hip_bfloat16Lb1ELb1EEEEEvT_jjPNS5_10value_typeE
                                        ; -- End function
	.section	.AMDGPU.csdata,"",@progbits
; Kernel info:
; codeLenInByte = 312
; NumSgprs: 18
; NumVgprs: 6
; NumAgprs: 0
; TotalNumVgprs: 6
; ScratchSize: 0
; MemoryBound: 0
; FloatMode: 240
; IeeeMode: 1
; LDSByteSize: 0 bytes/workgroup (compile time only)
; SGPRBlocks: 2
; VGPRBlocks: 0
; NumSGPRsForWavesPerEU: 18
; NumVGPRsForWavesPerEU: 6
; AccumOffset: 8
; Occupancy: 8
; WaveLimiterHint : 0
; COMPUTE_PGM_RSRC2:SCRATCH_EN: 0
; COMPUTE_PGM_RSRC2:USER_SGPR: 2
; COMPUTE_PGM_RSRC2:TRAP_HANDLER: 0
; COMPUTE_PGM_RSRC2:TGID_X_EN: 1
; COMPUTE_PGM_RSRC2:TGID_Y_EN: 0
; COMPUTE_PGM_RSRC2:TGID_Z_EN: 0
; COMPUTE_PGM_RSRC2:TIDIG_COMP_CNT: 0
; COMPUTE_PGM_RSRC3_GFX90A:ACCUM_OFFSET: 1
; COMPUTE_PGM_RSRC3_GFX90A:TG_SPLIT: 0
	.section	.text._ZN7rocprim6detail31init_lookback_scan_state_kernelINS0_19lookback_scan_stateI12hip_bfloat16Lb0ELb1EEEEEvT_jjPNS5_10value_typeE,"axG",@progbits,_ZN7rocprim6detail31init_lookback_scan_state_kernelINS0_19lookback_scan_stateI12hip_bfloat16Lb0ELb1EEEEEvT_jjPNS5_10value_typeE,comdat
	.protected	_ZN7rocprim6detail31init_lookback_scan_state_kernelINS0_19lookback_scan_stateI12hip_bfloat16Lb0ELb1EEEEEvT_jjPNS5_10value_typeE ; -- Begin function _ZN7rocprim6detail31init_lookback_scan_state_kernelINS0_19lookback_scan_stateI12hip_bfloat16Lb0ELb1EEEEEvT_jjPNS5_10value_typeE
	.globl	_ZN7rocprim6detail31init_lookback_scan_state_kernelINS0_19lookback_scan_stateI12hip_bfloat16Lb0ELb1EEEEEvT_jjPNS5_10value_typeE
	.p2align	8
	.type	_ZN7rocprim6detail31init_lookback_scan_state_kernelINS0_19lookback_scan_stateI12hip_bfloat16Lb0ELb1EEEEEvT_jjPNS5_10value_typeE,@function
_ZN7rocprim6detail31init_lookback_scan_state_kernelINS0_19lookback_scan_stateI12hip_bfloat16Lb0ELb1EEEEEvT_jjPNS5_10value_typeE: ; @_ZN7rocprim6detail31init_lookback_scan_state_kernelINS0_19lookback_scan_stateI12hip_bfloat16Lb0ELb1EEEEEvT_jjPNS5_10value_typeE
; %bb.0:
	s_load_dword s3, s[0:1], 0x24
	s_load_dwordx2 s[8:9], s[0:1], 0x10
	s_load_dwordx4 s[4:7], s[0:1], 0x0
	s_waitcnt lgkmcnt(0)
	s_and_b32 s0, s3, 0xffff
	s_mul_i32 s2, s2, s0
	s_cmp_eq_u64 s[8:9], 0
	v_add_u32_e32 v0, s2, v0
	s_cbranch_scc1 .LBB13_6
; %bb.1:
	s_cmp_lt_u32 s7, s6
	s_cselect_b32 s0, s7, 0
	s_mov_b32 s3, 0
	v_cmp_eq_u32_e32 vcc, s0, v0
	s_and_saveexec_b64 s[0:1], vcc
	s_cbranch_execz .LBB13_5
; %bb.2:
	s_add_i32 s2, s7, 64
	s_lshl_b64 s[2:3], s[2:3], 2
	s_add_u32 s2, s4, s2
	s_addc_u32 s3, s5, s3
	v_mov_b32_e32 v2, 0
	global_load_dword v1, v2, s[2:3] sc1
	s_waitcnt vmcnt(0)
	v_and_b32_e32 v3, 0xff0000, v1
	v_cmp_ne_u32_e32 vcc, 0, v3
	s_cbranch_vccnz .LBB13_4
.LBB13_3:                               ; =>This Inner Loop Header: Depth=1
	global_load_dword v1, v2, s[2:3] sc1
	s_waitcnt vmcnt(0)
	v_and_b32_e32 v3, 0xff0000, v1
	v_cmp_eq_u32_e32 vcc, 0, v3
	s_cbranch_vccnz .LBB13_3
.LBB13_4:
	v_mov_b32_e32 v2, 0
	global_store_short v2, v1, s[8:9]
.LBB13_5:
	s_or_b64 exec, exec, s[0:1]
.LBB13_6:
	v_cmp_gt_u32_e32 vcc, s6, v0
	s_and_saveexec_b64 s[0:1], vcc
	s_cbranch_execnz .LBB13_9
; %bb.7:
	s_or_b64 exec, exec, s[0:1]
	v_cmp_gt_u32_e32 vcc, 64, v0
	s_and_saveexec_b64 s[0:1], vcc
	s_cbranch_execnz .LBB13_10
.LBB13_8:
	s_endpgm
.LBB13_9:
	v_add_u32_e32 v2, 64, v0
	v_mov_b32_e32 v3, 0
	v_lshl_add_u64 v[4:5], v[2:3], 2, s[4:5]
	global_store_dword v[4:5], v3, off
	s_or_b64 exec, exec, s[0:1]
	v_cmp_gt_u32_e32 vcc, 64, v0
	s_and_saveexec_b64 s[0:1], vcc
	s_cbranch_execz .LBB13_8
.LBB13_10:
	v_mov_b32_e32 v1, 0
	v_lshl_add_u64 v[0:1], v[0:1], 2, s[4:5]
	v_mov_b32_e32 v2, 0xff0000
	global_store_dword v[0:1], v2, off
	s_endpgm
	.section	.rodata,"a",@progbits
	.p2align	6, 0x0
	.amdhsa_kernel _ZN7rocprim6detail31init_lookback_scan_state_kernelINS0_19lookback_scan_stateI12hip_bfloat16Lb0ELb1EEEEEvT_jjPNS5_10value_typeE
		.amdhsa_group_segment_fixed_size 0
		.amdhsa_private_segment_fixed_size 0
		.amdhsa_kernarg_size 280
		.amdhsa_user_sgpr_count 2
		.amdhsa_user_sgpr_dispatch_ptr 0
		.amdhsa_user_sgpr_queue_ptr 0
		.amdhsa_user_sgpr_kernarg_segment_ptr 1
		.amdhsa_user_sgpr_dispatch_id 0
		.amdhsa_user_sgpr_kernarg_preload_length 0
		.amdhsa_user_sgpr_kernarg_preload_offset 0
		.amdhsa_user_sgpr_private_segment_size 0
		.amdhsa_uses_dynamic_stack 0
		.amdhsa_enable_private_segment 0
		.amdhsa_system_sgpr_workgroup_id_x 1
		.amdhsa_system_sgpr_workgroup_id_y 0
		.amdhsa_system_sgpr_workgroup_id_z 0
		.amdhsa_system_sgpr_workgroup_info 0
		.amdhsa_system_vgpr_workitem_id 0
		.amdhsa_next_free_vgpr 6
		.amdhsa_next_free_sgpr 10
		.amdhsa_accum_offset 8
		.amdhsa_reserve_vcc 1
		.amdhsa_float_round_mode_32 0
		.amdhsa_float_round_mode_16_64 0
		.amdhsa_float_denorm_mode_32 3
		.amdhsa_float_denorm_mode_16_64 3
		.amdhsa_dx10_clamp 1
		.amdhsa_ieee_mode 1
		.amdhsa_fp16_overflow 0
		.amdhsa_tg_split 0
		.amdhsa_exception_fp_ieee_invalid_op 0
		.amdhsa_exception_fp_denorm_src 0
		.amdhsa_exception_fp_ieee_div_zero 0
		.amdhsa_exception_fp_ieee_overflow 0
		.amdhsa_exception_fp_ieee_underflow 0
		.amdhsa_exception_fp_ieee_inexact 0
		.amdhsa_exception_int_div_zero 0
	.end_amdhsa_kernel
	.section	.text._ZN7rocprim6detail31init_lookback_scan_state_kernelINS0_19lookback_scan_stateI12hip_bfloat16Lb0ELb1EEEEEvT_jjPNS5_10value_typeE,"axG",@progbits,_ZN7rocprim6detail31init_lookback_scan_state_kernelINS0_19lookback_scan_stateI12hip_bfloat16Lb0ELb1EEEEEvT_jjPNS5_10value_typeE,comdat
.Lfunc_end13:
	.size	_ZN7rocprim6detail31init_lookback_scan_state_kernelINS0_19lookback_scan_stateI12hip_bfloat16Lb0ELb1EEEEEvT_jjPNS5_10value_typeE, .Lfunc_end13-_ZN7rocprim6detail31init_lookback_scan_state_kernelINS0_19lookback_scan_stateI12hip_bfloat16Lb0ELb1EEEEEvT_jjPNS5_10value_typeE
                                        ; -- End function
	.section	.AMDGPU.csdata,"",@progbits
; Kernel info:
; codeLenInByte = 272
; NumSgprs: 16
; NumVgprs: 6
; NumAgprs: 0
; TotalNumVgprs: 6
; ScratchSize: 0
; MemoryBound: 0
; FloatMode: 240
; IeeeMode: 1
; LDSByteSize: 0 bytes/workgroup (compile time only)
; SGPRBlocks: 1
; VGPRBlocks: 0
; NumSGPRsForWavesPerEU: 16
; NumVGPRsForWavesPerEU: 6
; AccumOffset: 8
; Occupancy: 8
; WaveLimiterHint : 0
; COMPUTE_PGM_RSRC2:SCRATCH_EN: 0
; COMPUTE_PGM_RSRC2:USER_SGPR: 2
; COMPUTE_PGM_RSRC2:TRAP_HANDLER: 0
; COMPUTE_PGM_RSRC2:TGID_X_EN: 1
; COMPUTE_PGM_RSRC2:TGID_Y_EN: 0
; COMPUTE_PGM_RSRC2:TGID_Z_EN: 0
; COMPUTE_PGM_RSRC2:TIDIG_COMP_CNT: 0
; COMPUTE_PGM_RSRC3_GFX90A:ACCUM_OFFSET: 1
; COMPUTE_PGM_RSRC3_GFX90A:TG_SPLIT: 0
	.section	.text._ZN7rocprim6detail20lookback_scan_kernelILNS0_25lookback_scan_determinismE0ELb0ENS0_19wrapped_scan_configINS_14default_configE12hip_bfloat16EEPS5_S7_N6hipcub3MaxES5_S5_NS0_19lookback_scan_stateIS5_Lb1ELb1EEEEEvT2_T3_mT5_T4_T7_jPT6_SI_bb,"axG",@progbits,_ZN7rocprim6detail20lookback_scan_kernelILNS0_25lookback_scan_determinismE0ELb0ENS0_19wrapped_scan_configINS_14default_configE12hip_bfloat16EEPS5_S7_N6hipcub3MaxES5_S5_NS0_19lookback_scan_stateIS5_Lb1ELb1EEEEEvT2_T3_mT5_T4_T7_jPT6_SI_bb,comdat
	.protected	_ZN7rocprim6detail20lookback_scan_kernelILNS0_25lookback_scan_determinismE0ELb0ENS0_19wrapped_scan_configINS_14default_configE12hip_bfloat16EEPS5_S7_N6hipcub3MaxES5_S5_NS0_19lookback_scan_stateIS5_Lb1ELb1EEEEEvT2_T3_mT5_T4_T7_jPT6_SI_bb ; -- Begin function _ZN7rocprim6detail20lookback_scan_kernelILNS0_25lookback_scan_determinismE0ELb0ENS0_19wrapped_scan_configINS_14default_configE12hip_bfloat16EEPS5_S7_N6hipcub3MaxES5_S5_NS0_19lookback_scan_stateIS5_Lb1ELb1EEEEEvT2_T3_mT5_T4_T7_jPT6_SI_bb
	.globl	_ZN7rocprim6detail20lookback_scan_kernelILNS0_25lookback_scan_determinismE0ELb0ENS0_19wrapped_scan_configINS_14default_configE12hip_bfloat16EEPS5_S7_N6hipcub3MaxES5_S5_NS0_19lookback_scan_stateIS5_Lb1ELb1EEEEEvT2_T3_mT5_T4_T7_jPT6_SI_bb
	.p2align	8
	.type	_ZN7rocprim6detail20lookback_scan_kernelILNS0_25lookback_scan_determinismE0ELb0ENS0_19wrapped_scan_configINS_14default_configE12hip_bfloat16EEPS5_S7_N6hipcub3MaxES5_S5_NS0_19lookback_scan_stateIS5_Lb1ELb1EEEEEvT2_T3_mT5_T4_T7_jPT6_SI_bb,@function
_ZN7rocprim6detail20lookback_scan_kernelILNS0_25lookback_scan_determinismE0ELb0ENS0_19wrapped_scan_configINS_14default_configE12hip_bfloat16EEPS5_S7_N6hipcub3MaxES5_S5_NS0_19lookback_scan_stateIS5_Lb1ELb1EEEEEvT2_T3_mT5_T4_T7_jPT6_SI_bb: ; @_ZN7rocprim6detail20lookback_scan_kernelILNS0_25lookback_scan_determinismE0ELb0ENS0_19wrapped_scan_configINS_14default_configE12hip_bfloat16EEPS5_S7_N6hipcub3MaxES5_S5_NS0_19lookback_scan_stateIS5_Lb1ELb1EEEEEvT2_T3_mT5_T4_T7_jPT6_SI_bb
; %bb.0:
	s_endpgm
	.section	.rodata,"a",@progbits
	.p2align	6, 0x0
	.amdhsa_kernel _ZN7rocprim6detail20lookback_scan_kernelILNS0_25lookback_scan_determinismE0ELb0ENS0_19wrapped_scan_configINS_14default_configE12hip_bfloat16EEPS5_S7_N6hipcub3MaxES5_S5_NS0_19lookback_scan_stateIS5_Lb1ELb1EEEEEvT2_T3_mT5_T4_T7_jPT6_SI_bb
		.amdhsa_group_segment_fixed_size 0
		.amdhsa_private_segment_fixed_size 0
		.amdhsa_kernarg_size 68
		.amdhsa_user_sgpr_count 2
		.amdhsa_user_sgpr_dispatch_ptr 0
		.amdhsa_user_sgpr_queue_ptr 0
		.amdhsa_user_sgpr_kernarg_segment_ptr 1
		.amdhsa_user_sgpr_dispatch_id 0
		.amdhsa_user_sgpr_kernarg_preload_length 0
		.amdhsa_user_sgpr_kernarg_preload_offset 0
		.amdhsa_user_sgpr_private_segment_size 0
		.amdhsa_uses_dynamic_stack 0
		.amdhsa_enable_private_segment 0
		.amdhsa_system_sgpr_workgroup_id_x 1
		.amdhsa_system_sgpr_workgroup_id_y 0
		.amdhsa_system_sgpr_workgroup_id_z 0
		.amdhsa_system_sgpr_workgroup_info 0
		.amdhsa_system_vgpr_workitem_id 0
		.amdhsa_next_free_vgpr 1
		.amdhsa_next_free_sgpr 0
		.amdhsa_accum_offset 4
		.amdhsa_reserve_vcc 0
		.amdhsa_float_round_mode_32 0
		.amdhsa_float_round_mode_16_64 0
		.amdhsa_float_denorm_mode_32 3
		.amdhsa_float_denorm_mode_16_64 3
		.amdhsa_dx10_clamp 1
		.amdhsa_ieee_mode 1
		.amdhsa_fp16_overflow 0
		.amdhsa_tg_split 0
		.amdhsa_exception_fp_ieee_invalid_op 0
		.amdhsa_exception_fp_denorm_src 0
		.amdhsa_exception_fp_ieee_div_zero 0
		.amdhsa_exception_fp_ieee_overflow 0
		.amdhsa_exception_fp_ieee_underflow 0
		.amdhsa_exception_fp_ieee_inexact 0
		.amdhsa_exception_int_div_zero 0
	.end_amdhsa_kernel
	.section	.text._ZN7rocprim6detail20lookback_scan_kernelILNS0_25lookback_scan_determinismE0ELb0ENS0_19wrapped_scan_configINS_14default_configE12hip_bfloat16EEPS5_S7_N6hipcub3MaxES5_S5_NS0_19lookback_scan_stateIS5_Lb1ELb1EEEEEvT2_T3_mT5_T4_T7_jPT6_SI_bb,"axG",@progbits,_ZN7rocprim6detail20lookback_scan_kernelILNS0_25lookback_scan_determinismE0ELb0ENS0_19wrapped_scan_configINS_14default_configE12hip_bfloat16EEPS5_S7_N6hipcub3MaxES5_S5_NS0_19lookback_scan_stateIS5_Lb1ELb1EEEEEvT2_T3_mT5_T4_T7_jPT6_SI_bb,comdat
.Lfunc_end14:
	.size	_ZN7rocprim6detail20lookback_scan_kernelILNS0_25lookback_scan_determinismE0ELb0ENS0_19wrapped_scan_configINS_14default_configE12hip_bfloat16EEPS5_S7_N6hipcub3MaxES5_S5_NS0_19lookback_scan_stateIS5_Lb1ELb1EEEEEvT2_T3_mT5_T4_T7_jPT6_SI_bb, .Lfunc_end14-_ZN7rocprim6detail20lookback_scan_kernelILNS0_25lookback_scan_determinismE0ELb0ENS0_19wrapped_scan_configINS_14default_configE12hip_bfloat16EEPS5_S7_N6hipcub3MaxES5_S5_NS0_19lookback_scan_stateIS5_Lb1ELb1EEEEEvT2_T3_mT5_T4_T7_jPT6_SI_bb
                                        ; -- End function
	.section	.AMDGPU.csdata,"",@progbits
; Kernel info:
; codeLenInByte = 4
; NumSgprs: 6
; NumVgprs: 0
; NumAgprs: 0
; TotalNumVgprs: 0
; ScratchSize: 0
; MemoryBound: 0
; FloatMode: 240
; IeeeMode: 1
; LDSByteSize: 0 bytes/workgroup (compile time only)
; SGPRBlocks: 0
; VGPRBlocks: 0
; NumSGPRsForWavesPerEU: 6
; NumVGPRsForWavesPerEU: 1
; AccumOffset: 4
; Occupancy: 8
; WaveLimiterHint : 0
; COMPUTE_PGM_RSRC2:SCRATCH_EN: 0
; COMPUTE_PGM_RSRC2:USER_SGPR: 2
; COMPUTE_PGM_RSRC2:TRAP_HANDLER: 0
; COMPUTE_PGM_RSRC2:TGID_X_EN: 1
; COMPUTE_PGM_RSRC2:TGID_Y_EN: 0
; COMPUTE_PGM_RSRC2:TGID_Z_EN: 0
; COMPUTE_PGM_RSRC2:TIDIG_COMP_CNT: 0
; COMPUTE_PGM_RSRC3_GFX90A:ACCUM_OFFSET: 0
; COMPUTE_PGM_RSRC3_GFX90A:TG_SPLIT: 0
	.section	.text._ZN7rocprim6detail20lookback_scan_kernelILNS0_25lookback_scan_determinismE0ELb0ENS0_19wrapped_scan_configINS_14default_configE12hip_bfloat16EEPS5_S7_N6hipcub3MaxES5_S5_NS0_19lookback_scan_stateIS5_Lb0ELb1EEEEEvT2_T3_mT5_T4_T7_jPT6_SI_bb,"axG",@progbits,_ZN7rocprim6detail20lookback_scan_kernelILNS0_25lookback_scan_determinismE0ELb0ENS0_19wrapped_scan_configINS_14default_configE12hip_bfloat16EEPS5_S7_N6hipcub3MaxES5_S5_NS0_19lookback_scan_stateIS5_Lb0ELb1EEEEEvT2_T3_mT5_T4_T7_jPT6_SI_bb,comdat
	.protected	_ZN7rocprim6detail20lookback_scan_kernelILNS0_25lookback_scan_determinismE0ELb0ENS0_19wrapped_scan_configINS_14default_configE12hip_bfloat16EEPS5_S7_N6hipcub3MaxES5_S5_NS0_19lookback_scan_stateIS5_Lb0ELb1EEEEEvT2_T3_mT5_T4_T7_jPT6_SI_bb ; -- Begin function _ZN7rocprim6detail20lookback_scan_kernelILNS0_25lookback_scan_determinismE0ELb0ENS0_19wrapped_scan_configINS_14default_configE12hip_bfloat16EEPS5_S7_N6hipcub3MaxES5_S5_NS0_19lookback_scan_stateIS5_Lb0ELb1EEEEEvT2_T3_mT5_T4_T7_jPT6_SI_bb
	.globl	_ZN7rocprim6detail20lookback_scan_kernelILNS0_25lookback_scan_determinismE0ELb0ENS0_19wrapped_scan_configINS_14default_configE12hip_bfloat16EEPS5_S7_N6hipcub3MaxES5_S5_NS0_19lookback_scan_stateIS5_Lb0ELb1EEEEEvT2_T3_mT5_T4_T7_jPT6_SI_bb
	.p2align	8
	.type	_ZN7rocprim6detail20lookback_scan_kernelILNS0_25lookback_scan_determinismE0ELb0ENS0_19wrapped_scan_configINS_14default_configE12hip_bfloat16EEPS5_S7_N6hipcub3MaxES5_S5_NS0_19lookback_scan_stateIS5_Lb0ELb1EEEEEvT2_T3_mT5_T4_T7_jPT6_SI_bb,@function
_ZN7rocprim6detail20lookback_scan_kernelILNS0_25lookback_scan_determinismE0ELb0ENS0_19wrapped_scan_configINS_14default_configE12hip_bfloat16EEPS5_S7_N6hipcub3MaxES5_S5_NS0_19lookback_scan_stateIS5_Lb0ELb1EEEEEvT2_T3_mT5_T4_T7_jPT6_SI_bb: ; @_ZN7rocprim6detail20lookback_scan_kernelILNS0_25lookback_scan_determinismE0ELb0ENS0_19wrapped_scan_configINS_14default_configE12hip_bfloat16EEPS5_S7_N6hipcub3MaxES5_S5_NS0_19lookback_scan_stateIS5_Lb0ELb1EEEEEvT2_T3_mT5_T4_T7_jPT6_SI_bb
; %bb.0:
	s_load_dword s3, s[0:1], 0x28
	s_load_dwordx4 s[16:19], s[0:1], 0x0
	s_load_dwordx2 s[4:5], s[0:1], 0x10
	s_mul_i32 s6, s2, 0x1800
	s_mov_b32 s7, 0
	s_waitcnt lgkmcnt(0)
	s_add_i32 s3, s3, -1
	s_mul_i32 s8, s3, 0x1800
	s_sub_u32 s28, s4, s8
	s_subb_u32 s29, s5, 0
	s_cmp_lg_u32 s2, s3
	s_cselect_b64 s[20:21], -1, 0
	s_lshl_b64 s[22:23], s[6:7], 1
	s_add_u32 s6, s16, s22
	s_addc_u32 s7, s17, s23
	s_mov_b64 s[4:5], -1
	s_and_b64 vcc, exec, s[20:21]
	v_lshlrev_b32_e32 v14, 1, v0
	s_cbranch_vccz .LBB15_2
; %bb.1:
	v_mov_b32_e32 v15, 0
	v_lshl_add_u64 v[2:3], s[6:7], 0, v[14:15]
	v_add_co_u32_e32 v4, vcc, 0x1000, v2
	global_load_ushort v1, v14, s[6:7]
	global_load_ushort v6, v14, s[6:7] offset:512
	global_load_ushort v7, v14, s[6:7] offset:1024
	;; [unrolled: 1-line block ×7, first 2 shown]
	v_addc_co_u32_e32 v5, vcc, 0, v3, vcc
	v_add_co_u32_e32 v2, vcc, 0x2000, v2
	global_load_ushort v13, v[4:5], off
	global_load_ushort v15, v[4:5], off offset:512
	global_load_ushort v16, v[4:5], off offset:1024
	;; [unrolled: 1-line block ×7, first 2 shown]
	v_addc_co_u32_e32 v3, vcc, 0, v3, vcc
	global_load_ushort v4, v[2:3], off
	global_load_ushort v5, v[2:3], off offset:512
	global_load_ushort v22, v[2:3], off offset:1024
	global_load_ushort v23, v[2:3], off offset:1536
	global_load_ushort v24, v[2:3], off offset:2048
	global_load_ushort v25, v[2:3], off offset:2560
	global_load_ushort v26, v[2:3], off offset:3072
	global_load_ushort v27, v[2:3], off offset:3584
	s_mov_b64 s[4:5], 0
	s_waitcnt vmcnt(23)
	ds_write_b16 v14, v1
	s_waitcnt vmcnt(22)
	ds_write_b16 v14, v6 offset:512
	s_waitcnt vmcnt(21)
	ds_write_b16 v14, v7 offset:1024
	;; [unrolled: 2-line block ×23, first 2 shown]
	s_waitcnt lgkmcnt(0)
	s_barrier
.LBB15_2:
	s_andn2_b64 vcc, exec, s[4:5]
	v_cmp_gt_u32_e64 s[4:5], s28, v0
	s_cbranch_vccnz .LBB15_52
; %bb.3:
	v_mov_b32_e32 v15, 0
	global_load_ushort v1, v15, s[6:7]
	v_lshl_add_u64 v[2:3], s[6:7], 0, v[14:15]
	s_waitcnt vmcnt(0)
	v_mov_b32_e32 v4, v1
	s_and_saveexec_b64 s[6:7], s[4:5]
	s_cbranch_execz .LBB15_5
; %bb.4:
	global_load_ushort v4, v[2:3], off
.LBB15_5:
	s_or_b64 exec, exec, s[6:7]
	v_or_b32_e32 v5, 0x100, v0
	v_cmp_gt_u32_e32 vcc, s28, v5
	v_mov_b32_e32 v5, v1
	s_and_saveexec_b64 s[4:5], vcc
	s_cbranch_execz .LBB15_7
; %bb.6:
	global_load_ushort v5, v[2:3], off offset:512
.LBB15_7:
	s_or_b64 exec, exec, s[4:5]
	v_or_b32_e32 v6, 0x200, v0
	v_cmp_gt_u32_e32 vcc, s28, v6
	v_mov_b32_e32 v6, v1
	s_and_saveexec_b64 s[4:5], vcc
	s_cbranch_execz .LBB15_9
; %bb.8:
	global_load_ushort v6, v[2:3], off offset:1024
.LBB15_9:
	;; [unrolled: 9-line block ×7, first 2 shown]
	s_or_b64 exec, exec, s[4:5]
	v_or_b32_e32 v12, 0x800, v0
	v_cmp_gt_u32_e32 vcc, s28, v12
	v_mov_b32_e32 v12, v1
	s_and_saveexec_b64 s[4:5], vcc
	s_cbranch_execz .LBB15_21
; %bb.20:
	v_add_co_u32_e32 v12, vcc, 0x1000, v2
	s_nop 1
	v_addc_co_u32_e32 v13, vcc, 0, v3, vcc
	global_load_ushort v12, v[12:13], off
.LBB15_21:
	s_or_b64 exec, exec, s[4:5]
	v_or_b32_e32 v13, 0x900, v0
	v_cmp_gt_u32_e32 vcc, s28, v13
	v_mov_b32_e32 v13, v1
	s_and_saveexec_b64 s[4:5], vcc
	s_cbranch_execz .LBB15_23
; %bb.22:
	v_add_co_u32_e32 v16, vcc, 0x1000, v2
	s_nop 1
	v_addc_co_u32_e32 v17, vcc, 0, v3, vcc
	global_load_ushort v13, v[16:17], off offset:512
.LBB15_23:
	s_or_b64 exec, exec, s[4:5]
	v_or_b32_e32 v15, 0xa00, v0
	v_cmp_gt_u32_e32 vcc, s28, v15
	v_mov_b32_e32 v15, v1
	s_and_saveexec_b64 s[4:5], vcc
	s_cbranch_execz .LBB15_25
; %bb.24:
	v_add_co_u32_e32 v16, vcc, 0x1000, v2
	s_nop 1
	v_addc_co_u32_e32 v17, vcc, 0, v3, vcc
	global_load_ushort v15, v[16:17], off offset:1024
.LBB15_25:
	;; [unrolled: 12-line block ×7, first 2 shown]
	s_or_b64 exec, exec, s[4:5]
	v_or_b32_e32 v21, 0x1000, v0
	v_cmp_gt_u32_e32 vcc, s28, v21
	v_mov_b32_e32 v21, v1
	s_and_saveexec_b64 s[4:5], vcc
	s_cbranch_execz .LBB15_37
; %bb.36:
	v_add_co_u32_e32 v22, vcc, 0x2000, v2
	s_nop 1
	v_addc_co_u32_e32 v23, vcc, 0, v3, vcc
	global_load_ushort v21, v[22:23], off
.LBB15_37:
	s_or_b64 exec, exec, s[4:5]
	v_or_b32_e32 v22, 0x1100, v0
	v_cmp_gt_u32_e32 vcc, s28, v22
	v_mov_b32_e32 v22, v1
	s_and_saveexec_b64 s[4:5], vcc
	s_cbranch_execz .LBB15_39
; %bb.38:
	v_add_co_u32_e32 v22, vcc, 0x2000, v2
	s_nop 1
	v_addc_co_u32_e32 v23, vcc, 0, v3, vcc
	global_load_ushort v22, v[22:23], off offset:512
.LBB15_39:
	s_or_b64 exec, exec, s[4:5]
	v_or_b32_e32 v23, 0x1200, v0
	v_cmp_gt_u32_e32 vcc, s28, v23
	v_mov_b32_e32 v23, v1
	s_and_saveexec_b64 s[4:5], vcc
	s_cbranch_execz .LBB15_41
; %bb.40:
	v_add_co_u32_e32 v24, vcc, 0x2000, v2
	s_nop 1
	v_addc_co_u32_e32 v25, vcc, 0, v3, vcc
	global_load_ushort v23, v[24:25], off offset:1024
.LBB15_41:
	;; [unrolled: 12-line block ×6, first 2 shown]
	s_or_b64 exec, exec, s[4:5]
	v_or_b32_e32 v28, 0x1700, v0
	v_cmp_gt_u32_e32 vcc, s28, v28
	s_and_saveexec_b64 s[4:5], vcc
	s_cbranch_execz .LBB15_51
; %bb.50:
	v_add_co_u32_e32 v2, vcc, 0x2000, v2
	s_nop 1
	v_addc_co_u32_e32 v3, vcc, 0, v3, vcc
	global_load_ushort v1, v[2:3], off offset:3584
.LBB15_51:
	s_or_b64 exec, exec, s[4:5]
	s_waitcnt vmcnt(0)
	ds_write_b16 v14, v4
	ds_write_b16 v14, v5 offset:512
	ds_write_b16 v14, v6 offset:1024
	;; [unrolled: 1-line block ×23, first 2 shown]
	s_waitcnt lgkmcnt(0)
	s_barrier
.LBB15_52:
	v_mul_u32_u24_e32 v22, 24, v0
	v_lshlrev_b32_e32 v1, 1, v22
	ds_read_b128 v[10:13], v1
	ds_read_b128 v[6:9], v1 offset:16
	ds_read_b128 v[2:5], v1 offset:32
	s_load_dwordx2 s[24:25], s[0:1], 0x20
	s_cmp_lg_u32 s2, 0
	v_mbcnt_lo_u32_b32 v58, -1, 0
	s_waitcnt lgkmcnt(0)
	v_lshrrev_b32_e32 v44, 16, v11
	v_lshrrev_b32_e32 v40, 16, v12
	;; [unrolled: 1-line block ×11, first 2 shown]
	v_lshlrev_b32_e32 v54, 16, v11
	v_lshlrev_b32_e32 v53, 16, v44
	;; [unrolled: 1-line block ×22, first 2 shown]
	v_lshrrev_b32_e32 v55, 16, v10
	v_lshrrev_b32_e32 v56, 6, v0
	v_or_b32_e32 v57, 63, v0
	s_barrier
	s_cbranch_scc0 .LBB15_83
; %bb.53:
	v_and_b32_e32 v59, 0xffff0000, v10
	v_lshlrev_b32_e32 v60, 16, v10
	v_cmp_lt_f32_e32 vcc, v60, v59
	s_nop 1
	v_cndmask_b32_e32 v16, v10, v55, vcc
	v_lshlrev_b32_e32 v17, 16, v16
	v_cmp_lt_f32_e32 vcc, v17, v54
	s_nop 1
	v_cndmask_b32_e32 v16, v16, v11, vcc
	;; [unrolled: 4-line block ×22, first 2 shown]
	v_lshlrev_b32_e32 v17, 16, v16
	v_cmp_lt_f32_e32 vcc, v17, v28
	v_mbcnt_hi_u32_b32 v17, -1, v58
	v_and_b32_e32 v18, 15, v17
	v_cndmask_b32_e32 v16, v16, v15, vcc
	v_and_b32_e32 v19, 0xffff, v16
	v_lshlrev_b32_e32 v61, 16, v16
	s_nop 0
	v_mov_b32_dpp v20, v19 row_shr:1 row_mask:0xf bank_mask:0xf
	v_lshlrev_b32_e32 v21, 16, v20
	v_cmp_lt_f32_e32 vcc, v21, v61
	s_nop 1
	v_cndmask_b32_e32 v20, v20, v16, vcc
	v_and_b32_e32 v21, 0xffff, v20
	v_cmp_eq_u32_e32 vcc, 0, v18
	s_nop 1
	v_cndmask_b32_e32 v19, v21, v19, vcc
	v_cndmask_b32_e32 v16, v20, v16, vcc
	v_lshlrev_b32_e32 v21, 16, v19
	v_mov_b32_dpp v20, v19 row_shr:2 row_mask:0xf bank_mask:0xf
	v_lshlrev_b32_e32 v61, 16, v20
	v_cmp_lt_f32_e32 vcc, v61, v21
	s_nop 1
	v_cndmask_b32_e32 v20, v20, v16, vcc
	v_and_b32_e32 v21, 0xffff, v20
	v_cmp_lt_u32_e32 vcc, 1, v18
	s_nop 1
	v_cndmask_b32_e32 v19, v19, v21, vcc
	v_cndmask_b32_e32 v16, v16, v20, vcc
	v_lshlrev_b32_e32 v21, 16, v19
	v_mov_b32_dpp v20, v19 row_shr:4 row_mask:0xf bank_mask:0xf
	v_lshlrev_b32_e32 v61, 16, v20
	v_cmp_lt_f32_e32 vcc, v61, v21
	s_nop 1
	v_cndmask_b32_e32 v20, v20, v16, vcc
	v_and_b32_e32 v21, 0xffff, v20
	v_cmp_lt_u32_e32 vcc, 3, v18
	;; [unrolled: 11-line block ×3, first 2 shown]
	s_nop 1
	v_cndmask_b32_e32 v18, v19, v21, vcc
	v_lshlrev_b32_e32 v21, 16, v18
	v_cndmask_b32_e32 v16, v16, v20, vcc
	v_mov_b32_dpp v19, v18 row_bcast:15 row_mask:0xf bank_mask:0xf
	v_lshlrev_b32_e32 v61, 16, v19
	v_cmp_lt_f32_e32 vcc, v61, v21
	v_and_b32_e32 v20, 16, v17
	s_nop 0
	v_cndmask_b32_e32 v19, v19, v16, vcc
	v_and_b32_e32 v21, 0xffff, v19
	v_cmp_eq_u32_e32 vcc, 0, v20
	s_nop 1
	v_cndmask_b32_e32 v18, v21, v18, vcc
	v_cndmask_b32_e32 v16, v19, v16, vcc
	s_nop 0
	v_mov_b32_dpp v19, v18 row_bcast:31 row_mask:0xf bank_mask:0xf
	v_lshlrev_b32_e32 v18, 16, v18
	v_lshlrev_b32_e32 v20, 16, v19
	v_cmp_lt_f32_e32 vcc, v20, v18
	s_nop 1
	v_cndmask_b32_e32 v18, v19, v16, vcc
	v_cmp_lt_u32_e32 vcc, 31, v17
	s_nop 1
	v_cndmask_b32_e32 v16, v16, v18, vcc
	v_cmp_eq_u32_e32 vcc, v57, v0
	s_and_saveexec_b64 s[4:5], vcc
	s_cbranch_execz .LBB15_55
; %bb.54:
	v_lshlrev_b32_e32 v18, 1, v56
	ds_write_b16 v18, v16
.LBB15_55:
	s_or_b64 exec, exec, s[4:5]
	v_cmp_gt_u32_e32 vcc, 4, v0
	s_waitcnt lgkmcnt(0)
	s_barrier
	s_and_saveexec_b64 s[4:5], vcc
	s_cbranch_execz .LBB15_57
; %bb.56:
	ds_read_u16 v18, v14
	v_and_b32_e32 v19, 3, v17
	s_waitcnt lgkmcnt(0)
	v_and_b32_e32 v20, 0xffff, v18
	s_nop 1
	v_mov_b32_dpp v61, v20 row_shr:1 row_mask:0xf bank_mask:0xf
	v_lshlrev_b32_e32 v21, 16, v18
	v_lshlrev_b32_e32 v62, 16, v61
	v_cmp_lt_f32_e32 vcc, v62, v21
	s_nop 1
	v_cndmask_b32_e32 v21, v61, v18, vcc
	v_and_b32_e32 v61, 0xffff, v21
	v_cmp_eq_u32_e32 vcc, 0, v19
	s_nop 1
	v_cndmask_b32_e32 v20, v61, v20, vcc
	v_cndmask_b32_e32 v18, v21, v18, vcc
	s_nop 0
	v_mov_b32_dpp v21, v20 row_shr:2 row_mask:0xf bank_mask:0xf
	v_lshlrev_b32_e32 v20, 16, v20
	v_lshlrev_b32_e32 v61, 16, v21
	v_cmp_lt_f32_e32 vcc, v61, v20
	s_nop 1
	v_cndmask_b32_e32 v20, v21, v18, vcc
	v_cmp_lt_u32_e32 vcc, 1, v19
	s_nop 1
	v_cndmask_b32_e32 v18, v18, v20, vcc
	ds_write_b16 v14, v18
.LBB15_57:
	s_or_b64 exec, exec, s[4:5]
	v_cmp_gt_u32_e32 vcc, 64, v0
	v_cmp_lt_u32_e64 s[4:5], 63, v0
	s_waitcnt lgkmcnt(0)
	s_barrier
	s_waitcnt lgkmcnt(0)
                                        ; implicit-def: $vgpr61
	s_and_saveexec_b64 s[6:7], s[4:5]
	s_cbranch_execz .LBB15_59
; %bb.58:
	v_lshl_add_u32 v18, v56, 1, -2
	ds_read_u16 v61, v18
	v_lshlrev_b32_e32 v18, 16, v16
	s_waitcnt lgkmcnt(0)
	v_lshlrev_b32_e32 v19, 16, v61
	v_cmp_lt_f32_e64 s[4:5], v19, v18
	s_nop 1
	v_cndmask_b32_e64 v16, v61, v16, s[4:5]
.LBB15_59:
	s_or_b64 exec, exec, s[6:7]
	v_add_u32_e32 v18, -1, v17
	v_and_b32_e32 v19, 64, v17
	v_cmp_lt_i32_e64 s[4:5], v18, v19
	v_and_b32_e32 v16, 0xffff, v16
	v_cmp_eq_u32_e64 s[6:7], 0, v17
	v_cndmask_b32_e64 v18, v18, v17, s[4:5]
	v_lshlrev_b32_e32 v18, 2, v18
	ds_bpermute_b32 v62, v18, v16
	s_and_saveexec_b64 s[26:27], vcc
	s_cbranch_execz .LBB15_82
; %bb.60:
	v_mov_b32_e32 v19, 0
	ds_read_u16 v63, v19 offset:6
	s_and_saveexec_b64 s[4:5], s[6:7]
	s_cbranch_execz .LBB15_62
; %bb.61:
	s_add_i32 s8, s2, 64
	s_mov_b32 s9, 0
	s_lshl_b64 s[8:9], s[8:9], 2
	s_add_u32 s8, s24, s8
	s_addc_u32 s9, s25, s9
	s_waitcnt lgkmcnt(0)
	v_or_b32_e32 v16, 0x10000, v63
	global_store_dword v19, v16, s[8:9] sc1
.LBB15_62:
	s_or_b64 exec, exec, s[4:5]
	v_xad_u32 v16, v17, -1, s2
	v_add_u32_e32 v18, 64, v16
	v_lshl_add_u64 v[20:21], v[18:19], 2, s[24:25]
	global_load_dword v79, v[20:21], off sc1
	s_waitcnt vmcnt(0)
	v_lshrrev_b32_e32 v64, 16, v79
	v_cmp_eq_u16_sdwa s[8:9], v64, v19 src0_sel:BYTE_0 src1_sel:DWORD
	s_and_saveexec_b64 s[4:5], s[8:9]
	s_cbranch_execz .LBB15_66
; %bb.63:
	s_mov_b64 s[8:9], 0
	v_mov_b32_e32 v18, 0
.LBB15_64:                              ; =>This Inner Loop Header: Depth=1
	global_load_dword v79, v[20:21], off sc1
	s_waitcnt vmcnt(0)
	v_lshrrev_b32_e32 v64, 16, v79
	v_cmp_ne_u16_sdwa s[10:11], v64, v18 src0_sel:BYTE_0 src1_sel:DWORD
	s_or_b64 s[8:9], s[10:11], s[8:9]
	s_andn2_b64 exec, exec, s[8:9]
	s_cbranch_execnz .LBB15_64
; %bb.65:
	s_or_b64 exec, exec, s[8:9]
.LBB15_66:
	s_or_b64 exec, exec, s[4:5]
	v_and_b32_e32 v76, 63, v17
	v_cmp_ne_u32_e32 vcc, 63, v76
	v_mov_b32_e32 v65, 2
	v_and_b32_e32 v68, 0xffff, v79
	v_addc_co_u32_e32 v66, vcc, 0, v17, vcc
	v_lshlrev_b32_e32 v66, 2, v66
	v_cmp_eq_u16_sdwa s[4:5], v64, v65 src0_sel:BYTE_0 src1_sel:DWORD
	v_lshlrev_b64 v[18:19], v17, -1
	ds_bpermute_b32 v69, v66, v68
	v_and_b32_e32 v20, s5, v19
	v_or_b32_e32 v20, 0x80000000, v20
	v_and_b32_e32 v21, s4, v18
	v_ffbl_b32_e32 v20, v20
	v_add_u32_e32 v20, 32, v20
	v_ffbl_b32_e32 v21, v21
	v_min_u32_e32 v81, v21, v20
	s_waitcnt lgkmcnt(0)
	v_lshlrev_b32_e32 v20, 16, v69
	v_lshlrev_b32_e32 v21, 16, v79
	v_cmp_lt_f32_e32 vcc, v20, v21
	v_add_u32_e32 v67, 1, v17
	v_cmp_le_u32_e64 s[8:9], v67, v81
	v_cndmask_b32_e32 v20, v69, v79, vcc
	v_and_b32_e32 v21, 0xffff, v20
	v_cmp_gt_u32_e32 vcc, 62, v76
	v_cndmask_b32_e64 v21, v68, v21, s[8:9]
	v_lshlrev_b32_e32 v71, 16, v21
	v_cndmask_b32_e64 v68, 0, 1, vcc
	v_lshlrev_b32_e32 v68, 1, v68
	v_add_lshl_u32 v68, v68, v17, 2
	ds_bpermute_b32 v70, v68, v21
	v_cndmask_b32_e64 v20, v79, v20, s[8:9]
	v_add_u32_e32 v69, 2, v17
	v_cmp_le_u32_e64 s[10:11], v69, v81
	v_cmp_gt_u32_e64 s[4:5], 32, v76
	s_waitcnt lgkmcnt(0)
	v_lshlrev_b32_e32 v72, 16, v70
	v_cmp_lt_f32_e32 vcc, v72, v71
	s_nop 1
	v_cndmask_b32_e32 v71, v70, v20, vcc
	v_and_b32_e32 v70, 0xffff, v71
	v_cmp_gt_u32_e32 vcc, 60, v76
	v_cndmask_b32_e64 v21, v21, v70, s[10:11]
	v_lshlrev_b32_e32 v73, 16, v21
	v_cndmask_b32_e64 v70, 0, 1, vcc
	v_lshlrev_b32_e32 v70, 2, v70
	v_add_lshl_u32 v70, v70, v17, 2
	ds_bpermute_b32 v72, v70, v21
	v_cndmask_b32_e64 v20, v20, v71, s[10:11]
	v_add_u32_e32 v71, 4, v17
	v_cmp_le_u32_e64 s[12:13], v71, v81
	s_waitcnt lgkmcnt(0)
	v_lshlrev_b32_e32 v74, 16, v72
	v_cmp_lt_f32_e32 vcc, v74, v73
	s_nop 1
	v_cndmask_b32_e32 v73, v72, v20, vcc
	v_and_b32_e32 v72, 0xffff, v73
	v_cmp_gt_u32_e32 vcc, 56, v76
	v_cndmask_b32_e64 v21, v21, v72, s[12:13]
	v_lshlrev_b32_e32 v75, 16, v21
	v_cndmask_b32_e64 v72, 0, 1, vcc
	v_lshlrev_b32_e32 v72, 3, v72
	v_add_lshl_u32 v72, v72, v17, 2
	ds_bpermute_b32 v74, v72, v21
	v_cndmask_b32_e64 v20, v20, v73, s[12:13]
	v_add_u32_e32 v73, 8, v17
	v_cmp_le_u32_e64 s[14:15], v73, v81
	s_waitcnt lgkmcnt(0)
	v_lshlrev_b32_e32 v77, 16, v74
	v_cmp_lt_f32_e32 vcc, v77, v75
	s_nop 1
	v_cndmask_b32_e32 v75, v74, v20, vcc
	v_and_b32_e32 v74, 0xffff, v75
	v_cmp_gt_u32_e32 vcc, 48, v76
	v_cndmask_b32_e64 v77, v21, v74, s[14:15]
	v_lshlrev_b32_e32 v78, 16, v77
	v_cndmask_b32_e64 v21, 0, 1, vcc
	v_lshlrev_b32_e32 v21, 4, v21
	v_add_lshl_u32 v74, v21, v17, 2
	ds_bpermute_b32 v21, v74, v77
	v_cndmask_b32_e64 v20, v20, v75, s[14:15]
	v_add_u32_e32 v75, 16, v17
	v_cndmask_b32_e64 v76, 0, 1, s[4:5]
	v_lshlrev_b32_e32 v76, 5, v76
	s_waitcnt lgkmcnt(0)
	v_lshlrev_b32_e32 v80, 16, v21
	v_cmp_lt_f32_e32 vcc, v80, v78
	v_add_lshl_u32 v76, v76, v17, 2
	s_nop 0
	v_cndmask_b32_e32 v21, v21, v20, vcc
	v_and_b32_e32 v78, 0xffff, v21
	v_cmp_le_u32_e32 vcc, v75, v81
	s_nop 1
	v_cndmask_b32_e32 v78, v77, v78, vcc
	v_add_u32_e32 v77, 32, v17
	v_cmp_le_u32_e64 s[16:17], v77, v81
	ds_bpermute_b32 v80, v76, v78
	s_or_b64 s[10:11], s[10:11], s[16:17]
	s_or_b64 s[8:9], s[8:9], s[10:11]
	s_or_b64 s[8:9], s[12:13], s[8:9]
	s_or_b64 s[8:9], s[14:15], s[8:9]
	v_cmp_gt_u32_e64 s[4:5], v77, v81
	s_or_b64 s[10:11], vcc, s[8:9]
	s_and_saveexec_b64 s[8:9], s[10:11]
	s_cbranch_execz .LBB15_68
; %bb.67:
	v_cndmask_b32_e32 v17, v20, v21, vcc
	s_waitcnt lgkmcnt(0)
	v_lshlrev_b32_e32 v20, 16, v80
	v_lshlrev_b32_e32 v21, 16, v78
	v_cmp_lt_f32_e32 vcc, v20, v21
	s_or_b64 vcc, s[4:5], vcc
	s_nop 0
	v_cndmask_b32_e32 v79, v80, v17, vcc
.LBB15_68:
	s_or_b64 exec, exec, s[8:9]
	v_mov_b32_e32 v17, 0
	s_branch .LBB15_70
.LBB15_69:                              ;   in Loop: Header=BB15_70 Depth=1
                                        ; implicit-def: $vgpr79
                                        ; implicit-def: $vgpr64
	s_cbranch_execnz .LBB15_78
.LBB15_70:                              ; =>This Loop Header: Depth=1
                                        ;     Child Loop BB15_73 Depth 2
	v_cmp_ne_u16_sdwa s[4:5], v64, v65 src0_sel:BYTE_0 src1_sel:DWORD
	v_mov_b32_e32 v78, v79
	s_nop 0
	v_cndmask_b32_e64 v20, 0, 1, s[4:5]
	;;#ASMSTART
	;;#ASMEND
	s_nop 0
	v_cmp_ne_u32_e32 vcc, 0, v20
	s_cmp_lg_u64 vcc, exec
	s_cbranch_scc1 .LBB15_69
; %bb.71:                               ;   in Loop: Header=BB15_70 Depth=1
	v_lshl_add_u64 v[20:21], v[16:17], 2, s[24:25]
	global_load_dword v79, v[20:21], off sc1
	s_waitcnt vmcnt(0)
	v_lshrrev_b32_e32 v64, 16, v79
	v_cmp_eq_u16_sdwa s[8:9], v64, v17 src0_sel:BYTE_0 src1_sel:DWORD
	s_and_saveexec_b64 s[4:5], s[8:9]
	s_cbranch_execz .LBB15_75
; %bb.72:                               ;   in Loop: Header=BB15_70 Depth=1
	s_mov_b64 s[8:9], 0
.LBB15_73:                              ;   Parent Loop BB15_70 Depth=1
                                        ; =>  This Inner Loop Header: Depth=2
	global_load_dword v79, v[20:21], off sc1
	s_waitcnt vmcnt(0)
	v_lshrrev_b32_e32 v64, 16, v79
	v_cmp_ne_u16_sdwa s[10:11], v64, v17 src0_sel:BYTE_0 src1_sel:DWORD
	s_or_b64 s[8:9], s[10:11], s[8:9]
	s_andn2_b64 exec, exec, s[8:9]
	s_cbranch_execnz .LBB15_73
; %bb.74:                               ;   in Loop: Header=BB15_70 Depth=1
	s_or_b64 exec, exec, s[8:9]
.LBB15_75:                              ;   in Loop: Header=BB15_70 Depth=1
	s_or_b64 exec, exec, s[4:5]
	s_waitcnt lgkmcnt(0)
	v_and_b32_e32 v80, 0xffff, v79
	v_cmp_eq_u16_sdwa s[4:5], v64, v65 src0_sel:BYTE_0 src1_sel:DWORD
	ds_bpermute_b32 v81, v66, v80
	s_nop 0
	v_and_b32_e32 v20, s5, v19
	v_or_b32_e32 v20, 0x80000000, v20
	v_and_b32_e32 v21, s4, v18
	v_ffbl_b32_e32 v20, v20
	v_add_u32_e32 v20, 32, v20
	v_ffbl_b32_e32 v21, v21
	v_min_u32_e32 v82, v21, v20
	v_lshlrev_b32_e32 v20, 16, v79
	s_waitcnt lgkmcnt(0)
	v_lshlrev_b32_e32 v21, 16, v81
	v_cmp_lt_f32_e32 vcc, v21, v20
	v_cmp_le_u32_e64 s[8:9], v67, v82
	v_cmp_le_u32_e64 s[10:11], v69, v82
	v_cndmask_b32_e32 v20, v81, v79, vcc
	v_and_b32_e32 v21, 0xffff, v20
	v_cndmask_b32_e64 v21, v80, v21, s[8:9]
	ds_bpermute_b32 v80, v68, v21
	v_lshlrev_b32_e32 v81, 16, v21
	v_cndmask_b32_e64 v20, v79, v20, s[8:9]
	v_cmp_le_u32_e64 s[12:13], v71, v82
	v_cmp_le_u32_e64 s[14:15], v73, v82
	s_waitcnt lgkmcnt(0)
	v_lshlrev_b32_e32 v83, 16, v80
	v_cmp_lt_f32_e32 vcc, v83, v81
	v_cmp_le_u32_e64 s[4:5], v75, v82
	v_cmp_le_u32_e64 s[16:17], v77, v82
	v_cndmask_b32_e32 v80, v80, v20, vcc
	v_and_b32_e32 v81, 0xffff, v80
	v_cndmask_b32_e64 v21, v21, v81, s[10:11]
	ds_bpermute_b32 v81, v70, v21
	v_cndmask_b32_e64 v20, v20, v80, s[10:11]
	v_lshlrev_b32_e32 v80, 16, v21
	s_or_b64 s[10:11], s[10:11], s[16:17]
	s_or_b64 s[8:9], s[8:9], s[10:11]
	s_waitcnt lgkmcnt(0)
	v_lshlrev_b32_e32 v83, 16, v81
	v_cmp_lt_f32_e32 vcc, v83, v80
	s_or_b64 s[8:9], s[12:13], s[8:9]
	s_or_b64 s[8:9], s[14:15], s[8:9]
	v_cndmask_b32_e32 v80, v81, v20, vcc
	v_and_b32_e32 v81, 0xffff, v80
	v_cndmask_b32_e64 v21, v21, v81, s[12:13]
	ds_bpermute_b32 v81, v72, v21
	v_cndmask_b32_e64 v20, v20, v80, s[12:13]
	v_lshlrev_b32_e32 v80, 16, v21
	s_or_b64 s[10:11], s[4:5], s[8:9]
	s_waitcnt lgkmcnt(0)
	v_lshlrev_b32_e32 v83, 16, v81
	v_cmp_lt_f32_e32 vcc, v83, v80
	s_nop 1
	v_cndmask_b32_e32 v80, v81, v20, vcc
	v_and_b32_e32 v81, 0xffff, v80
	v_cndmask_b32_e64 v21, v21, v81, s[14:15]
	ds_bpermute_b32 v81, v74, v21
	v_cndmask_b32_e64 v20, v20, v80, s[14:15]
	v_lshlrev_b32_e32 v80, 16, v21
	s_waitcnt lgkmcnt(0)
	v_lshlrev_b32_e32 v83, 16, v81
	v_cmp_lt_f32_e32 vcc, v83, v80
	s_nop 1
	v_cndmask_b32_e32 v80, v81, v20, vcc
	v_and_b32_e32 v81, 0xffff, v80
	v_cndmask_b32_e64 v81, v21, v81, s[4:5]
	ds_bpermute_b32 v21, v76, v81
	v_cmp_gt_u32_e32 vcc, v77, v82
	s_and_saveexec_b64 s[8:9], s[10:11]
	s_cbranch_execz .LBB15_77
; %bb.76:                               ;   in Loop: Header=BB15_70 Depth=1
	v_cndmask_b32_e64 v20, v20, v80, s[4:5]
	s_waitcnt lgkmcnt(0)
	v_lshlrev_b32_e32 v79, 16, v21
	v_lshlrev_b32_e32 v80, 16, v81
	v_cmp_lt_f32_e64 s[4:5], v79, v80
	s_or_b64 vcc, vcc, s[4:5]
	v_cndmask_b32_e32 v79, v21, v20, vcc
.LBB15_77:                              ;   in Loop: Header=BB15_70 Depth=1
	s_or_b64 exec, exec, s[8:9]
	v_lshlrev_b32_e32 v20, 16, v78
	s_waitcnt lgkmcnt(0)
	v_lshlrev_b32_e32 v21, 16, v79
	v_cmp_lt_f32_e32 vcc, v21, v20
	v_subrev_u32_e32 v16, 64, v16
	s_nop 0
	v_cndmask_b32_e32 v79, v79, v78, vcc
	s_branch .LBB15_70
.LBB15_78:
	s_and_saveexec_b64 s[4:5], s[6:7]
	s_cbranch_execz .LBB15_80
; %bb.79:
	v_lshlrev_b32_e32 v16, 16, v63
	v_lshlrev_b32_e32 v17, 16, v78
	s_add_i32 s2, s2, 64
	s_mov_b32 s3, 0
	v_cmp_lt_f32_e32 vcc, v17, v16
	s_lshl_b64 s[2:3], s[2:3], 2
	s_add_u32 s2, s24, s2
	v_cndmask_b32_e32 v16, v78, v63, vcc
	s_mov_b32 s8, 0x20000
	s_addc_u32 s3, s25, s3
	v_mov_b32_e32 v17, 0
	v_or_b32_sdwa v16, v16, s8 dst_sel:DWORD dst_unused:UNUSED_PAD src0_sel:WORD_0 src1_sel:DWORD
	global_store_dword v17, v16, s[2:3] sc1
.LBB15_80:
	s_or_b64 exec, exec, s[4:5]
	v_cmp_eq_u32_e32 vcc, 0, v0
	s_and_b64 exec, exec, vcc
	s_cbranch_execz .LBB15_82
; %bb.81:
	v_mov_b32_e32 v16, 0
	ds_write_b16 v16, v78 offset:6
.LBB15_82:
	s_or_b64 exec, exec, s[26:27]
	v_mov_b32_e32 v17, 0
	s_waitcnt lgkmcnt(0)
	v_cndmask_b32_e64 v16, v62, v61, s[6:7]
	s_barrier
	ds_read_u16 v17, v17 offset:6
	v_lshlrev_b32_e32 v18, 16, v16
	v_cmp_eq_u32_e32 vcc, 0, v0
	v_cmp_gt_f32_e64 s[2:3], v60, v18
	s_or_b64 vcc, vcc, s[2:3]
	v_cndmask_b32_e32 v16, v16, v10, vcc
	v_lshlrev_b32_e32 v18, 16, v16
	s_waitcnt lgkmcnt(0)
	v_lshlrev_b32_e32 v19, 16, v17
	v_cmp_lt_f32_e32 vcc, v19, v18
	s_nop 1
	v_cndmask_b32_e32 v16, v17, v16, vcc
	v_lshlrev_b32_e32 v17, 16, v16
	v_cmp_gt_f32_e32 vcc, v59, v17
	s_nop 1
	v_cndmask_b32_e32 v17, v16, v55, vcc
	v_lshlrev_b32_e32 v18, 16, v17
	v_cmp_gt_f32_e32 vcc, v54, v18
	;; [unrolled: 4-line block ×23, first 2 shown]
	s_nop 1
	v_cndmask_b32_e32 v76, v75, v15, vcc
	s_load_dwordx4 s[4:7], s[0:1], 0x30
	s_branch .LBB15_97
.LBB15_83:
                                        ; implicit-def: $vgpr16
                                        ; implicit-def: $vgpr17
                                        ; implicit-def: $vgpr18
                                        ; implicit-def: $vgpr19
                                        ; implicit-def: $vgpr20
                                        ; implicit-def: $vgpr21
                                        ; implicit-def: $vgpr59
                                        ; implicit-def: $vgpr61
                                        ; implicit-def: $vgpr60
                                        ; implicit-def: $vgpr62
                                        ; implicit-def: $vgpr63
                                        ; implicit-def: $vgpr64
                                        ; implicit-def: $vgpr65
                                        ; implicit-def: $vgpr66
                                        ; implicit-def: $vgpr67
                                        ; implicit-def: $vgpr69
                                        ; implicit-def: $vgpr68
                                        ; implicit-def: $vgpr70
                                        ; implicit-def: $vgpr71
                                        ; implicit-def: $vgpr72
                                        ; implicit-def: $vgpr73
                                        ; implicit-def: $vgpr74
                                        ; implicit-def: $vgpr75
                                        ; implicit-def: $vgpr76
	s_load_dwordx4 s[4:7], s[0:1], 0x30
	s_cbranch_execz .LBB15_97
; %bb.84:
	s_load_dword s8, s[0:1], 0x40
	v_cmp_eq_u32_e32 vcc, 0, v0
	v_cmp_ne_u32_e64 s[2:3], 0, v0
	v_mov_b32_e32 v16, v10
	s_waitcnt lgkmcnt(0)
	s_bitcmp1_b32 s8, 0
	s_cselect_b64 s[8:9], -1, 0
	s_and_b64 s[10:11], vcc, s[8:9]
	s_and_saveexec_b64 s[8:9], s[10:11]
	s_cbranch_execz .LBB15_86
; %bb.85:
	v_mov_b32_e32 v16, 0
	global_load_ushort v16, v16, s[4:5]
	v_lshlrev_b32_e32 v17, 16, v10
	s_waitcnt vmcnt(0)
	v_lshlrev_b32_e32 v18, 16, v16
	v_cmp_lt_f32_e64 s[4:5], v18, v17
	s_nop 1
	v_cndmask_b32_e64 v16, v16, v10, s[4:5]
.LBB15_86:
	s_or_b64 exec, exec, s[8:9]
	v_and_b32_e32 v10, 0xffff0000, v10
	v_lshlrev_b32_e32 v17, 16, v16
	v_cmp_lt_f32_e64 s[4:5], v17, v10
	s_nop 1
	v_cndmask_b32_e64 v18, v16, v55, s[4:5]
	v_lshlrev_b32_e32 v19, 16, v18
	v_cmp_lt_f32_e64 s[4:5], v19, v54
	s_nop 1
	v_cndmask_b32_e64 v18, v18, v11, s[4:5]
	;; [unrolled: 4-line block ×23, first 2 shown]
	v_and_b32_e32 v21, 0xffff, v19
	v_mbcnt_hi_u32_b32 v18, -1, v58
	v_lshlrev_b32_e32 v60, 16, v19
	v_mov_b32_dpp v58, v21 row_shr:1 row_mask:0xf bank_mask:0xf
	v_lshlrev_b32_e32 v59, 16, v58
	v_cmp_lt_f32_e64 s[4:5], v59, v60
	v_and_b32_e32 v20, 15, v18
	s_nop 0
	v_cndmask_b32_e64 v58, v58, v19, s[4:5]
	v_and_b32_e32 v59, 0xffff, v58
	v_cmp_eq_u32_e64 s[4:5], 0, v20
	s_nop 1
	v_cndmask_b32_e64 v21, v59, v21, s[4:5]
	v_cndmask_b32_e64 v19, v58, v19, s[4:5]
	v_lshlrev_b32_e32 v59, 16, v21
	v_mov_b32_dpp v58, v21 row_shr:2 row_mask:0xf bank_mask:0xf
	v_lshlrev_b32_e32 v60, 16, v58
	v_cmp_lt_f32_e64 s[4:5], v60, v59
	s_nop 1
	v_cndmask_b32_e64 v58, v58, v19, s[4:5]
	v_and_b32_e32 v59, 0xffff, v58
	v_cmp_lt_u32_e64 s[4:5], 1, v20
	s_nop 1
	v_cndmask_b32_e64 v21, v21, v59, s[4:5]
	v_cndmask_b32_e64 v19, v19, v58, s[4:5]
	v_lshlrev_b32_e32 v59, 16, v21
	v_mov_b32_dpp v58, v21 row_shr:4 row_mask:0xf bank_mask:0xf
	v_lshlrev_b32_e32 v60, 16, v58
	v_cmp_lt_f32_e64 s[4:5], v60, v59
	s_nop 1
	v_cndmask_b32_e64 v58, v58, v19, s[4:5]
	v_and_b32_e32 v59, 0xffff, v58
	v_cmp_lt_u32_e64 s[4:5], 3, v20
	;; [unrolled: 11-line block ×3, first 2 shown]
	s_nop 1
	v_cndmask_b32_e64 v20, v21, v59, s[4:5]
	v_lshlrev_b32_e32 v59, 16, v20
	v_cndmask_b32_e64 v19, v19, v58, s[4:5]
	v_mov_b32_dpp v21, v20 row_bcast:15 row_mask:0xf bank_mask:0xf
	v_lshlrev_b32_e32 v60, 16, v21
	v_cmp_lt_f32_e64 s[4:5], v60, v59
	v_and_b32_e32 v58, 16, v18
	s_nop 0
	v_cndmask_b32_e64 v21, v21, v19, s[4:5]
	v_and_b32_e32 v59, 0xffff, v21
	v_cmp_eq_u32_e64 s[4:5], 0, v58
	s_nop 1
	v_cndmask_b32_e64 v20, v59, v20, s[4:5]
	v_cndmask_b32_e64 v19, v21, v19, s[4:5]
	s_nop 0
	v_mov_b32_dpp v21, v20 row_bcast:31 row_mask:0xf bank_mask:0xf
	v_lshlrev_b32_e32 v20, 16, v20
	v_lshlrev_b32_e32 v58, 16, v21
	v_cmp_lt_f32_e64 s[4:5], v58, v20
	s_nop 1
	v_cndmask_b32_e64 v20, v21, v19, s[4:5]
	v_cmp_lt_u32_e64 s[4:5], 31, v18
	s_nop 1
	v_cndmask_b32_e64 v19, v19, v20, s[4:5]
	v_cmp_eq_u32_e64 s[4:5], v57, v0
	s_and_saveexec_b64 s[8:9], s[4:5]
	s_cbranch_execz .LBB15_88
; %bb.87:
	v_lshlrev_b32_e32 v20, 1, v56
	ds_write_b16 v20, v19
.LBB15_88:
	s_or_b64 exec, exec, s[8:9]
	v_cmp_gt_u32_e64 s[4:5], 4, v0
	s_waitcnt lgkmcnt(0)
	s_barrier
	s_and_saveexec_b64 s[8:9], s[4:5]
	s_cbranch_execz .LBB15_90
; %bb.89:
	s_movk_i32 s4, 0xffd2
	v_mad_i32_i24 v20, v0, s4, v1
	ds_read_u16 v21, v20
	v_and_b32_e32 v57, 3, v18
	s_waitcnt lgkmcnt(0)
	v_and_b32_e32 v58, 0xffff, v21
	s_nop 1
	v_mov_b32_dpp v60, v58 row_shr:1 row_mask:0xf bank_mask:0xf
	v_lshlrev_b32_e32 v59, 16, v21
	v_lshlrev_b32_e32 v61, 16, v60
	v_cmp_lt_f32_e64 s[4:5], v61, v59
	s_nop 1
	v_cndmask_b32_e64 v59, v60, v21, s[4:5]
	v_and_b32_e32 v60, 0xffff, v59
	v_cmp_eq_u32_e64 s[4:5], 0, v57
	s_nop 1
	v_cndmask_b32_e64 v58, v60, v58, s[4:5]
	v_cndmask_b32_e64 v21, v59, v21, s[4:5]
	s_nop 0
	v_mov_b32_dpp v59, v58 row_shr:2 row_mask:0xf bank_mask:0xf
	v_lshlrev_b32_e32 v58, 16, v58
	v_lshlrev_b32_e32 v60, 16, v59
	v_cmp_lt_f32_e64 s[4:5], v60, v58
	s_nop 1
	v_cndmask_b32_e64 v58, v59, v21, s[4:5]
	v_cmp_lt_u32_e64 s[4:5], 1, v57
	s_nop 1
	v_cndmask_b32_e64 v21, v21, v58, s[4:5]
	ds_write_b16 v20, v21
.LBB15_90:
	s_or_b64 exec, exec, s[8:9]
	v_cmp_lt_u32_e64 s[4:5], 63, v0
	s_waitcnt lgkmcnt(0)
	s_barrier
	s_waitcnt lgkmcnt(0)
                                        ; implicit-def: $vgpr20
	s_and_saveexec_b64 s[8:9], s[4:5]
	s_cbranch_execz .LBB15_92
; %bb.91:
	v_lshl_add_u32 v20, v56, 1, -2
	ds_read_u16 v20, v20
	v_lshlrev_b32_e32 v21, 16, v19
	s_waitcnt lgkmcnt(0)
	v_lshlrev_b32_e32 v56, 16, v20
	v_cmp_lt_f32_e64 s[4:5], v56, v21
	s_nop 1
	v_cndmask_b32_e64 v19, v20, v19, s[4:5]
.LBB15_92:
	s_or_b64 exec, exec, s[8:9]
	v_add_u32_e32 v21, -1, v18
	v_and_b32_e32 v56, 64, v18
	v_cmp_lt_i32_e64 s[4:5], v21, v56
	v_and_b32_e32 v19, 0xffff, v19
	s_nop 0
	v_cndmask_b32_e64 v21, v21, v18, s[4:5]
	v_lshlrev_b32_e32 v21, 2, v21
	ds_bpermute_b32 v19, v21, v19
	s_and_saveexec_b64 s[4:5], s[2:3]
	s_cbranch_execz .LBB15_94
; %bb.93:
	v_cmp_eq_u32_e64 s[2:3], 0, v18
	s_waitcnt lgkmcnt(0)
	s_nop 0
	v_cndmask_b32_e64 v18, v19, v20, s[2:3]
	v_lshlrev_b32_e32 v19, 16, v18
	v_cmp_gt_f32_e64 s[2:3], v17, v19
	s_nop 1
	v_cndmask_b32_e64 v16, v18, v16, s[2:3]
	v_lshlrev_b32_e32 v17, 16, v16
.LBB15_94:
	s_or_b64 exec, exec, s[4:5]
	v_cmp_lt_f32_e64 s[2:3], v17, v10
	s_nop 1
	v_cndmask_b32_e64 v17, v16, v55, s[2:3]
	v_lshlrev_b32_e32 v10, 16, v17
	v_cmp_gt_f32_e64 s[2:3], v54, v10
	s_nop 1
	v_cndmask_b32_e64 v18, v17, v11, s[2:3]
	v_lshlrev_b32_e32 v10, 16, v18
	v_cmp_gt_f32_e64 s[2:3], v53, v10
	s_waitcnt lgkmcnt(0)
	s_nop 0
	v_cndmask_b32_e64 v19, v18, v44, s[2:3]
	v_lshlrev_b32_e32 v10, 16, v19
	v_cmp_gt_f32_e64 s[2:3], v52, v10
	s_nop 1
	v_cndmask_b32_e64 v20, v19, v12, s[2:3]
	v_lshlrev_b32_e32 v10, 16, v20
	v_cmp_gt_f32_e64 s[2:3], v51, v10
	s_nop 1
	v_cndmask_b32_e64 v21, v20, v40, s[2:3]
	v_lshlrev_b32_e32 v10, 16, v21
	v_cmp_gt_f32_e64 s[2:3], v50, v10
	s_nop 1
	v_cndmask_b32_e64 v59, v21, v13, s[2:3]
	v_lshlrev_b32_e32 v10, 16, v59
	v_cmp_gt_f32_e64 s[2:3], v49, v10
	s_nop 1
	v_cndmask_b32_e64 v61, v59, v37, s[2:3]
	v_lshlrev_b32_e32 v10, 16, v61
	v_cmp_gt_f32_e64 s[2:3], v48, v10
	s_nop 1
	v_cndmask_b32_e64 v60, v61, v6, s[2:3]
	v_lshlrev_b32_e32 v6, 16, v60
	v_cmp_gt_f32_e64 s[2:3], v47, v6
	s_nop 1
	v_cndmask_b32_e64 v62, v60, v33, s[2:3]
	v_lshlrev_b32_e32 v6, 16, v62
	v_cmp_gt_f32_e64 s[2:3], v46, v6
	s_nop 1
	v_cndmask_b32_e64 v63, v62, v7, s[2:3]
	v_lshlrev_b32_e32 v6, 16, v63
	v_cmp_gt_f32_e64 s[2:3], v45, v6
	s_nop 1
	v_cndmask_b32_e64 v64, v63, v30, s[2:3]
	v_lshlrev_b32_e32 v6, 16, v64
	v_cmp_gt_f32_e64 s[2:3], v43, v6
	s_nop 1
	v_cndmask_b32_e64 v65, v64, v8, s[2:3]
	v_lshlrev_b32_e32 v6, 16, v65
	v_cmp_gt_f32_e64 s[2:3], v42, v6
	s_nop 1
	v_cndmask_b32_e64 v66, v65, v27, s[2:3]
	v_lshlrev_b32_e32 v6, 16, v66
	v_cmp_gt_f32_e64 s[2:3], v41, v6
	s_nop 1
	v_cndmask_b32_e64 v67, v66, v9, s[2:3]
	v_lshlrev_b32_e32 v6, 16, v67
	v_cmp_gt_f32_e64 s[2:3], v39, v6
	s_nop 1
	v_cndmask_b32_e64 v69, v67, v26, s[2:3]
	v_lshlrev_b32_e32 v6, 16, v69
	v_cmp_gt_f32_e64 s[2:3], v38, v6
	s_nop 1
	v_cndmask_b32_e64 v68, v69, v2, s[2:3]
	v_lshlrev_b32_e32 v2, 16, v68
	v_cmp_gt_f32_e64 s[2:3], v36, v2
	s_nop 1
	v_cndmask_b32_e64 v70, v68, v25, s[2:3]
	v_lshlrev_b32_e32 v2, 16, v70
	v_cmp_gt_f32_e64 s[2:3], v35, v2
	s_nop 1
	v_cndmask_b32_e64 v71, v70, v3, s[2:3]
	v_lshlrev_b32_e32 v2, 16, v71
	v_cmp_gt_f32_e64 s[2:3], v34, v2
	s_nop 1
	v_cndmask_b32_e64 v72, v71, v24, s[2:3]
	v_lshlrev_b32_e32 v2, 16, v72
	v_cmp_gt_f32_e64 s[2:3], v32, v2
	s_nop 1
	v_cndmask_b32_e64 v73, v72, v4, s[2:3]
	v_lshlrev_b32_e32 v2, 16, v73
	v_cmp_gt_f32_e64 s[2:3], v31, v2
	s_nop 1
	v_cndmask_b32_e64 v74, v73, v23, s[2:3]
	v_lshlrev_b32_e32 v2, 16, v74
	v_cmp_gt_f32_e64 s[2:3], v29, v2
	s_nop 1
	v_cndmask_b32_e64 v75, v74, v5, s[2:3]
	v_lshlrev_b32_e32 v2, 16, v75
	v_cmp_gt_f32_e64 s[2:3], v28, v2
	s_and_saveexec_b64 s[4:5], vcc
	s_cbranch_execz .LBB15_96
; %bb.95:
	v_mov_b32_e32 v2, 0
	ds_read_u16 v3, v2 offset:6
	s_waitcnt lgkmcnt(0)
	v_or_b32_e32 v3, 0x20000, v3
	global_store_dword v2, v3, s[24:25] offset:256 sc1
.LBB15_96:
	s_or_b64 exec, exec, s[4:5]
	v_cndmask_b32_e64 v76, v75, v15, s[2:3]
.LBB15_97:
	s_add_u32 s2, s18, s22
	s_addc_u32 s3, s19, s23
	s_waitcnt lgkmcnt(0)
	s_mov_b64 s[4:5], -1
	s_and_b64 vcc, exec, s[20:21]
	s_barrier
	s_cbranch_vccz .LBB15_99
; %bb.98:
	s_mov_b32 s4, 0x5040100
	v_perm_b32 v5, v61, v59, s4
	v_perm_b32 v4, v21, v20, s4
	v_perm_b32 v3, v19, v18, s4
	v_perm_b32 v2, v17, v16, s4
	ds_write_b128 v1, v[2:5]
	v_perm_b32 v5, v69, v67, s4
	v_perm_b32 v4, v66, v65, s4
	v_perm_b32 v3, v64, v63, s4
	v_perm_b32 v2, v62, v60, s4
	ds_write_b128 v1, v[2:5] offset:16
	v_perm_b32 v5, v76, v75, s4
	v_perm_b32 v4, v74, v73, s4
	;; [unrolled: 1-line block ×4, first 2 shown]
	v_mov_b32_e32 v15, 0
	ds_write_b128 v1, v[2:5] offset:32
	s_waitcnt lgkmcnt(0)
	s_barrier
	ds_read_u16 v4, v14
	ds_read_u16 v5, v14 offset:512
	ds_read_u16 v6, v14 offset:1024
	;; [unrolled: 1-line block ×23, first 2 shown]
	v_lshl_add_u64 v[2:3], s[2:3], 0, v[14:15]
	s_movk_i32 s4, 0x1000
	s_waitcnt lgkmcnt(14)
	global_store_short v14, v4, s[2:3]
	global_store_short v14, v5, s[2:3] offset:512
	global_store_short v14, v6, s[2:3] offset:1024
	;; [unrolled: 1-line block ×7, first 2 shown]
	v_add_co_u32_e32 v4, vcc, s4, v2
	s_mov_b64 s[4:5], 0
	s_nop 0
	v_addc_co_u32_e32 v5, vcc, 0, v3, vcc
	v_add_co_u32_e32 v2, vcc, 0x2000, v2
	global_store_short v[4:5], v12, off
	global_store_short v[4:5], v13, off offset:512
	s_waitcnt lgkmcnt(13)
	global_store_short v[4:5], v23, off offset:1024
	s_waitcnt lgkmcnt(12)
	global_store_short v[4:5], v24, off offset:1536
	s_waitcnt lgkmcnt(11)
	global_store_short v[4:5], v25, off offset:2048
	s_waitcnt lgkmcnt(10)
	global_store_short v[4:5], v26, off offset:2560
	s_waitcnt lgkmcnt(9)
	global_store_short v[4:5], v27, off offset:3072
	s_waitcnt lgkmcnt(8)
	global_store_short v[4:5], v28, off offset:3584
	v_addc_co_u32_e32 v3, vcc, 0, v3, vcc
	s_waitcnt lgkmcnt(7)
	global_store_short v[2:3], v29, off
	s_waitcnt lgkmcnt(6)
	global_store_short v[2:3], v30, off offset:512
	s_waitcnt lgkmcnt(5)
	global_store_short v[2:3], v31, off offset:1024
	;; [unrolled: 2-line block ×7, first 2 shown]
.LBB15_99:
	s_andn2_b64 vcc, exec, s[4:5]
	s_cbranch_vccnz .LBB15_156
; %bb.100:
	s_mov_b32 s4, 0x5040100
	v_perm_b32 v5, v61, v59, s4
	v_perm_b32 v4, v21, v20, s4
	;; [unrolled: 1-line block ×4, first 2 shown]
	ds_write_b128 v1, v[2:5]
	v_perm_b32 v5, v69, v67, s4
	v_perm_b32 v4, v66, v65, s4
	;; [unrolled: 1-line block ×4, first 2 shown]
	ds_write_b128 v1, v[2:5] offset:16
	v_perm_b32 v5, v76, v75, s4
	v_perm_b32 v4, v74, v73, s4
	;; [unrolled: 1-line block ×4, first 2 shown]
	s_movk_i32 s4, 0xffd2
	ds_write_b128 v1, v[2:5] offset:32
	v_mad_i32_i24 v1, v0, s4, v1
	s_waitcnt lgkmcnt(0)
	s_barrier
	ds_read_u16 v5, v1
	ds_read_u16 v4, v1 offset:512
	ds_read_u16 v7, v1 offset:1024
	;; [unrolled: 1-line block ×23, first 2 shown]
	v_mov_b32_e32 v15, 0
	v_lshl_add_u64 v[2:3], s[2:3], 0, v[14:15]
	v_cmp_gt_u32_e32 vcc, s28, v0
	s_and_saveexec_b64 s[2:3], vcc
	s_cbranch_execz .LBB15_102
; %bb.101:
	s_waitcnt lgkmcnt(14)
	global_store_short v[2:3], v5, off
.LBB15_102:
	s_or_b64 exec, exec, s[2:3]
	v_or_b32_e32 v1, 0x100, v0
	v_cmp_gt_u32_e32 vcc, s28, v1
	s_and_saveexec_b64 s[2:3], vcc
	s_cbranch_execz .LBB15_104
; %bb.103:
	s_waitcnt lgkmcnt(14)
	global_store_short v[2:3], v4, off offset:512
.LBB15_104:
	s_or_b64 exec, exec, s[2:3]
	v_or_b32_e32 v1, 0x200, v0
	v_cmp_gt_u32_e32 vcc, s28, v1
	s_and_saveexec_b64 s[2:3], vcc
	s_cbranch_execz .LBB15_106
; %bb.105:
	s_waitcnt lgkmcnt(14)
	global_store_short v[2:3], v7, off offset:1024
.LBB15_106:
	;; [unrolled: 9-line block ×7, first 2 shown]
	s_or_b64 exec, exec, s[2:3]
	v_or_b32_e32 v1, 0x800, v0
	v_cmp_gt_u32_e32 vcc, s28, v1
	s_and_saveexec_b64 s[2:3], vcc
	s_cbranch_execz .LBB15_118
; %bb.117:
	v_add_co_u32_e32 v32, vcc, 0x1000, v2
	s_nop 1
	v_addc_co_u32_e32 v33, vcc, 0, v3, vcc
	s_waitcnt lgkmcnt(14)
	global_store_short v[32:33], v18, off
.LBB15_118:
	s_or_b64 exec, exec, s[2:3]
	v_or_b32_e32 v1, 0x900, v0
	v_cmp_gt_u32_e32 vcc, s28, v1
	s_and_saveexec_b64 s[2:3], vcc
	s_cbranch_execz .LBB15_120
; %bb.119:
	v_add_co_u32_e32 v32, vcc, 0x1000, v2
	s_nop 1
	v_addc_co_u32_e32 v33, vcc, 0, v3, vcc
	s_waitcnt lgkmcnt(14)
	global_store_short v[32:33], v26, off offset:512
.LBB15_120:
	s_or_b64 exec, exec, s[2:3]
	v_or_b32_e32 v1, 0xa00, v0
	v_cmp_gt_u32_e32 vcc, s28, v1
	s_and_saveexec_b64 s[2:3], vcc
	s_cbranch_execz .LBB15_122
; %bb.121:
	v_add_co_u32_e32 v32, vcc, 0x1000, v2
	s_nop 1
	v_addc_co_u32_e32 v33, vcc, 0, v3, vcc
	s_waitcnt lgkmcnt(13)
	global_store_short v[32:33], v23, off offset:1024
.LBB15_122:
	;; [unrolled: 12-line block ×7, first 2 shown]
	s_or_b64 exec, exec, s[2:3]
	v_or_b32_e32 v1, 0x1000, v0
	v_cmp_gt_u32_e32 vcc, s28, v1
	s_and_saveexec_b64 s[2:3], vcc
	s_cbranch_execz .LBB15_134
; %bb.133:
	v_add_co_u32_e32 v32, vcc, 0x2000, v2
	s_nop 1
	v_addc_co_u32_e32 v33, vcc, 0, v3, vcc
	s_waitcnt lgkmcnt(7)
	global_store_short v[32:33], v25, off
.LBB15_134:
	s_or_b64 exec, exec, s[2:3]
	v_or_b32_e32 v1, 0x1100, v0
	v_cmp_gt_u32_e32 vcc, s28, v1
	s_and_saveexec_b64 s[2:3], vcc
	s_cbranch_execz .LBB15_136
; %bb.135:
	v_add_co_u32_e32 v32, vcc, 0x2000, v2
	s_nop 1
	v_addc_co_u32_e32 v33, vcc, 0, v3, vcc
	s_waitcnt lgkmcnt(6)
	global_store_short v[32:33], v28, off offset:512
.LBB15_136:
	s_or_b64 exec, exec, s[2:3]
	v_or_b32_e32 v1, 0x1200, v0
	v_cmp_gt_u32_e32 vcc, s28, v1
	s_and_saveexec_b64 s[2:3], vcc
	s_cbranch_execz .LBB15_138
; %bb.137:
	v_add_co_u32_e32 v32, vcc, 0x2000, v2
	s_nop 1
	v_addc_co_u32_e32 v33, vcc, 0, v3, vcc
	s_waitcnt lgkmcnt(5)
	global_store_short v[32:33], v27, off offset:1024
.LBB15_138:
	;; [unrolled: 12-line block ×7, first 2 shown]
	s_or_b64 exec, exec, s[2:3]
	s_load_dword s0, s[0:1], 0x40
	s_waitcnt lgkmcnt(0)
	s_bfe_u32 s0, s0, 0x10008
	s_cmp_eq_u32 s0, 0
	s_cbranch_scc1 .LBB15_156
; %bb.149:
	s_add_u32 s0, s28, -1
	s_addc_u32 s1, s29, -1
	s_add_u32 s2, 0, 0xaaaa0000
	s_addc_u32 s3, 0, 42
	s_add_i32 s3, s3, 0xaaaaa80
	s_mul_hi_u32 s9, s2, 0xffffffe8
	s_sub_i32 s9, s9, s2
	s_mul_i32 s10, s3, 0xffffffe8
	s_mul_i32 s4, s2, 0xffffffe8
	s_add_i32 s9, s9, s10
	s_mul_hi_u32 s5, s3, s4
	s_mul_i32 s8, s3, s4
	s_mul_i32 s11, s2, s9
	s_mul_hi_u32 s4, s2, s4
	s_mul_hi_u32 s10, s2, s9
	s_add_u32 s4, s4, s11
	s_addc_u32 s10, 0, s10
	s_add_u32 s4, s4, s8
	s_mul_hi_u32 s11, s3, s9
	s_addc_u32 s4, s10, s5
	s_addc_u32 s5, s11, 0
	s_mul_i32 s8, s3, s9
	s_add_u32 s4, s4, s8
	v_mov_b32_e32 v2, s4
	s_addc_u32 s5, 0, s5
	v_add_co_u32_e32 v2, vcc, s2, v2
	s_cmp_lg_u64 vcc, 0
	s_addc_u32 s2, s3, s5
	v_readfirstlane_b32 s5, v2
	s_mul_i32 s4, s0, s2
	s_mul_hi_u32 s8, s0, s5
	s_mul_hi_u32 s3, s0, s2
	s_add_u32 s4, s8, s4
	s_addc_u32 s3, 0, s3
	s_mul_hi_u32 s9, s1, s5
	s_mul_i32 s5, s1, s5
	s_add_u32 s4, s4, s5
	s_mul_hi_u32 s8, s1, s2
	s_addc_u32 s3, s3, s9
	s_addc_u32 s4, s8, 0
	s_mul_i32 s2, s1, s2
	s_add_u32 s2, s3, s2
	s_addc_u32 s3, 0, s4
	s_add_u32 s4, s2, 1
	s_addc_u32 s5, s3, 0
	s_add_u32 s8, s2, 2
	s_mul_i32 s10, s3, 24
	s_mul_hi_u32 s11, s2, 24
	s_addc_u32 s9, s3, 0
	s_add_i32 s11, s11, s10
	s_mul_i32 s10, s2, 24
	v_mov_b32_e32 v2, s10
	v_sub_co_u32_e32 v2, vcc, s0, v2
	s_cmp_lg_u64 vcc, 0
	s_subb_u32 s10, s1, s11
	v_subrev_co_u32_e32 v3, vcc, 24, v2
	s_cmp_lg_u64 vcc, 0
	s_subb_u32 s11, s10, 0
	v_readfirstlane_b32 s12, v3
	s_cmp_gt_u32 s12, 23
	s_cselect_b32 s12, -1, 0
	s_cmp_eq_u32 s11, 0
	s_cselect_b32 s11, s12, -1
	s_cmp_lg_u32 s11, 0
	s_cselect_b32 s4, s8, s4
	v_readfirstlane_b32 s8, v2
	s_cselect_b32 s5, s9, s5
	s_cmp_gt_u32 s8, 23
	s_cselect_b32 s8, -1, 0
	s_cmp_eq_u32 s10, 0
	s_cselect_b32 s8, s8, -1
	s_cmp_lg_u32 s8, 0
	v_mov_b32_e32 v1, v15
	s_cselect_b32 s3, s5, s3
	s_cselect_b32 s2, s4, s2
	v_cmp_eq_u64_e32 vcc, s[2:3], v[0:1]
	s_and_saveexec_b64 s[2:3], vcc
	s_cbranch_execz .LBB15_156
; %bb.150:
	v_mul_hi_u32_u24_e32 v1, 24, v0
	v_mov_b32_e32 v2, s1
	v_sub_co_u32_e32 v0, vcc, s0, v22
	s_mov_b64 s[0:1], 0
	s_nop 0
	v_subb_co_u32_e32 v1, vcc, v2, v1, vcc
	v_cmp_lt_i64_e32 vcc, 11, v[0:1]
	s_mov_b64 s[10:11], 0
	s_mov_b64 s[8:9], 0
	;; [unrolled: 1-line block ×3, first 2 shown]
	s_and_saveexec_b64 s[2:3], vcc
	s_xor_b64 s[2:3], exec, s[2:3]
	s_cbranch_execnz .LBB15_157
; %bb.151:
	s_andn2_saveexec_b64 s[2:3], s[2:3]
	s_cbranch_execnz .LBB15_202
.LBB15_152:
	s_or_b64 exec, exec, s[2:3]
	s_and_saveexec_b64 s[2:3], s[10:11]
	s_cbranch_execnz .LBB15_219
.LBB15_153:
	s_or_b64 exec, exec, s[2:3]
	s_and_saveexec_b64 s[2:3], s[8:9]
	s_cbranch_execnz .LBB15_220
.LBB15_154:
	s_or_b64 exec, exec, s[2:3]
	s_and_saveexec_b64 s[2:3], s[4:5]
	s_xor_b64 s[2:3], exec, s[2:3]
	s_cbranch_execnz .LBB15_221
.LBB15_155:
	s_or_b64 exec, exec, s[2:3]
	s_and_b64 exec, exec, s[0:1]
	s_cbranch_execnz .LBB15_222
.LBB15_156:
	s_endpgm
.LBB15_157:
	v_cmp_lt_i64_e32 vcc, 17, v[0:1]
	s_and_saveexec_b64 s[12:13], vcc
	s_xor_b64 s[12:13], exec, s[12:13]
	s_cbranch_execz .LBB15_179
; %bb.158:
	v_cmp_lt_i64_e32 vcc, 20, v[0:1]
                                        ; implicit-def: $vgpr10
	s_and_saveexec_b64 s[14:15], vcc
	s_xor_b64 s[14:15], exec, s[14:15]
	s_cbranch_execz .LBB15_168
; %bb.159:
	v_cmp_lt_i64_e32 vcc, 21, v[0:1]
	s_mov_b64 s[16:17], 0
                                        ; implicit-def: $vgpr10
	s_and_saveexec_b64 s[4:5], vcc
	s_xor_b64 s[4:5], exec, s[4:5]
	s_cbranch_execz .LBB15_165
; %bb.160:
	v_cmp_lt_i64_e32 vcc, 22, v[0:1]
	s_and_saveexec_b64 s[16:17], vcc
	s_xor_b64 s[16:17], exec, s[16:17]
	s_cbranch_execz .LBB15_162
; %bb.161:
	v_mov_b32_e32 v2, 0
	global_store_short v2, v30, s[6:7]
                                        ; implicit-def: $vgpr29
.LBB15_162:
	s_or_saveexec_b64 s[16:17], s[16:17]
	s_mov_b64 s[18:19], 0
	s_xor_b64 exec, exec, s[16:17]
; %bb.163:
	s_mov_b64 s[18:19], exec
; %bb.164:
	s_or_b64 exec, exec, s[16:17]
	s_and_b64 s[16:17], s[18:19], exec
	v_mov_b32_e32 v10, v29
                                        ; implicit-def: $vgpr11
.LBB15_165:
	s_andn2_saveexec_b64 s[4:5], s[4:5]
; %bb.166:
	s_mov_b64 s[8:9], exec
                                        ; implicit-def: $vgpr10
; %bb.167:
	s_or_b64 exec, exec, s[4:5]
	s_and_b64 s[4:5], s[16:17], exec
	s_and_b64 s[8:9], s[8:9], exec
                                        ; implicit-def: $vgpr27
                                        ; implicit-def: $vgpr12
                                        ; implicit-def: $vgpr24
.LBB15_168:
	s_andn2_saveexec_b64 s[14:15], s[14:15]
	s_cbranch_execz .LBB15_178
; %bb.169:
	v_cmp_lt_i64_e32 vcc, 18, v[0:1]
	s_mov_b64 s[16:17], 0
	s_and_saveexec_b64 s[10:11], vcc
	s_xor_b64 s[10:11], exec, s[10:11]
	s_cbranch_execz .LBB15_175
; %bb.170:
	v_cmp_lt_i64_e32 vcc, 19, v[0:1]
	s_and_saveexec_b64 s[18:19], vcc
	s_xor_b64 s[18:19], exec, s[18:19]
; %bb.171:
	s_mov_b64 s[16:17], exec
                                        ; implicit-def: $vgpr24
; %bb.172:
	s_andn2_saveexec_b64 s[18:19], s[18:19]
	s_cbranch_execz .LBB15_174
; %bb.173:
	v_mov_b32_e32 v2, 0
	global_store_short v2, v24, s[6:7]
                                        ; implicit-def: $vgpr12
.LBB15_174:
	s_or_b64 exec, exec, s[18:19]
	s_and_b64 s[16:17], s[16:17], exec
                                        ; implicit-def: $vgpr27
.LBB15_175:
	s_andn2_saveexec_b64 s[10:11], s[10:11]
	s_cbranch_execz .LBB15_177
; %bb.176:
	v_mov_b32_e32 v2, 0
	global_store_short v2, v27, s[6:7]
                                        ; implicit-def: $vgpr12
.LBB15_177:
	s_or_b64 exec, exec, s[10:11]
	s_and_b64 s[10:11], s[16:17], exec
                                        ; implicit-def: $vgpr10
                                        ; implicit-def: $vgpr11
.LBB15_178:
	s_or_b64 exec, exec, s[14:15]
	s_and_b64 s[4:5], s[4:5], exec
	s_and_b64 s[8:9], s[8:9], exec
	;; [unrolled: 1-line block ×3, first 2 shown]
                                        ; implicit-def: $vgpr20
                                        ; implicit-def: $vgpr13
                                        ; implicit-def: $vgpr16
                                        ; implicit-def: $vgpr25
                                        ; implicit-def: $vgpr28
.LBB15_179:
	s_andn2_saveexec_b64 s[12:13], s[12:13]
	s_cbranch_execz .LBB15_201
; %bb.180:
	v_cmp_lt_i64_e32 vcc, 14, v[0:1]
	s_mov_b64 s[14:15], s[4:5]
	s_and_saveexec_b64 s[16:17], vcc
	s_xor_b64 s[16:17], exec, s[16:17]
	s_cbranch_execz .LBB15_190
; %bb.181:
	v_cmp_lt_i64_e32 vcc, 15, v[0:1]
	s_and_saveexec_b64 s[14:15], vcc
	s_xor_b64 s[14:15], exec, s[14:15]
	s_cbranch_execz .LBB15_187
; %bb.182:
	v_cmp_lt_i64_e32 vcc, 16, v[0:1]
	s_and_saveexec_b64 s[18:19], vcc
	s_xor_b64 s[18:19], exec, s[18:19]
	s_cbranch_execz .LBB15_184
; %bb.183:
	v_mov_b32_e32 v2, 0
	global_store_short v2, v28, s[6:7]
                                        ; implicit-def: $vgpr25
.LBB15_184:
	s_andn2_saveexec_b64 s[18:19], s[18:19]
	s_cbranch_execz .LBB15_186
; %bb.185:
	v_mov_b32_e32 v2, 0
	global_store_short v2, v25, s[6:7]
.LBB15_186:
	s_or_b64 exec, exec, s[18:19]
                                        ; implicit-def: $vgpr10
.LBB15_187:
	s_or_saveexec_b64 s[14:15], s[14:15]
	s_mov_b64 s[18:19], s[4:5]
	s_xor_b64 exec, exec, s[14:15]
; %bb.188:
	s_or_b64 s[18:19], s[4:5], exec
; %bb.189:
	s_or_b64 exec, exec, s[14:15]
	s_andn2_b64 s[14:15], s[4:5], exec
	s_and_b64 s[18:19], s[18:19], exec
	s_or_b64 s[14:15], s[14:15], s[18:19]
                                        ; implicit-def: $vgpr20
                                        ; implicit-def: $vgpr13
                                        ; implicit-def: $vgpr16
.LBB15_190:
	s_or_saveexec_b64 s[16:17], s[16:17]
	s_mov_b64 s[18:19], s[8:9]
                                        ; implicit-def: $vgpr11
	s_xor_b64 exec, exec, s[16:17]
	s_cbranch_execz .LBB15_200
; %bb.191:
	v_cmp_lt_i64_e32 vcc, 12, v[0:1]
	s_mov_b64 s[20:21], s[8:9]
	s_mov_b64 s[22:23], s[14:15]
                                        ; implicit-def: $vgpr10
                                        ; implicit-def: $vgpr11
	s_and_saveexec_b64 s[18:19], vcc
	s_xor_b64 s[18:19], exec, s[18:19]
	s_cbranch_execz .LBB15_197
; %bb.192:
	v_cmp_lt_i64_e32 vcc, 13, v[0:1]
	s_mov_b64 s[20:21], s[14:15]
	s_and_saveexec_b64 s[22:23], vcc
	s_xor_b64 s[22:23], exec, s[22:23]
; %bb.193:
	s_or_b64 s[20:21], s[14:15], exec
                                        ; implicit-def: $vgpr13
; %bb.194:
	s_or_saveexec_b64 s[22:23], s[22:23]
	s_mov_b64 s[24:25], s[8:9]
	s_xor_b64 exec, exec, s[22:23]
; %bb.195:
	s_or_b64 s[24:25], s[8:9], exec
                                        ; implicit-def: $vgpr16
; %bb.196:
	s_or_b64 exec, exec, s[22:23]
	s_andn2_b64 s[22:23], s[14:15], exec
	s_and_b64 s[20:21], s[20:21], exec
	s_or_b64 s[22:23], s[22:23], s[20:21]
	s_andn2_b64 s[20:21], s[8:9], exec
	s_and_b64 s[24:25], s[24:25], exec
	s_or_b64 s[20:21], s[20:21], s[24:25]
	v_mov_b32_e32 v10, v16
	v_mov_b32_e32 v11, v13
                                        ; implicit-def: $vgpr20
.LBB15_197:
	s_andn2_saveexec_b64 s[18:19], s[18:19]
; %bb.198:
	s_or_b64 s[20:21], s[20:21], exec
                                        ; implicit-def: $vgpr10
	v_mov_b32_e32 v11, v20
; %bb.199:
	s_or_b64 exec, exec, s[18:19]
	s_andn2_b64 s[14:15], s[14:15], exec
	s_and_b64 s[18:19], s[22:23], exec
	s_or_b64 s[14:15], s[14:15], s[18:19]
	s_andn2_b64 s[18:19], s[8:9], exec
	s_and_b64 s[20:21], s[20:21], exec
	s_or_b64 s[18:19], s[18:19], s[20:21]
.LBB15_200:
	s_or_b64 exec, exec, s[16:17]
	s_andn2_b64 s[4:5], s[4:5], exec
	s_and_b64 s[14:15], s[14:15], exec
	s_or_b64 s[4:5], s[4:5], s[14:15]
	s_andn2_b64 s[8:9], s[8:9], exec
	s_and_b64 s[14:15], s[18:19], exec
	s_or_b64 s[8:9], s[8:9], s[14:15]
                                        ; implicit-def: $vgpr12
.LBB15_201:
	s_or_b64 exec, exec, s[12:13]
	s_and_b64 s[4:5], s[4:5], exec
	s_and_b64 s[8:9], s[8:9], exec
	s_and_b64 s[10:11], s[10:11], exec
                                        ; implicit-def: $vgpr19
                                        ; implicit-def: $vgpr17
                                        ; implicit-def: $vgpr18
                                        ; implicit-def: $vgpr26
                                        ; implicit-def: $vgpr23
                                        ; implicit-def: $vgpr21
	s_andn2_saveexec_b64 s[2:3], s[2:3]
	s_cbranch_execz .LBB15_152
.LBB15_202:
	v_cmp_lt_i64_e32 vcc, 5, v[0:1]
	s_mov_b64 s[14:15], -1
	s_mov_b64 s[12:13], s[10:11]
	s_mov_b64 s[16:17], s[8:9]
	;; [unrolled: 1-line block ×3, first 2 shown]
                                        ; implicit-def: $vgpr10
                                        ; implicit-def: $vgpr11
                                        ; implicit-def: $vgpr12
	s_and_saveexec_b64 s[0:1], vcc
	s_cbranch_execz .LBB15_218
; %bb.203:
	v_cmp_lt_i64_e32 vcc, 8, v[0:1]
	s_mov_b64 s[12:13], s[10:11]
                                        ; implicit-def: $vgpr12
	s_and_saveexec_b64 s[14:15], vcc
	s_xor_b64 s[14:15], exec, s[14:15]
	s_cbranch_execz .LBB15_213
; %bb.204:
	v_cmp_lt_i64_e32 vcc, 9, v[0:1]
	s_and_saveexec_b64 s[12:13], vcc
	s_xor_b64 s[12:13], exec, s[12:13]
	s_cbranch_execz .LBB15_210
; %bb.205:
	v_cmp_lt_i64_e32 vcc, 10, v[0:1]
	s_and_saveexec_b64 s[16:17], vcc
	s_xor_b64 s[16:17], exec, s[16:17]
; %bb.206:
                                        ; implicit-def: $vgpr23
; %bb.207:
	s_andn2_saveexec_b64 s[16:17], s[16:17]
; %bb.208:
	v_mov_b32_e32 v21, v23
; %bb.209:
	s_or_b64 exec, exec, s[16:17]
                                        ; implicit-def: $vgpr26
.LBB15_210:
	s_andn2_saveexec_b64 s[12:13], s[12:13]
; %bb.211:
	v_mov_b32_e32 v21, v26
; %bb.212:
	s_or_b64 exec, exec, s[12:13]
	s_or_b64 s[12:13], s[10:11], exec
	v_mov_b32_e32 v12, v21
                                        ; implicit-def: $vgpr19
                                        ; implicit-def: $vgpr17
                                        ; implicit-def: $vgpr18
.LBB15_213:
	s_or_saveexec_b64 s[14:15], s[14:15]
	s_mov_b64 s[16:17], s[8:9]
	s_mov_b64 s[20:21], s[4:5]
                                        ; implicit-def: $vgpr10
                                        ; implicit-def: $vgpr11
	s_xor_b64 exec, exec, s[14:15]
	s_cbranch_execz .LBB15_217
; %bb.214:
	v_cmp_lt_i64_e32 vcc, 6, v[0:1]
	s_mov_b64 s[20:21], -1
	s_mov_b64 s[18:19], s[12:13]
	s_mov_b64 s[16:17], s[8:9]
	s_and_saveexec_b64 s[22:23], vcc
; %bb.215:
	v_cmp_lt_i64_e32 vcc, 7, v[0:1]
	s_andn2_b64 s[18:19], s[12:13], exec
	s_and_b64 s[24:25], vcc, exec
	s_xor_b64 s[20:21], exec, -1
	s_or_b64 s[16:17], s[8:9], exec
	s_or_b64 s[18:19], s[18:19], s[24:25]
                                        ; implicit-def: $vgpr19
; %bb.216:
	s_or_b64 exec, exec, s[22:23]
	s_andn2_b64 s[22:23], s[4:5], exec
	s_and_b64 s[20:21], s[20:21], exec
	s_or_b64 s[20:21], s[22:23], s[20:21]
	s_andn2_b64 s[22:23], s[8:9], exec
	s_and_b64 s[16:17], s[16:17], exec
	s_andn2_b64 s[12:13], s[12:13], exec
	s_and_b64 s[18:19], s[18:19], exec
	s_or_b64 s[16:17], s[22:23], s[16:17]
	s_or_b64 s[12:13], s[12:13], s[18:19]
	v_mov_b32_e32 v10, v19
	v_mov_b32_e32 v11, v17
	;; [unrolled: 1-line block ×3, first 2 shown]
.LBB15_217:
	s_or_b64 exec, exec, s[14:15]
	s_andn2_b64 s[18:19], s[4:5], exec
	s_and_b64 s[20:21], s[20:21], exec
	s_or_b64 s[18:19], s[18:19], s[20:21]
	s_andn2_b64 s[20:21], s[8:9], exec
	s_and_b64 s[16:17], s[16:17], exec
	s_or_b64 s[16:17], s[20:21], s[16:17]
	s_andn2_b64 s[20:21], s[10:11], exec
	s_and_b64 s[12:13], s[12:13], exec
	s_xor_b64 s[14:15], exec, -1
	s_or_b64 s[12:13], s[20:21], s[12:13]
.LBB15_218:
	s_or_b64 exec, exec, s[0:1]
	s_and_b64 s[0:1], s[14:15], exec
	s_andn2_b64 s[4:5], s[4:5], exec
	s_and_b64 s[14:15], s[18:19], exec
	s_or_b64 s[4:5], s[4:5], s[14:15]
	s_andn2_b64 s[8:9], s[8:9], exec
	s_and_b64 s[14:15], s[16:17], exec
	s_andn2_b64 s[10:11], s[10:11], exec
	s_and_b64 s[12:13], s[12:13], exec
	s_or_b64 s[8:9], s[8:9], s[14:15]
	s_or_b64 s[10:11], s[10:11], s[12:13]
	s_or_b64 exec, exec, s[2:3]
	s_and_saveexec_b64 s[2:3], s[10:11]
	s_cbranch_execz .LBB15_153
.LBB15_219:
	v_mov_b32_e32 v2, 0
	s_andn2_b64 s[8:9], s[8:9], exec
	global_store_short v2, v12, s[6:7]
                                        ; implicit-def: $vgpr10
                                        ; implicit-def: $vgpr11
	s_or_b64 exec, exec, s[2:3]
	s_and_saveexec_b64 s[2:3], s[8:9]
	s_cbranch_execz .LBB15_154
.LBB15_220:
	v_mov_b32_e32 v2, 0
	global_store_short v2, v11, s[6:7]
                                        ; implicit-def: $vgpr10
	s_or_b64 exec, exec, s[2:3]
	s_and_saveexec_b64 s[2:3], s[4:5]
	s_xor_b64 s[2:3], exec, s[2:3]
	s_cbranch_execz .LBB15_155
.LBB15_221:
	v_mov_b32_e32 v2, 0
	global_store_short v2, v10, s[6:7]
	s_or_b64 exec, exec, s[2:3]
	s_and_b64 exec, exec, s[0:1]
	s_cbranch_execz .LBB15_156
.LBB15_222:
	v_cmp_lt_i64_e32 vcc, 2, v[0:1]
	s_and_saveexec_b64 s[0:1], vcc
	s_xor_b64 s[0:1], exec, s[0:1]
	s_cbranch_execz .LBB15_232
; %bb.223:
	v_cmp_lt_i64_e32 vcc, 3, v[0:1]
	s_and_saveexec_b64 s[2:3], vcc
	s_xor_b64 s[2:3], exec, s[2:3]
	s_cbranch_execz .LBB15_229
; %bb.224:
	;; [unrolled: 5-line block ×3, first 2 shown]
	v_mov_b32_e32 v0, 0
	global_store_short v0, v9, s[6:7]
                                        ; implicit-def: $vgpr6
.LBB15_226:
	s_andn2_saveexec_b64 s[4:5], s[4:5]
	s_cbranch_execz .LBB15_228
; %bb.227:
	v_mov_b32_e32 v0, 0
	global_store_short v0, v6, s[6:7]
.LBB15_228:
	s_or_b64 exec, exec, s[4:5]
                                        ; implicit-def: $vgpr8
.LBB15_229:
	s_andn2_saveexec_b64 s[2:3], s[2:3]
	s_cbranch_execz .LBB15_231
; %bb.230:
	v_mov_b32_e32 v0, 0
	global_store_short v0, v8, s[6:7]
.LBB15_231:
	s_or_b64 exec, exec, s[2:3]
                                        ; implicit-def: $vgpr0_vgpr1
                                        ; implicit-def: $vgpr7
                                        ; implicit-def: $vgpr4
                                        ; implicit-def: $vgpr5
.LBB15_232:
	s_andn2_saveexec_b64 s[0:1], s[0:1]
	s_cbranch_execz .LBB15_156
; %bb.233:
	v_cmp_lt_i64_e32 vcc, 1, v[0:1]
	s_and_saveexec_b64 s[0:1], vcc
	s_xor_b64 s[0:1], exec, s[0:1]
	s_cbranch_execz .LBB15_235
; %bb.234:
	v_mov_b32_e32 v0, 0
	global_store_short v0, v7, s[6:7]
                                        ; implicit-def: $vgpr4
                                        ; implicit-def: $vgpr0_vgpr1
                                        ; implicit-def: $vgpr5
.LBB15_235:
	s_andn2_saveexec_b64 s[0:1], s[0:1]
	s_cbranch_execz .LBB15_156
; %bb.236:
	v_cmp_ne_u64_e32 vcc, 1, v[0:1]
	s_and_saveexec_b64 s[0:1], vcc
	s_xor_b64 s[0:1], exec, s[0:1]
	s_cbranch_execz .LBB15_238
; %bb.237:
	v_mov_b32_e32 v0, 0
	global_store_short v0, v5, s[6:7]
                                        ; implicit-def: $vgpr4
.LBB15_238:
	s_andn2_saveexec_b64 s[0:1], s[0:1]
	s_cbranch_execz .LBB15_156
; %bb.239:
	v_mov_b32_e32 v0, 0
	global_store_short v0, v4, s[6:7]
	s_endpgm
	.section	.rodata,"a",@progbits
	.p2align	6, 0x0
	.amdhsa_kernel _ZN7rocprim6detail20lookback_scan_kernelILNS0_25lookback_scan_determinismE0ELb0ENS0_19wrapped_scan_configINS_14default_configE12hip_bfloat16EEPS5_S7_N6hipcub3MaxES5_S5_NS0_19lookback_scan_stateIS5_Lb0ELb1EEEEEvT2_T3_mT5_T4_T7_jPT6_SI_bb
		.amdhsa_group_segment_fixed_size 12288
		.amdhsa_private_segment_fixed_size 0
		.amdhsa_kernarg_size 68
		.amdhsa_user_sgpr_count 2
		.amdhsa_user_sgpr_dispatch_ptr 0
		.amdhsa_user_sgpr_queue_ptr 0
		.amdhsa_user_sgpr_kernarg_segment_ptr 1
		.amdhsa_user_sgpr_dispatch_id 0
		.amdhsa_user_sgpr_kernarg_preload_length 0
		.amdhsa_user_sgpr_kernarg_preload_offset 0
		.amdhsa_user_sgpr_private_segment_size 0
		.amdhsa_uses_dynamic_stack 0
		.amdhsa_enable_private_segment 0
		.amdhsa_system_sgpr_workgroup_id_x 1
		.amdhsa_system_sgpr_workgroup_id_y 0
		.amdhsa_system_sgpr_workgroup_id_z 0
		.amdhsa_system_sgpr_workgroup_info 0
		.amdhsa_system_vgpr_workitem_id 0
		.amdhsa_next_free_vgpr 84
		.amdhsa_next_free_sgpr 30
		.amdhsa_accum_offset 84
		.amdhsa_reserve_vcc 1
		.amdhsa_float_round_mode_32 0
		.amdhsa_float_round_mode_16_64 0
		.amdhsa_float_denorm_mode_32 3
		.amdhsa_float_denorm_mode_16_64 3
		.amdhsa_dx10_clamp 1
		.amdhsa_ieee_mode 1
		.amdhsa_fp16_overflow 0
		.amdhsa_tg_split 0
		.amdhsa_exception_fp_ieee_invalid_op 0
		.amdhsa_exception_fp_denorm_src 0
		.amdhsa_exception_fp_ieee_div_zero 0
		.amdhsa_exception_fp_ieee_overflow 0
		.amdhsa_exception_fp_ieee_underflow 0
		.amdhsa_exception_fp_ieee_inexact 0
		.amdhsa_exception_int_div_zero 0
	.end_amdhsa_kernel
	.section	.text._ZN7rocprim6detail20lookback_scan_kernelILNS0_25lookback_scan_determinismE0ELb0ENS0_19wrapped_scan_configINS_14default_configE12hip_bfloat16EEPS5_S7_N6hipcub3MaxES5_S5_NS0_19lookback_scan_stateIS5_Lb0ELb1EEEEEvT2_T3_mT5_T4_T7_jPT6_SI_bb,"axG",@progbits,_ZN7rocprim6detail20lookback_scan_kernelILNS0_25lookback_scan_determinismE0ELb0ENS0_19wrapped_scan_configINS_14default_configE12hip_bfloat16EEPS5_S7_N6hipcub3MaxES5_S5_NS0_19lookback_scan_stateIS5_Lb0ELb1EEEEEvT2_T3_mT5_T4_T7_jPT6_SI_bb,comdat
.Lfunc_end15:
	.size	_ZN7rocprim6detail20lookback_scan_kernelILNS0_25lookback_scan_determinismE0ELb0ENS0_19wrapped_scan_configINS_14default_configE12hip_bfloat16EEPS5_S7_N6hipcub3MaxES5_S5_NS0_19lookback_scan_stateIS5_Lb0ELb1EEEEEvT2_T3_mT5_T4_T7_jPT6_SI_bb, .Lfunc_end15-_ZN7rocprim6detail20lookback_scan_kernelILNS0_25lookback_scan_determinismE0ELb0ENS0_19wrapped_scan_configINS_14default_configE12hip_bfloat16EEPS5_S7_N6hipcub3MaxES5_S5_NS0_19lookback_scan_stateIS5_Lb0ELb1EEEEEvT2_T3_mT5_T4_T7_jPT6_SI_bb
                                        ; -- End function
	.section	.AMDGPU.csdata,"",@progbits
; Kernel info:
; codeLenInByte = 11092
; NumSgprs: 36
; NumVgprs: 84
; NumAgprs: 0
; TotalNumVgprs: 84
; ScratchSize: 0
; MemoryBound: 0
; FloatMode: 240
; IeeeMode: 1
; LDSByteSize: 12288 bytes/workgroup (compile time only)
; SGPRBlocks: 4
; VGPRBlocks: 10
; NumSGPRsForWavesPerEU: 36
; NumVGPRsForWavesPerEU: 84
; AccumOffset: 84
; Occupancy: 5
; WaveLimiterHint : 1
; COMPUTE_PGM_RSRC2:SCRATCH_EN: 0
; COMPUTE_PGM_RSRC2:USER_SGPR: 2
; COMPUTE_PGM_RSRC2:TRAP_HANDLER: 0
; COMPUTE_PGM_RSRC2:TGID_X_EN: 1
; COMPUTE_PGM_RSRC2:TGID_Y_EN: 0
; COMPUTE_PGM_RSRC2:TGID_Z_EN: 0
; COMPUTE_PGM_RSRC2:TIDIG_COMP_CNT: 0
; COMPUTE_PGM_RSRC3_GFX90A:ACCUM_OFFSET: 20
; COMPUTE_PGM_RSRC3_GFX90A:TG_SPLIT: 0
	.section	.text._ZN7rocprim6detail16transform_kernelINS0_24wrapped_transform_configINS_14default_configE12hip_bfloat16EES4_PS4_S6_NS_8identityIS4_EEEEvT1_mT2_T3_,"axG",@progbits,_ZN7rocprim6detail16transform_kernelINS0_24wrapped_transform_configINS_14default_configE12hip_bfloat16EES4_PS4_S6_NS_8identityIS4_EEEEvT1_mT2_T3_,comdat
	.protected	_ZN7rocprim6detail16transform_kernelINS0_24wrapped_transform_configINS_14default_configE12hip_bfloat16EES4_PS4_S6_NS_8identityIS4_EEEEvT1_mT2_T3_ ; -- Begin function _ZN7rocprim6detail16transform_kernelINS0_24wrapped_transform_configINS_14default_configE12hip_bfloat16EES4_PS4_S6_NS_8identityIS4_EEEEvT1_mT2_T3_
	.globl	_ZN7rocprim6detail16transform_kernelINS0_24wrapped_transform_configINS_14default_configE12hip_bfloat16EES4_PS4_S6_NS_8identityIS4_EEEEvT1_mT2_T3_
	.p2align	8
	.type	_ZN7rocprim6detail16transform_kernelINS0_24wrapped_transform_configINS_14default_configE12hip_bfloat16EES4_PS4_S6_NS_8identityIS4_EEEEvT1_mT2_T3_,@function
_ZN7rocprim6detail16transform_kernelINS0_24wrapped_transform_configINS_14default_configE12hip_bfloat16EES4_PS4_S6_NS_8identityIS4_EEEEvT1_mT2_T3_: ; @_ZN7rocprim6detail16transform_kernelINS0_24wrapped_transform_configINS_14default_configE12hip_bfloat16EES4_PS4_S6_NS_8identityIS4_EEEEvT1_mT2_T3_
; %bb.0:
	s_load_dword s3, s[0:1], 0x20
	s_load_dwordx4 s[4:7], s[0:1], 0x0
	s_load_dwordx2 s[28:29], s[0:1], 0x10
	s_lshl_b32 s0, s2, 11
	s_mov_b32 s1, 0
	s_waitcnt lgkmcnt(0)
	s_add_i32 s3, s3, -1
	s_lshl_b64 s[30:31], s[0:1], 1
	s_add_u32 s4, s4, s30
	s_addc_u32 s5, s5, s31
	v_mov_b32_e32 v3, 0
	v_lshlrev_b32_e32 v2, 1, v0
	s_cmp_lg_u32 s2, s3
	v_lshl_add_u64 v[4:5], s[4:5], 0, v[2:3]
	s_cbranch_scc0 .LBB16_2
; %bb.1:
	global_load_ushort v1, v[4:5], off
	global_load_ushort v3, v[4:5], off offset:256
	global_load_ushort v6, v[4:5], off offset:512
	global_load_ushort v7, v[4:5], off offset:768
	global_load_ushort v9, v[4:5], off offset:1024
	global_load_ushort v10, v[4:5], off offset:1280
	global_load_ushort v11, v[4:5], off offset:1536
	global_load_ushort v12, v[4:5], off offset:1792
	global_load_ushort v13, v[4:5], off offset:2048
	global_load_ushort v14, v[4:5], off offset:2304
	global_load_ushort v15, v[4:5], off offset:2560
	global_load_ushort v16, v[4:5], off offset:2816
	global_load_ushort v17, v[4:5], off offset:3072
	global_load_ushort v18, v[4:5], off offset:3328
	global_load_ushort v19, v[4:5], off offset:3584
	global_load_ushort v8, v[4:5], off offset:3840
	s_add_u32 s4, s28, s30
	s_addc_u32 s5, s29, s31
	s_mov_b64 s[34:35], -1
	s_waitcnt vmcnt(15)
	global_store_short v2, v1, s[4:5]
	s_waitcnt vmcnt(15)
	global_store_short v2, v3, s[4:5] offset:256
	s_waitcnt vmcnt(15)
	global_store_short v2, v6, s[4:5] offset:512
	s_waitcnt vmcnt(15)
	global_store_short v2, v7, s[4:5] offset:768
	s_waitcnt vmcnt(15)
	global_store_short v2, v9, s[4:5] offset:1024
	s_waitcnt vmcnt(15)
	global_store_short v2, v10, s[4:5] offset:1280
	s_waitcnt vmcnt(15)
	global_store_short v2, v11, s[4:5] offset:1536
	s_waitcnt vmcnt(15)
	global_store_short v2, v12, s[4:5] offset:1792
	s_waitcnt vmcnt(15)
	global_store_short v2, v13, s[4:5] offset:2048
	s_waitcnt vmcnt(15)
	global_store_short v2, v14, s[4:5] offset:2304
	s_waitcnt vmcnt(15)
	global_store_short v2, v15, s[4:5] offset:2560
	s_waitcnt vmcnt(15)
	global_store_short v2, v16, s[4:5] offset:2816
	s_waitcnt vmcnt(15)
	global_store_short v2, v17, s[4:5] offset:3072
	s_waitcnt vmcnt(15)
	global_store_short v2, v18, s[4:5] offset:3328
	s_waitcnt vmcnt(15)
	global_store_short v2, v19, s[4:5] offset:3584
	s_cbranch_execz .LBB16_3
	s_branch .LBB16_52
.LBB16_2:
	s_mov_b64 s[34:35], 0
                                        ; implicit-def: $vgpr8
.LBB16_3:
	s_sub_i32 s33, s6, s0
	v_cmp_gt_u32_e32 vcc, s33, v0
                                        ; implicit-def: $vgpr6
	s_and_saveexec_b64 s[0:1], vcc
	s_cbranch_execz .LBB16_5
; %bb.4:
	global_load_ushort v6, v[4:5], off
.LBB16_5:
	s_or_b64 exec, exec, s[0:1]
	v_or_b32_e32 v1, 0x80, v0
	v_cmp_gt_u32_e64 s[0:1], s33, v1
                                        ; implicit-def: $vgpr7
	s_and_saveexec_b64 s[2:3], s[0:1]
	s_cbranch_execz .LBB16_7
; %bb.6:
	global_load_ushort v7, v[4:5], off offset:256
.LBB16_7:
	s_or_b64 exec, exec, s[2:3]
	v_or_b32_e32 v1, 0x100, v0
	v_cmp_gt_u32_e64 s[2:3], s33, v1
                                        ; implicit-def: $vgpr9
	s_and_saveexec_b64 s[4:5], s[2:3]
	s_cbranch_execz .LBB16_9
; %bb.8:
	global_load_ushort v9, v[4:5], off offset:512
.LBB16_9:
	s_or_b64 exec, exec, s[4:5]
	v_or_b32_e32 v1, 0x180, v0
	v_cmp_gt_u32_e64 s[4:5], s33, v1
                                        ; implicit-def: $vgpr10
	s_and_saveexec_b64 s[6:7], s[4:5]
	s_cbranch_execz .LBB16_11
; %bb.10:
	global_load_ushort v10, v[4:5], off offset:768
.LBB16_11:
	s_or_b64 exec, exec, s[6:7]
	v_or_b32_e32 v1, 0x200, v0
	v_cmp_gt_u32_e64 s[6:7], s33, v1
                                        ; implicit-def: $vgpr11
	s_and_saveexec_b64 s[8:9], s[6:7]
	s_cbranch_execz .LBB16_13
; %bb.12:
	global_load_ushort v11, v[4:5], off offset:1024
.LBB16_13:
	s_or_b64 exec, exec, s[8:9]
	v_or_b32_e32 v1, 0x280, v0
	v_cmp_gt_u32_e64 s[8:9], s33, v1
                                        ; implicit-def: $vgpr12
	s_and_saveexec_b64 s[10:11], s[8:9]
	s_cbranch_execz .LBB16_15
; %bb.14:
	global_load_ushort v12, v[4:5], off offset:1280
.LBB16_15:
	s_or_b64 exec, exec, s[10:11]
	v_or_b32_e32 v1, 0x300, v0
	v_cmp_gt_u32_e64 s[10:11], s33, v1
                                        ; implicit-def: $vgpr13
	s_and_saveexec_b64 s[12:13], s[10:11]
	s_cbranch_execz .LBB16_17
; %bb.16:
	global_load_ushort v13, v[4:5], off offset:1536
.LBB16_17:
	s_or_b64 exec, exec, s[12:13]
	v_or_b32_e32 v1, 0x380, v0
	v_cmp_gt_u32_e64 s[12:13], s33, v1
                                        ; implicit-def: $vgpr14
	s_and_saveexec_b64 s[14:15], s[12:13]
	s_cbranch_execz .LBB16_19
; %bb.18:
	global_load_ushort v14, v[4:5], off offset:1792
.LBB16_19:
	s_or_b64 exec, exec, s[14:15]
	v_or_b32_e32 v1, 0x400, v0
	v_cmp_gt_u32_e64 s[14:15], s33, v1
                                        ; implicit-def: $vgpr15
	s_and_saveexec_b64 s[16:17], s[14:15]
	s_cbranch_execz .LBB16_21
; %bb.20:
	global_load_ushort v15, v[4:5], off offset:2048
.LBB16_21:
	s_or_b64 exec, exec, s[16:17]
	v_or_b32_e32 v1, 0x480, v0
	v_cmp_gt_u32_e64 s[16:17], s33, v1
                                        ; implicit-def: $vgpr16
	s_and_saveexec_b64 s[18:19], s[16:17]
	s_cbranch_execz .LBB16_23
; %bb.22:
	global_load_ushort v16, v[4:5], off offset:2304
.LBB16_23:
	s_or_b64 exec, exec, s[18:19]
	v_or_b32_e32 v1, 0x500, v0
	v_cmp_gt_u32_e64 s[18:19], s33, v1
                                        ; implicit-def: $vgpr17
	s_and_saveexec_b64 s[20:21], s[18:19]
	s_cbranch_execz .LBB16_25
; %bb.24:
	global_load_ushort v17, v[4:5], off offset:2560
.LBB16_25:
	s_or_b64 exec, exec, s[20:21]
	v_or_b32_e32 v1, 0x580, v0
	v_cmp_gt_u32_e64 s[20:21], s33, v1
                                        ; implicit-def: $vgpr18
	s_and_saveexec_b64 s[22:23], s[20:21]
	s_cbranch_execz .LBB16_27
; %bb.26:
	global_load_ushort v18, v[4:5], off offset:2816
.LBB16_27:
	s_or_b64 exec, exec, s[22:23]
	v_or_b32_e32 v1, 0x600, v0
	v_cmp_gt_u32_e64 s[22:23], s33, v1
                                        ; implicit-def: $vgpr19
	s_and_saveexec_b64 s[24:25], s[22:23]
	s_cbranch_execz .LBB16_29
; %bb.28:
	global_load_ushort v19, v[4:5], off offset:3072
.LBB16_29:
	s_or_b64 exec, exec, s[24:25]
	v_or_b32_e32 v1, 0x680, v0
	v_cmp_gt_u32_e64 s[24:25], s33, v1
                                        ; implicit-def: $vgpr20
	s_and_saveexec_b64 s[26:27], s[24:25]
	s_cbranch_execz .LBB16_31
; %bb.30:
	global_load_ushort v20, v[4:5], off offset:3328
.LBB16_31:
	s_or_b64 exec, exec, s[26:27]
	v_or_b32_e32 v1, 0x700, v0
	v_cmp_gt_u32_e64 s[26:27], s33, v1
                                        ; implicit-def: $vgpr21
	s_and_saveexec_b64 s[34:35], s[26:27]
	s_cbranch_execz .LBB16_33
; %bb.32:
	global_load_ushort v21, v[4:5], off offset:3584
.LBB16_33:
	s_or_b64 exec, exec, s[34:35]
	v_or_b32_e32 v0, 0x780, v0
	v_cmp_gt_u32_e64 s[34:35], s33, v0
                                        ; implicit-def: $vgpr8
	s_and_saveexec_b64 s[36:37], s[34:35]
	s_cbranch_execz .LBB16_35
; %bb.34:
	global_load_ushort v8, v[4:5], off offset:3840
.LBB16_35:
	s_or_b64 exec, exec, s[36:37]
	s_add_u32 s36, s28, s30
	s_addc_u32 s37, s29, s31
	v_mov_b32_e32 v3, 0
	v_lshl_add_u64 v[0:1], s[36:37], 0, v[2:3]
	s_and_saveexec_b64 s[36:37], vcc
	s_xor_b64 s[36:37], exec, s[36:37]
	s_cbranch_execnz .LBB16_55
; %bb.36:
	s_or_b64 exec, exec, s[36:37]
	s_and_saveexec_b64 s[36:37], s[0:1]
	s_cbranch_execnz .LBB16_56
.LBB16_37:
	s_or_b64 exec, exec, s[36:37]
	s_and_saveexec_b64 s[0:1], s[2:3]
	s_cbranch_execnz .LBB16_57
.LBB16_38:
	s_or_b64 exec, exec, s[0:1]
	s_and_saveexec_b64 s[0:1], s[4:5]
	s_cbranch_execnz .LBB16_58
.LBB16_39:
	s_or_b64 exec, exec, s[0:1]
	s_and_saveexec_b64 s[0:1], s[6:7]
	s_cbranch_execnz .LBB16_59
.LBB16_40:
	s_or_b64 exec, exec, s[0:1]
	s_and_saveexec_b64 s[0:1], s[8:9]
	s_cbranch_execnz .LBB16_60
.LBB16_41:
	s_or_b64 exec, exec, s[0:1]
	s_and_saveexec_b64 s[0:1], s[10:11]
	s_cbranch_execnz .LBB16_61
.LBB16_42:
	s_or_b64 exec, exec, s[0:1]
	s_and_saveexec_b64 s[0:1], s[12:13]
	s_cbranch_execnz .LBB16_62
.LBB16_43:
	s_or_b64 exec, exec, s[0:1]
	s_and_saveexec_b64 s[0:1], s[14:15]
	s_cbranch_execnz .LBB16_63
.LBB16_44:
	s_or_b64 exec, exec, s[0:1]
	s_and_saveexec_b64 s[0:1], s[16:17]
	s_cbranch_execnz .LBB16_64
.LBB16_45:
	s_or_b64 exec, exec, s[0:1]
	s_and_saveexec_b64 s[0:1], s[18:19]
	s_cbranch_execnz .LBB16_65
.LBB16_46:
	s_or_b64 exec, exec, s[0:1]
	s_and_saveexec_b64 s[0:1], s[20:21]
	s_cbranch_execnz .LBB16_66
.LBB16_47:
	s_or_b64 exec, exec, s[0:1]
	s_and_saveexec_b64 s[0:1], s[22:23]
	s_cbranch_execnz .LBB16_67
.LBB16_48:
	s_or_b64 exec, exec, s[0:1]
	s_and_saveexec_b64 s[0:1], s[24:25]
	s_cbranch_execnz .LBB16_68
.LBB16_49:
	s_or_b64 exec, exec, s[0:1]
	s_and_saveexec_b64 s[0:1], s[26:27]
	s_cbranch_execz .LBB16_51
.LBB16_50:
	s_waitcnt vmcnt(0)
	global_store_short v[0:1], v21, off offset:3584
.LBB16_51:
	s_or_b64 exec, exec, s[0:1]
.LBB16_52:
	s_and_saveexec_b64 s[0:1], s[34:35]
	s_cbranch_execnz .LBB16_54
; %bb.53:
	s_endpgm
.LBB16_54:
	s_add_u32 s0, s28, s30
	s_addc_u32 s1, s29, s31
	s_waitcnt vmcnt(0)
	global_store_short v2, v8, s[0:1] offset:3840
	s_endpgm
.LBB16_55:
	s_waitcnt vmcnt(0)
	global_store_short v[0:1], v6, off
	s_or_b64 exec, exec, s[36:37]
	s_and_saveexec_b64 s[36:37], s[0:1]
	s_cbranch_execz .LBB16_37
.LBB16_56:
	s_waitcnt vmcnt(0)
	global_store_short v[0:1], v7, off offset:256
	s_or_b64 exec, exec, s[36:37]
	s_and_saveexec_b64 s[0:1], s[2:3]
	s_cbranch_execz .LBB16_38
.LBB16_57:
	s_waitcnt vmcnt(0)
	global_store_short v[0:1], v9, off offset:512
	s_or_b64 exec, exec, s[0:1]
	s_and_saveexec_b64 s[0:1], s[4:5]
	s_cbranch_execz .LBB16_39
.LBB16_58:
	s_waitcnt vmcnt(0)
	global_store_short v[0:1], v10, off offset:768
	s_or_b64 exec, exec, s[0:1]
	s_and_saveexec_b64 s[0:1], s[6:7]
	s_cbranch_execz .LBB16_40
.LBB16_59:
	s_waitcnt vmcnt(0)
	global_store_short v[0:1], v11, off offset:1024
	s_or_b64 exec, exec, s[0:1]
	s_and_saveexec_b64 s[0:1], s[8:9]
	s_cbranch_execz .LBB16_41
.LBB16_60:
	s_waitcnt vmcnt(0)
	global_store_short v[0:1], v12, off offset:1280
	s_or_b64 exec, exec, s[0:1]
	s_and_saveexec_b64 s[0:1], s[10:11]
	s_cbranch_execz .LBB16_42
.LBB16_61:
	s_waitcnt vmcnt(0)
	global_store_short v[0:1], v13, off offset:1536
	s_or_b64 exec, exec, s[0:1]
	s_and_saveexec_b64 s[0:1], s[12:13]
	s_cbranch_execz .LBB16_43
.LBB16_62:
	s_waitcnt vmcnt(0)
	global_store_short v[0:1], v14, off offset:1792
	s_or_b64 exec, exec, s[0:1]
	s_and_saveexec_b64 s[0:1], s[14:15]
	s_cbranch_execz .LBB16_44
.LBB16_63:
	s_waitcnt vmcnt(0)
	global_store_short v[0:1], v15, off offset:2048
	s_or_b64 exec, exec, s[0:1]
	s_and_saveexec_b64 s[0:1], s[16:17]
	s_cbranch_execz .LBB16_45
.LBB16_64:
	s_waitcnt vmcnt(0)
	global_store_short v[0:1], v16, off offset:2304
	s_or_b64 exec, exec, s[0:1]
	s_and_saveexec_b64 s[0:1], s[18:19]
	s_cbranch_execz .LBB16_46
.LBB16_65:
	s_waitcnt vmcnt(0)
	global_store_short v[0:1], v17, off offset:2560
	s_or_b64 exec, exec, s[0:1]
	s_and_saveexec_b64 s[0:1], s[20:21]
	s_cbranch_execz .LBB16_47
.LBB16_66:
	s_waitcnt vmcnt(0)
	global_store_short v[0:1], v18, off offset:2816
	s_or_b64 exec, exec, s[0:1]
	s_and_saveexec_b64 s[0:1], s[22:23]
	s_cbranch_execz .LBB16_48
.LBB16_67:
	s_waitcnt vmcnt(0)
	global_store_short v[0:1], v19, off offset:3072
	s_or_b64 exec, exec, s[0:1]
	s_and_saveexec_b64 s[0:1], s[24:25]
	s_cbranch_execz .LBB16_49
.LBB16_68:
	s_waitcnt vmcnt(0)
	global_store_short v[0:1], v20, off offset:3328
	s_or_b64 exec, exec, s[0:1]
	s_and_saveexec_b64 s[0:1], s[26:27]
	s_cbranch_execnz .LBB16_50
	s_branch .LBB16_51
	.section	.rodata,"a",@progbits
	.p2align	6, 0x0
	.amdhsa_kernel _ZN7rocprim6detail16transform_kernelINS0_24wrapped_transform_configINS_14default_configE12hip_bfloat16EES4_PS4_S6_NS_8identityIS4_EEEEvT1_mT2_T3_
		.amdhsa_group_segment_fixed_size 0
		.amdhsa_private_segment_fixed_size 0
		.amdhsa_kernarg_size 288
		.amdhsa_user_sgpr_count 2
		.amdhsa_user_sgpr_dispatch_ptr 0
		.amdhsa_user_sgpr_queue_ptr 0
		.amdhsa_user_sgpr_kernarg_segment_ptr 1
		.amdhsa_user_sgpr_dispatch_id 0
		.amdhsa_user_sgpr_kernarg_preload_length 0
		.amdhsa_user_sgpr_kernarg_preload_offset 0
		.amdhsa_user_sgpr_private_segment_size 0
		.amdhsa_uses_dynamic_stack 0
		.amdhsa_enable_private_segment 0
		.amdhsa_system_sgpr_workgroup_id_x 1
		.amdhsa_system_sgpr_workgroup_id_y 0
		.amdhsa_system_sgpr_workgroup_id_z 0
		.amdhsa_system_sgpr_workgroup_info 0
		.amdhsa_system_vgpr_workitem_id 0
		.amdhsa_next_free_vgpr 22
		.amdhsa_next_free_sgpr 38
		.amdhsa_accum_offset 24
		.amdhsa_reserve_vcc 1
		.amdhsa_float_round_mode_32 0
		.amdhsa_float_round_mode_16_64 0
		.amdhsa_float_denorm_mode_32 3
		.amdhsa_float_denorm_mode_16_64 3
		.amdhsa_dx10_clamp 1
		.amdhsa_ieee_mode 1
		.amdhsa_fp16_overflow 0
		.amdhsa_tg_split 0
		.amdhsa_exception_fp_ieee_invalid_op 0
		.amdhsa_exception_fp_denorm_src 0
		.amdhsa_exception_fp_ieee_div_zero 0
		.amdhsa_exception_fp_ieee_overflow 0
		.amdhsa_exception_fp_ieee_underflow 0
		.amdhsa_exception_fp_ieee_inexact 0
		.amdhsa_exception_int_div_zero 0
	.end_amdhsa_kernel
	.section	.text._ZN7rocprim6detail16transform_kernelINS0_24wrapped_transform_configINS_14default_configE12hip_bfloat16EES4_PS4_S6_NS_8identityIS4_EEEEvT1_mT2_T3_,"axG",@progbits,_ZN7rocprim6detail16transform_kernelINS0_24wrapped_transform_configINS_14default_configE12hip_bfloat16EES4_PS4_S6_NS_8identityIS4_EEEEvT1_mT2_T3_,comdat
.Lfunc_end16:
	.size	_ZN7rocprim6detail16transform_kernelINS0_24wrapped_transform_configINS_14default_configE12hip_bfloat16EES4_PS4_S6_NS_8identityIS4_EEEEvT1_mT2_T3_, .Lfunc_end16-_ZN7rocprim6detail16transform_kernelINS0_24wrapped_transform_configINS_14default_configE12hip_bfloat16EES4_PS4_S6_NS_8identityIS4_EEEEvT1_mT2_T3_
                                        ; -- End function
	.section	.AMDGPU.csdata,"",@progbits
; Kernel info:
; codeLenInByte = 1568
; NumSgprs: 44
; NumVgprs: 22
; NumAgprs: 0
; TotalNumVgprs: 22
; ScratchSize: 0
; MemoryBound: 0
; FloatMode: 240
; IeeeMode: 1
; LDSByteSize: 0 bytes/workgroup (compile time only)
; SGPRBlocks: 5
; VGPRBlocks: 2
; NumSGPRsForWavesPerEU: 44
; NumVGPRsForWavesPerEU: 22
; AccumOffset: 24
; Occupancy: 8
; WaveLimiterHint : 1
; COMPUTE_PGM_RSRC2:SCRATCH_EN: 0
; COMPUTE_PGM_RSRC2:USER_SGPR: 2
; COMPUTE_PGM_RSRC2:TRAP_HANDLER: 0
; COMPUTE_PGM_RSRC2:TGID_X_EN: 1
; COMPUTE_PGM_RSRC2:TGID_Y_EN: 0
; COMPUTE_PGM_RSRC2:TGID_Z_EN: 0
; COMPUTE_PGM_RSRC2:TIDIG_COMP_CNT: 0
; COMPUTE_PGM_RSRC3_GFX90A:ACCUM_OFFSET: 5
; COMPUTE_PGM_RSRC3_GFX90A:TG_SPLIT: 0
	.section	.text._ZN7rocprim6detail18single_scan_kernelILb0ENS0_19wrapped_scan_configINS_14default_configE12hip_bfloat16EEPS4_S6_N6hipcub3MaxES4_S4_EEvT1_mT4_T2_T3_,"axG",@progbits,_ZN7rocprim6detail18single_scan_kernelILb0ENS0_19wrapped_scan_configINS_14default_configE12hip_bfloat16EEPS4_S6_N6hipcub3MaxES4_S4_EEvT1_mT4_T2_T3_,comdat
	.protected	_ZN7rocprim6detail18single_scan_kernelILb0ENS0_19wrapped_scan_configINS_14default_configE12hip_bfloat16EEPS4_S6_N6hipcub3MaxES4_S4_EEvT1_mT4_T2_T3_ ; -- Begin function _ZN7rocprim6detail18single_scan_kernelILb0ENS0_19wrapped_scan_configINS_14default_configE12hip_bfloat16EEPS4_S6_N6hipcub3MaxES4_S4_EEvT1_mT4_T2_T3_
	.globl	_ZN7rocprim6detail18single_scan_kernelILb0ENS0_19wrapped_scan_configINS_14default_configE12hip_bfloat16EEPS4_S6_N6hipcub3MaxES4_S4_EEvT1_mT4_T2_T3_
	.p2align	8
	.type	_ZN7rocprim6detail18single_scan_kernelILb0ENS0_19wrapped_scan_configINS_14default_configE12hip_bfloat16EEPS4_S6_N6hipcub3MaxES4_S4_EEvT1_mT4_T2_T3_,@function
_ZN7rocprim6detail18single_scan_kernelILb0ENS0_19wrapped_scan_configINS_14default_configE12hip_bfloat16EEPS4_S6_N6hipcub3MaxES4_S4_EEvT1_mT4_T2_T3_: ; @_ZN7rocprim6detail18single_scan_kernelILb0ENS0_19wrapped_scan_configINS_14default_configE12hip_bfloat16EEPS4_S6_N6hipcub3MaxES4_S4_EEvT1_mT4_T2_T3_
; %bb.0:
	s_load_dwordx4 s[52:55], s[0:1], 0x0
	v_mov_b32_e32 v15, 0
	v_lshlrev_b32_e32 v14, 1, v0
	s_waitcnt lgkmcnt(0)
	global_load_ushort v1, v15, s[52:53]
	v_lshl_add_u64 v[2:3], s[52:53], 0, v[14:15]
	v_cmp_gt_u32_e64 s[50:51], s54, v0
	s_waitcnt vmcnt(0)
	v_mov_b32_e32 v4, v1
	s_and_saveexec_b64 s[2:3], s[50:51]
	s_cbranch_execz .LBB17_2
; %bb.1:
	global_load_ushort v4, v[2:3], off
.LBB17_2:
	s_or_b64 exec, exec, s[2:3]
	v_or_b32_e32 v5, 0x100, v0
	v_cmp_gt_u32_e64 s[2:3], s54, v5
	v_mov_b32_e32 v5, v1
	s_and_saveexec_b64 s[4:5], s[2:3]
	s_cbranch_execz .LBB17_4
; %bb.3:
	global_load_ushort v5, v[2:3], off offset:512
.LBB17_4:
	s_or_b64 exec, exec, s[4:5]
	v_or_b32_e32 v6, 0x200, v0
	v_cmp_gt_u32_e64 s[4:5], s54, v6
	v_mov_b32_e32 v6, v1
	s_and_saveexec_b64 s[6:7], s[4:5]
	s_cbranch_execz .LBB17_6
; %bb.5:
	global_load_ushort v6, v[2:3], off offset:1024
.LBB17_6:
	;; [unrolled: 9-line block ×7, first 2 shown]
	s_or_b64 exec, exec, s[16:17]
	v_or_b32_e32 v12, 0x800, v0
	v_cmp_gt_u32_e64 s[16:17], s54, v12
	v_mov_b32_e32 v12, v1
	s_and_saveexec_b64 s[18:19], s[16:17]
	s_cbranch_execz .LBB17_18
; %bb.17:
	v_add_co_u32_e32 v12, vcc, 0x1000, v2
	s_nop 1
	v_addc_co_u32_e32 v13, vcc, 0, v3, vcc
	global_load_ushort v12, v[12:13], off
.LBB17_18:
	s_or_b64 exec, exec, s[18:19]
	v_or_b32_e32 v13, 0x900, v0
	v_cmp_gt_u32_e64 s[18:19], s54, v13
	v_mov_b32_e32 v13, v1
	s_and_saveexec_b64 s[20:21], s[18:19]
	s_cbranch_execz .LBB17_20
; %bb.19:
	v_add_co_u32_e32 v16, vcc, 0x1000, v2
	s_nop 1
	v_addc_co_u32_e32 v17, vcc, 0, v3, vcc
	global_load_ushort v13, v[16:17], off offset:512
.LBB17_20:
	s_or_b64 exec, exec, s[20:21]
	v_or_b32_e32 v15, 0xa00, v0
	v_cmp_gt_u32_e64 s[20:21], s54, v15
	v_mov_b32_e32 v15, v1
	s_and_saveexec_b64 s[22:23], s[20:21]
	s_cbranch_execz .LBB17_22
; %bb.21:
	v_add_co_u32_e32 v16, vcc, 0x1000, v2
	s_nop 1
	v_addc_co_u32_e32 v17, vcc, 0, v3, vcc
	global_load_ushort v15, v[16:17], off offset:1024
.LBB17_22:
	;; [unrolled: 12-line block ×7, first 2 shown]
	s_or_b64 exec, exec, s[34:35]
	v_or_b32_e32 v21, 0x1000, v0
	v_cmp_gt_u32_e64 s[34:35], s54, v21
	v_mov_b32_e32 v21, v1
	s_and_saveexec_b64 s[36:37], s[34:35]
	s_cbranch_execz .LBB17_34
; %bb.33:
	v_add_co_u32_e32 v22, vcc, 0x2000, v2
	s_nop 1
	v_addc_co_u32_e32 v23, vcc, 0, v3, vcc
	global_load_ushort v21, v[22:23], off
.LBB17_34:
	s_or_b64 exec, exec, s[36:37]
	v_or_b32_e32 v22, 0x1100, v0
	v_cmp_gt_u32_e64 s[36:37], s54, v22
	v_mov_b32_e32 v22, v1
	s_and_saveexec_b64 s[38:39], s[36:37]
	s_cbranch_execz .LBB17_36
; %bb.35:
	v_add_co_u32_e32 v22, vcc, 0x2000, v2
	s_nop 1
	v_addc_co_u32_e32 v23, vcc, 0, v3, vcc
	global_load_ushort v22, v[22:23], off offset:512
.LBB17_36:
	s_or_b64 exec, exec, s[38:39]
	v_or_b32_e32 v23, 0x1200, v0
	v_cmp_gt_u32_e64 s[38:39], s54, v23
	v_mov_b32_e32 v23, v1
	s_and_saveexec_b64 s[40:41], s[38:39]
	s_cbranch_execz .LBB17_38
; %bb.37:
	v_add_co_u32_e32 v24, vcc, 0x2000, v2
	s_nop 1
	v_addc_co_u32_e32 v25, vcc, 0, v3, vcc
	global_load_ushort v23, v[24:25], off offset:1024
.LBB17_38:
	;; [unrolled: 12-line block ×6, first 2 shown]
	s_or_b64 exec, exec, s[48:49]
	v_or_b32_e32 v28, 0x1700, v0
	v_cmp_gt_u32_e64 s[48:49], s54, v28
	s_and_saveexec_b64 s[52:53], s[48:49]
	s_cbranch_execz .LBB17_48
; %bb.47:
	v_add_co_u32_e32 v2, vcc, 0x2000, v2
	s_nop 1
	v_addc_co_u32_e32 v3, vcc, 0, v3, vcc
	global_load_ushort v1, v[2:3], off offset:3584
.LBB17_48:
	s_or_b64 exec, exec, s[52:53]
	s_waitcnt vmcnt(0)
	ds_write_b16 v14, v4
	ds_write_b16 v14, v5 offset:512
	ds_write_b16 v14, v6 offset:1024
	;; [unrolled: 1-line block ×23, first 2 shown]
	v_mad_u32_u24 v1, v0, 46, v14
	s_waitcnt lgkmcnt(0)
	s_barrier
	ds_read_b128 v[10:13], v1
	ds_read_b128 v[6:9], v1 offset:16
	ds_read_b128 v[2:5], v1 offset:32
	s_waitcnt lgkmcnt(0)
	s_barrier
	v_and_b32_e32 v26, 0xffff0000, v10
	v_lshlrev_b32_e32 v29, 16, v10
	v_lshrrev_b32_e32 v27, 16, v10
	v_cmp_lt_f32_e32 vcc, v29, v26
	v_lshlrev_b32_e32 v28, 16, v11
	v_lshrrev_b32_e32 v25, 16, v11
	v_cndmask_b32_e32 v30, v10, v27, vcc
	v_lshlrev_b32_e32 v31, 16, v30
	v_cmp_lt_f32_e32 vcc, v31, v28
	v_lshrrev_b32_e32 v24, 16, v12
	v_lshrrev_b32_e32 v23, 16, v13
	v_cndmask_b32_e32 v31, v30, v11, vcc
	v_lshlrev_b32_e32 v32, 16, v31
	v_and_b32_e32 v30, 0xffff0000, v11
	v_cmp_lt_f32_e32 vcc, v32, v30
	v_lshrrev_b32_e32 v22, 16, v6
	v_lshrrev_b32_e32 v21, 16, v7
	v_cndmask_b32_e32 v32, v31, v25, vcc
	v_lshlrev_b32_e32 v33, 16, v32
	v_lshlrev_b32_e32 v31, 16, v12
	v_cmp_lt_f32_e32 vcc, v33, v31
	v_lshrrev_b32_e32 v20, 16, v8
	v_lshrrev_b32_e32 v19, 16, v9
	v_cndmask_b32_e32 v33, v32, v12, vcc
	v_lshlrev_b32_e32 v34, 16, v33
	v_and_b32_e32 v32, 0xffff0000, v12
	v_cmp_lt_f32_e32 vcc, v34, v32
	v_lshrrev_b32_e32 v18, 16, v2
	v_lshrrev_b32_e32 v17, 16, v3
	v_cndmask_b32_e32 v34, v33, v24, vcc
	v_lshlrev_b32_e32 v35, 16, v34
	v_lshlrev_b32_e32 v33, 16, v13
	v_cmp_lt_f32_e32 vcc, v35, v33
	v_lshrrev_b32_e32 v16, 16, v4
	v_lshrrev_b32_e32 v15, 16, v5
	v_cndmask_b32_e32 v35, v34, v13, vcc
	v_lshlrev_b32_e32 v36, 16, v35
	v_and_b32_e32 v34, 0xffff0000, v13
	v_cmp_lt_f32_e32 vcc, v36, v34
	s_nop 1
	v_cndmask_b32_e32 v36, v35, v23, vcc
	v_lshlrev_b32_e32 v37, 16, v36
	v_lshlrev_b32_e32 v35, 16, v6
	v_cmp_lt_f32_e32 vcc, v37, v35
	s_nop 1
	v_cndmask_b32_e32 v37, v36, v6, vcc
	v_lshlrev_b32_e32 v38, 16, v37
	v_and_b32_e32 v36, 0xffff0000, v6
	v_cmp_lt_f32_e32 vcc, v38, v36
	s_nop 1
	v_cndmask_b32_e32 v38, v37, v22, vcc
	v_lshlrev_b32_e32 v39, 16, v38
	v_lshlrev_b32_e32 v37, 16, v7
	v_cmp_lt_f32_e32 vcc, v39, v37
	s_nop 1
	;; [unrolled: 10-line block ×8, first 2 shown]
	v_cndmask_b32_e32 v51, v50, v5, vcc
	v_lshlrev_b32_e32 v52, 16, v51
	v_and_b32_e32 v50, 0xffff0000, v5
	v_cmp_lt_f32_e32 vcc, v52, v50
	s_nop 1
	v_cndmask_b32_e32 v52, v51, v15, vcc
	v_and_b32_e32 v54, 0xffff, v52
	v_mbcnt_lo_u32_b32 v51, -1, 0
	v_lshlrev_b32_e32 v57, 16, v52
	v_mov_b32_dpp v55, v54 row_shr:1 row_mask:0xf bank_mask:0xf
	v_lshlrev_b32_e32 v56, 16, v55
	v_mbcnt_hi_u32_b32 v51, -1, v51
	v_cmp_lt_f32_e32 vcc, v56, v57
	v_and_b32_e32 v53, 15, v51
	s_nop 0
	v_cndmask_b32_e32 v55, v55, v52, vcc
	v_and_b32_e32 v56, 0xffff, v55
	v_cmp_eq_u32_e32 vcc, 0, v53
	s_nop 1
	v_cndmask_b32_e32 v54, v56, v54, vcc
	v_cndmask_b32_e32 v52, v55, v52, vcc
	v_lshlrev_b32_e32 v56, 16, v54
	v_mov_b32_dpp v55, v54 row_shr:2 row_mask:0xf bank_mask:0xf
	v_lshlrev_b32_e32 v57, 16, v55
	v_cmp_lt_f32_e32 vcc, v57, v56
	s_nop 1
	v_cndmask_b32_e32 v55, v55, v52, vcc
	v_and_b32_e32 v56, 0xffff, v55
	v_cmp_lt_u32_e32 vcc, 1, v53
	s_nop 1
	v_cndmask_b32_e32 v54, v54, v56, vcc
	v_cndmask_b32_e32 v52, v52, v55, vcc
	v_lshlrev_b32_e32 v56, 16, v54
	v_mov_b32_dpp v55, v54 row_shr:4 row_mask:0xf bank_mask:0xf
	v_lshlrev_b32_e32 v57, 16, v55
	v_cmp_lt_f32_e32 vcc, v57, v56
	s_nop 1
	v_cndmask_b32_e32 v55, v55, v52, vcc
	v_and_b32_e32 v56, 0xffff, v55
	v_cmp_lt_u32_e32 vcc, 3, v53
	;; [unrolled: 11-line block ×3, first 2 shown]
	s_nop 1
	v_cndmask_b32_e32 v53, v54, v56, vcc
	v_lshlrev_b32_e32 v56, 16, v53
	v_cndmask_b32_e32 v52, v52, v55, vcc
	v_mov_b32_dpp v54, v53 row_bcast:15 row_mask:0xf bank_mask:0xf
	v_lshlrev_b32_e32 v57, 16, v54
	v_cmp_lt_f32_e32 vcc, v57, v56
	v_and_b32_e32 v55, 16, v51
	s_nop 0
	v_cndmask_b32_e32 v54, v54, v52, vcc
	v_and_b32_e32 v56, 0xffff, v54
	v_cmp_eq_u32_e32 vcc, 0, v55
	s_nop 1
	v_cndmask_b32_e32 v53, v56, v53, vcc
	v_cndmask_b32_e32 v52, v54, v52, vcc
	s_nop 0
	v_mov_b32_dpp v54, v53 row_bcast:31 row_mask:0xf bank_mask:0xf
	v_lshlrev_b32_e32 v53, 16, v53
	v_lshlrev_b32_e32 v55, 16, v54
	v_cmp_lt_f32_e32 vcc, v55, v53
	s_nop 1
	v_cndmask_b32_e32 v53, v54, v52, vcc
	v_cmp_lt_u32_e32 vcc, 31, v51
	v_or_b32_e32 v54, 63, v0
	s_nop 0
	v_cndmask_b32_e32 v52, v52, v53, vcc
	v_lshrrev_b32_e32 v53, 6, v0
	v_cmp_eq_u32_e32 vcc, v54, v0
	s_and_saveexec_b64 s[52:53], vcc
	s_cbranch_execz .LBB17_50
; %bb.49:
	v_lshlrev_b32_e32 v54, 1, v53
	ds_write_b16 v54, v52
.LBB17_50:
	s_or_b64 exec, exec, s[52:53]
	v_cmp_gt_u32_e32 vcc, 4, v0
	s_waitcnt lgkmcnt(0)
	s_barrier
	s_and_saveexec_b64 s[52:53], vcc
	s_cbranch_execz .LBB17_52
; %bb.51:
	ds_read_u16 v54, v14
	v_and_b32_e32 v55, 3, v51
	s_waitcnt lgkmcnt(0)
	v_and_b32_e32 v56, 0xffff, v54
	s_nop 1
	v_mov_b32_dpp v58, v56 row_shr:1 row_mask:0xf bank_mask:0xf
	v_lshlrev_b32_e32 v57, 16, v54
	v_lshlrev_b32_e32 v59, 16, v58
	v_cmp_lt_f32_e32 vcc, v59, v57
	s_nop 1
	v_cndmask_b32_e32 v57, v58, v54, vcc
	v_and_b32_e32 v58, 0xffff, v57
	v_cmp_eq_u32_e32 vcc, 0, v55
	s_nop 1
	v_cndmask_b32_e32 v56, v58, v56, vcc
	v_cndmask_b32_e32 v54, v57, v54, vcc
	s_nop 0
	v_mov_b32_dpp v57, v56 row_shr:2 row_mask:0xf bank_mask:0xf
	v_lshlrev_b32_e32 v56, 16, v56
	v_lshlrev_b32_e32 v58, 16, v57
	v_cmp_lt_f32_e32 vcc, v58, v56
	s_nop 1
	v_cndmask_b32_e32 v56, v57, v54, vcc
	v_cmp_lt_u32_e32 vcc, 1, v55
	s_nop 1
	v_cndmask_b32_e32 v54, v54, v56, vcc
	ds_write_b16 v14, v54
.LBB17_52:
	s_or_b64 exec, exec, s[52:53]
	v_cmp_lt_u32_e32 vcc, 63, v0
	s_waitcnt lgkmcnt(0)
	s_barrier
	s_waitcnt lgkmcnt(0)
                                        ; implicit-def: $vgpr54
	s_and_saveexec_b64 s[52:53], vcc
	s_cbranch_execz .LBB17_54
; %bb.53:
	v_lshl_add_u32 v53, v53, 1, -2
	ds_read_u16 v54, v53
	v_lshlrev_b32_e32 v53, 16, v52
	s_waitcnt lgkmcnt(0)
	v_lshlrev_b32_e32 v55, 16, v54
	v_cmp_lt_f32_e32 vcc, v55, v53
	s_nop 1
	v_cndmask_b32_e32 v52, v54, v52, vcc
.LBB17_54:
	s_or_b64 exec, exec, s[52:53]
	v_add_u32_e32 v53, -1, v51
	v_and_b32_e32 v55, 64, v51
	v_cmp_lt_i32_e32 vcc, v53, v55
	v_and_b32_e32 v52, 0xffff, v52
	s_load_dwordx2 s[52:53], s[0:1], 0x18
	v_cndmask_b32_e32 v53, v53, v51, vcc
	v_lshlrev_b32_e32 v53, 2, v53
	ds_bpermute_b32 v52, v53, v52
	v_cmp_eq_u32_e64 s[0:1], 0, v51
	v_cmp_eq_u32_e32 vcc, 0, v0
	s_waitcnt lgkmcnt(0)
	s_barrier
	v_cndmask_b32_e64 v51, v52, v54, s[0:1]
	v_lshlrev_b32_e32 v52, 16, v51
	v_cmp_gt_f32_e64 s[0:1], v29, v52
	s_or_b64 vcc, vcc, s[0:1]
	v_cndmask_b32_e32 v10, v51, v10, vcc
	v_lshlrev_b32_e32 v29, 16, v10
	v_cmp_gt_f32_e32 vcc, v26, v29
	s_mov_b32 s0, 0x5040100
	s_nop 0
	v_cndmask_b32_e32 v26, v10, v27, vcc
	v_lshlrev_b32_e32 v27, 16, v26
	v_cmp_gt_f32_e32 vcc, v28, v27
	s_nop 1
	v_cndmask_b32_e32 v11, v26, v11, vcc
	v_lshlrev_b32_e32 v27, 16, v11
	v_cmp_gt_f32_e32 vcc, v30, v27
	;; [unrolled: 4-line block ×18, first 2 shown]
	v_perm_b32 v3, v25, v11, s0
	s_nop 0
	v_cndmask_b32_e32 v17, v28, v17, vcc
	v_lshlrev_b32_e32 v2, 16, v17
	v_cmp_gt_f32_e32 vcc, v47, v2
	s_nop 1
	v_cndmask_b32_e32 v29, v17, v4, vcc
	v_lshlrev_b32_e32 v2, 16, v29
	v_cmp_gt_f32_e32 vcc, v48, v2
	v_perm_b32 v4, v24, v12, s0
	s_nop 0
	v_cndmask_b32_e32 v16, v29, v16, vcc
	v_lshlrev_b32_e32 v2, 16, v16
	v_cmp_gt_f32_e32 vcc, v49, v2
	s_nop 1
	v_cndmask_b32_e32 v30, v16, v5, vcc
	v_lshlrev_b32_e32 v2, 16, v30
	v_cmp_gt_f32_e32 vcc, v50, v2
	v_perm_b32 v5, v23, v13, s0
	v_perm_b32 v2, v26, v10, s0
	v_cndmask_b32_e32 v15, v30, v15, vcc
	ds_write_b128 v1, v[2:5]
	v_perm_b32 v5, v19, v9, s0
	v_perm_b32 v4, v20, v8, s0
	;; [unrolled: 1-line block ×4, first 2 shown]
	ds_write_b128 v1, v[2:5] offset:16
	v_perm_b32 v5, v15, v30, s0
	v_perm_b32 v4, v16, v29, s0
	;; [unrolled: 1-line block ×4, first 2 shown]
	s_movk_i32 s0, 0xffd2
	v_mad_i32_i24 v0, v0, s0, v1
	ds_write_b128 v1, v[2:5] offset:32
	s_waitcnt lgkmcnt(0)
	s_barrier
	ds_read_u16 v25, v0 offset:512
	ds_read_u16 v24, v0 offset:1024
	;; [unrolled: 1-line block ×23, first 2 shown]
	v_mov_b32_e32 v15, 0
	v_lshl_add_u64 v[0:1], s[52:53], 0, v[14:15]
	s_and_saveexec_b64 s[0:1], s[50:51]
	s_cbranch_execnz .LBB17_79
; %bb.55:
	s_or_b64 exec, exec, s[0:1]
	s_and_saveexec_b64 s[0:1], s[2:3]
	s_cbranch_execnz .LBB17_80
.LBB17_56:
	s_or_b64 exec, exec, s[0:1]
	s_and_saveexec_b64 s[0:1], s[4:5]
	s_cbranch_execnz .LBB17_81
.LBB17_57:
	s_or_b64 exec, exec, s[0:1]
	s_and_saveexec_b64 s[0:1], s[6:7]
	s_cbranch_execnz .LBB17_82
.LBB17_58:
	s_or_b64 exec, exec, s[0:1]
	s_and_saveexec_b64 s[0:1], s[8:9]
	s_cbranch_execnz .LBB17_83
.LBB17_59:
	s_or_b64 exec, exec, s[0:1]
	s_and_saveexec_b64 s[0:1], s[10:11]
	s_cbranch_execnz .LBB17_84
.LBB17_60:
	s_or_b64 exec, exec, s[0:1]
	s_and_saveexec_b64 s[0:1], s[12:13]
	s_cbranch_execnz .LBB17_85
.LBB17_61:
	s_or_b64 exec, exec, s[0:1]
	s_and_saveexec_b64 s[0:1], s[14:15]
	s_cbranch_execnz .LBB17_86
.LBB17_62:
	s_or_b64 exec, exec, s[0:1]
	s_and_saveexec_b64 s[0:1], s[16:17]
	s_cbranch_execnz .LBB17_87
.LBB17_63:
	s_or_b64 exec, exec, s[0:1]
	s_and_saveexec_b64 s[0:1], s[18:19]
	s_cbranch_execnz .LBB17_88
.LBB17_64:
	s_or_b64 exec, exec, s[0:1]
	s_and_saveexec_b64 s[0:1], s[20:21]
	s_cbranch_execnz .LBB17_89
.LBB17_65:
	s_or_b64 exec, exec, s[0:1]
	s_and_saveexec_b64 s[0:1], s[22:23]
	s_cbranch_execnz .LBB17_90
.LBB17_66:
	s_or_b64 exec, exec, s[0:1]
	s_and_saveexec_b64 s[0:1], s[24:25]
	s_cbranch_execnz .LBB17_91
.LBB17_67:
	s_or_b64 exec, exec, s[0:1]
	s_and_saveexec_b64 s[0:1], s[26:27]
	s_cbranch_execnz .LBB17_92
.LBB17_68:
	s_or_b64 exec, exec, s[0:1]
	s_and_saveexec_b64 s[0:1], s[28:29]
	s_cbranch_execnz .LBB17_93
.LBB17_69:
	s_or_b64 exec, exec, s[0:1]
	s_and_saveexec_b64 s[0:1], s[30:31]
	s_cbranch_execnz .LBB17_94
.LBB17_70:
	s_or_b64 exec, exec, s[0:1]
	s_and_saveexec_b64 s[0:1], s[34:35]
	s_cbranch_execnz .LBB17_95
.LBB17_71:
	s_or_b64 exec, exec, s[0:1]
	s_and_saveexec_b64 s[0:1], s[36:37]
	s_cbranch_execnz .LBB17_96
.LBB17_72:
	s_or_b64 exec, exec, s[0:1]
	s_and_saveexec_b64 s[0:1], s[38:39]
	s_cbranch_execnz .LBB17_97
.LBB17_73:
	s_or_b64 exec, exec, s[0:1]
	s_and_saveexec_b64 s[0:1], s[40:41]
	s_cbranch_execnz .LBB17_98
.LBB17_74:
	s_or_b64 exec, exec, s[0:1]
	s_and_saveexec_b64 s[0:1], s[42:43]
	s_cbranch_execnz .LBB17_99
.LBB17_75:
	s_or_b64 exec, exec, s[0:1]
	s_and_saveexec_b64 s[0:1], s[44:45]
	s_cbranch_execnz .LBB17_100
.LBB17_76:
	s_or_b64 exec, exec, s[0:1]
	s_and_saveexec_b64 s[0:1], s[46:47]
	s_cbranch_execnz .LBB17_101
.LBB17_77:
	s_or_b64 exec, exec, s[0:1]
	s_and_saveexec_b64 s[0:1], s[48:49]
	s_cbranch_execnz .LBB17_102
.LBB17_78:
	s_endpgm
.LBB17_79:
	ds_read_u16 v14, v14
	s_waitcnt lgkmcnt(0)
	global_store_short v[0:1], v14, off
	s_or_b64 exec, exec, s[0:1]
	s_and_saveexec_b64 s[0:1], s[2:3]
	s_cbranch_execz .LBB17_56
.LBB17_80:
	s_waitcnt lgkmcnt(14)
	global_store_short v[0:1], v25, off offset:512
	s_or_b64 exec, exec, s[0:1]
	s_and_saveexec_b64 s[0:1], s[4:5]
	s_cbranch_execz .LBB17_57
.LBB17_81:
	s_waitcnt lgkmcnt(14)
	global_store_short v[0:1], v24, off offset:1024
	s_or_b64 exec, exec, s[0:1]
	s_and_saveexec_b64 s[0:1], s[6:7]
	s_cbranch_execz .LBB17_58
.LBB17_82:
	s_waitcnt lgkmcnt(14)
	global_store_short v[0:1], v23, off offset:1536
	s_or_b64 exec, exec, s[0:1]
	s_and_saveexec_b64 s[0:1], s[8:9]
	s_cbranch_execz .LBB17_59
.LBB17_83:
	s_waitcnt lgkmcnt(1)
	global_store_short v[0:1], v26, off offset:2048
	s_or_b64 exec, exec, s[0:1]
	s_and_saveexec_b64 s[0:1], s[10:11]
	s_cbranch_execz .LBB17_60
.LBB17_84:
	s_waitcnt lgkmcnt(14)
	global_store_short v[0:1], v22, off offset:2560
	s_or_b64 exec, exec, s[0:1]
	s_and_saveexec_b64 s[0:1], s[12:13]
	s_cbranch_execz .LBB17_61
.LBB17_85:
	s_waitcnt lgkmcnt(14)
	global_store_short v[0:1], v21, off offset:3072
	s_or_b64 exec, exec, s[0:1]
	s_and_saveexec_b64 s[0:1], s[14:15]
	s_cbranch_execz .LBB17_62
.LBB17_86:
	s_waitcnt lgkmcnt(14)
	global_store_short v[0:1], v20, off offset:3584
	s_or_b64 exec, exec, s[0:1]
	s_and_saveexec_b64 s[0:1], s[16:17]
	s_cbranch_execz .LBB17_63
.LBB17_87:
	v_add_co_u32_e32 v14, vcc, 0x1000, v0
	s_nop 1
	v_addc_co_u32_e32 v15, vcc, 0, v1, vcc
	s_waitcnt lgkmcnt(14)
	global_store_short v[14:15], v19, off
	s_or_b64 exec, exec, s[0:1]
	s_and_saveexec_b64 s[0:1], s[18:19]
	s_cbranch_execz .LBB17_64
.LBB17_88:
	v_add_co_u32_e32 v14, vcc, 0x1000, v0
	s_nop 1
	v_addc_co_u32_e32 v15, vcc, 0, v1, vcc
	s_waitcnt lgkmcnt(14)
	global_store_short v[14:15], v18, off offset:512
	s_or_b64 exec, exec, s[0:1]
	s_and_saveexec_b64 s[0:1], s[20:21]
	s_cbranch_execz .LBB17_65
.LBB17_89:
	v_add_co_u32_e32 v14, vcc, 0x1000, v0
	s_nop 1
	v_addc_co_u32_e32 v15, vcc, 0, v1, vcc
	s_waitcnt lgkmcnt(14)
	global_store_short v[14:15], v17, off offset:1024
	s_or_b64 exec, exec, s[0:1]
	s_and_saveexec_b64 s[0:1], s[22:23]
	s_cbranch_execz .LBB17_66
.LBB17_90:
	v_add_co_u32_e32 v14, vcc, 0x1000, v0
	s_nop 1
	v_addc_co_u32_e32 v15, vcc, 0, v1, vcc
	s_waitcnt lgkmcnt(10)
	global_store_short v[14:15], v16, off offset:1536
	s_or_b64 exec, exec, s[0:1]
	s_and_saveexec_b64 s[0:1], s[24:25]
	s_cbranch_execz .LBB17_67
.LBB17_91:
	v_add_co_u32_e32 v14, vcc, 0x1000, v0
	s_nop 1
	v_addc_co_u32_e32 v15, vcc, 0, v1, vcc
	s_waitcnt lgkmcnt(13)
	global_store_short v[14:15], v13, off offset:2048
	s_or_b64 exec, exec, s[0:1]
	s_and_saveexec_b64 s[0:1], s[26:27]
	s_cbranch_execz .LBB17_68
.LBB17_92:
	v_add_co_u32_e32 v14, vcc, 0x1000, v0
	s_nop 1
	v_addc_co_u32_e32 v15, vcc, 0, v1, vcc
	s_waitcnt lgkmcnt(9)
	global_store_short v[14:15], v12, off offset:2560
	s_or_b64 exec, exec, s[0:1]
	s_and_saveexec_b64 s[0:1], s[28:29]
	s_cbranch_execz .LBB17_69
.LBB17_93:
	s_waitcnt lgkmcnt(9)
	v_add_co_u32_e32 v12, vcc, 0x1000, v0
	s_nop 1
	v_addc_co_u32_e32 v13, vcc, 0, v1, vcc
	s_waitcnt lgkmcnt(8)
	global_store_short v[12:13], v11, off offset:3072
	s_or_b64 exec, exec, s[0:1]
	s_and_saveexec_b64 s[0:1], s[30:31]
	s_cbranch_execz .LBB17_70
.LBB17_94:
	s_waitcnt lgkmcnt(9)
	v_add_co_u32_e32 v12, vcc, 0x1000, v0
	s_nop 1
	v_addc_co_u32_e32 v13, vcc, 0, v1, vcc
	s_waitcnt lgkmcnt(7)
	global_store_short v[12:13], v10, off offset:3584
	s_or_b64 exec, exec, s[0:1]
	s_and_saveexec_b64 s[0:1], s[34:35]
	s_cbranch_execz .LBB17_71
.LBB17_95:
	s_waitcnt lgkmcnt(7)
	v_add_co_u32_e32 v10, vcc, 0x2000, v0
	s_nop 1
	v_addc_co_u32_e32 v11, vcc, 0, v1, vcc
	global_store_short v[10:11], v9, off
	s_or_b64 exec, exec, s[0:1]
	s_and_saveexec_b64 s[0:1], s[36:37]
	s_cbranch_execz .LBB17_72
.LBB17_96:
	s_waitcnt lgkmcnt(7)
	v_add_co_u32_e32 v10, vcc, 0x2000, v0
	s_nop 1
	v_addc_co_u32_e32 v11, vcc, 0, v1, vcc
	s_waitcnt lgkmcnt(6)
	global_store_short v[10:11], v8, off offset:512
	s_or_b64 exec, exec, s[0:1]
	s_and_saveexec_b64 s[0:1], s[38:39]
	s_cbranch_execz .LBB17_73
.LBB17_97:
	s_waitcnt lgkmcnt(6)
	v_add_co_u32_e32 v8, vcc, 0x2000, v0
	s_nop 1
	v_addc_co_u32_e32 v9, vcc, 0, v1, vcc
	s_waitcnt lgkmcnt(5)
	global_store_short v[8:9], v7, off offset:1024
	s_or_b64 exec, exec, s[0:1]
	s_and_saveexec_b64 s[0:1], s[40:41]
	s_cbranch_execz .LBB17_74
.LBB17_98:
	s_waitcnt lgkmcnt(6)
	v_add_co_u32_e32 v8, vcc, 0x2000, v0
	s_nop 1
	v_addc_co_u32_e32 v9, vcc, 0, v1, vcc
	s_waitcnt lgkmcnt(4)
	global_store_short v[8:9], v6, off offset:1536
	s_or_b64 exec, exec, s[0:1]
	s_and_saveexec_b64 s[0:1], s[42:43]
	s_cbranch_execz .LBB17_75
.LBB17_99:
	s_waitcnt lgkmcnt(4)
	v_add_co_u32_e32 v6, vcc, 0x2000, v0
	s_nop 1
	v_addc_co_u32_e32 v7, vcc, 0, v1, vcc
	global_store_short v[6:7], v5, off offset:2048
	s_or_b64 exec, exec, s[0:1]
	s_and_saveexec_b64 s[0:1], s[44:45]
	s_cbranch_execz .LBB17_76
.LBB17_100:
	s_waitcnt lgkmcnt(4)
	v_add_co_u32_e32 v6, vcc, 0x2000, v0
	s_nop 1
	v_addc_co_u32_e32 v7, vcc, 0, v1, vcc
	s_waitcnt lgkmcnt(3)
	global_store_short v[6:7], v4, off offset:2560
	s_or_b64 exec, exec, s[0:1]
	s_and_saveexec_b64 s[0:1], s[46:47]
	s_cbranch_execz .LBB17_77
.LBB17_101:
	s_waitcnt lgkmcnt(3)
	v_add_co_u32_e32 v4, vcc, 0x2000, v0
	s_nop 1
	v_addc_co_u32_e32 v5, vcc, 0, v1, vcc
	s_waitcnt lgkmcnt(2)
	global_store_short v[4:5], v3, off offset:3072
	s_or_b64 exec, exec, s[0:1]
	s_and_saveexec_b64 s[0:1], s[48:49]
	s_cbranch_execz .LBB17_78
.LBB17_102:
	v_add_co_u32_e32 v0, vcc, 0x2000, v0
	s_nop 1
	v_addc_co_u32_e32 v1, vcc, 0, v1, vcc
	s_waitcnt lgkmcnt(0)
	global_store_short v[0:1], v2, off offset:3584
	s_endpgm
	.section	.rodata,"a",@progbits
	.p2align	6, 0x0
	.amdhsa_kernel _ZN7rocprim6detail18single_scan_kernelILb0ENS0_19wrapped_scan_configINS_14default_configE12hip_bfloat16EEPS4_S6_N6hipcub3MaxES4_S4_EEvT1_mT4_T2_T3_
		.amdhsa_group_segment_fixed_size 12288
		.amdhsa_private_segment_fixed_size 0
		.amdhsa_kernarg_size 36
		.amdhsa_user_sgpr_count 2
		.amdhsa_user_sgpr_dispatch_ptr 0
		.amdhsa_user_sgpr_queue_ptr 0
		.amdhsa_user_sgpr_kernarg_segment_ptr 1
		.amdhsa_user_sgpr_dispatch_id 0
		.amdhsa_user_sgpr_kernarg_preload_length 0
		.amdhsa_user_sgpr_kernarg_preload_offset 0
		.amdhsa_user_sgpr_private_segment_size 0
		.amdhsa_uses_dynamic_stack 0
		.amdhsa_enable_private_segment 0
		.amdhsa_system_sgpr_workgroup_id_x 1
		.amdhsa_system_sgpr_workgroup_id_y 0
		.amdhsa_system_sgpr_workgroup_id_z 0
		.amdhsa_system_sgpr_workgroup_info 0
		.amdhsa_system_vgpr_workitem_id 0
		.amdhsa_next_free_vgpr 60
		.amdhsa_next_free_sgpr 56
		.amdhsa_accum_offset 60
		.amdhsa_reserve_vcc 1
		.amdhsa_float_round_mode_32 0
		.amdhsa_float_round_mode_16_64 0
		.amdhsa_float_denorm_mode_32 3
		.amdhsa_float_denorm_mode_16_64 3
		.amdhsa_dx10_clamp 1
		.amdhsa_ieee_mode 1
		.amdhsa_fp16_overflow 0
		.amdhsa_tg_split 0
		.amdhsa_exception_fp_ieee_invalid_op 0
		.amdhsa_exception_fp_denorm_src 0
		.amdhsa_exception_fp_ieee_div_zero 0
		.amdhsa_exception_fp_ieee_overflow 0
		.amdhsa_exception_fp_ieee_underflow 0
		.amdhsa_exception_fp_ieee_inexact 0
		.amdhsa_exception_int_div_zero 0
	.end_amdhsa_kernel
	.section	.text._ZN7rocprim6detail18single_scan_kernelILb0ENS0_19wrapped_scan_configINS_14default_configE12hip_bfloat16EEPS4_S6_N6hipcub3MaxES4_S4_EEvT1_mT4_T2_T3_,"axG",@progbits,_ZN7rocprim6detail18single_scan_kernelILb0ENS0_19wrapped_scan_configINS_14default_configE12hip_bfloat16EEPS4_S6_N6hipcub3MaxES4_S4_EEvT1_mT4_T2_T3_,comdat
.Lfunc_end17:
	.size	_ZN7rocprim6detail18single_scan_kernelILb0ENS0_19wrapped_scan_configINS_14default_configE12hip_bfloat16EEPS4_S6_N6hipcub3MaxES4_S4_EEvT1_mT4_T2_T3_, .Lfunc_end17-_ZN7rocprim6detail18single_scan_kernelILb0ENS0_19wrapped_scan_configINS_14default_configE12hip_bfloat16EEPS4_S6_N6hipcub3MaxES4_S4_EEvT1_mT4_T2_T3_
                                        ; -- End function
	.section	.AMDGPU.csdata,"",@progbits
; Kernel info:
; codeLenInByte = 4564
; NumSgprs: 62
; NumVgprs: 60
; NumAgprs: 0
; TotalNumVgprs: 60
; ScratchSize: 0
; MemoryBound: 0
; FloatMode: 240
; IeeeMode: 1
; LDSByteSize: 12288 bytes/workgroup (compile time only)
; SGPRBlocks: 7
; VGPRBlocks: 7
; NumSGPRsForWavesPerEU: 62
; NumVGPRsForWavesPerEU: 60
; AccumOffset: 60
; Occupancy: 5
; WaveLimiterHint : 0
; COMPUTE_PGM_RSRC2:SCRATCH_EN: 0
; COMPUTE_PGM_RSRC2:USER_SGPR: 2
; COMPUTE_PGM_RSRC2:TRAP_HANDLER: 0
; COMPUTE_PGM_RSRC2:TGID_X_EN: 1
; COMPUTE_PGM_RSRC2:TGID_Y_EN: 0
; COMPUTE_PGM_RSRC2:TGID_Z_EN: 0
; COMPUTE_PGM_RSRC2:TIDIG_COMP_CNT: 0
; COMPUTE_PGM_RSRC3_GFX90A:ACCUM_OFFSET: 14
; COMPUTE_PGM_RSRC3_GFX90A:TG_SPLIT: 0
	.section	.text._ZN7rocprim6detail20lookback_scan_kernelILNS0_25lookback_scan_determinismE0ELb0ENS0_19wrapped_scan_configINS_14default_configEiEEN6hipcub22TransformInputIteratorIiNS6_6CastOpIiEEPilEEPdNS6_3SumEiiNS0_19lookback_scan_stateIiLb1ELb1EEEEEvT2_T3_mT5_T4_T7_jPT6_SM_bb,"axG",@progbits,_ZN7rocprim6detail20lookback_scan_kernelILNS0_25lookback_scan_determinismE0ELb0ENS0_19wrapped_scan_configINS_14default_configEiEEN6hipcub22TransformInputIteratorIiNS6_6CastOpIiEEPilEEPdNS6_3SumEiiNS0_19lookback_scan_stateIiLb1ELb1EEEEEvT2_T3_mT5_T4_T7_jPT6_SM_bb,comdat
	.protected	_ZN7rocprim6detail20lookback_scan_kernelILNS0_25lookback_scan_determinismE0ELb0ENS0_19wrapped_scan_configINS_14default_configEiEEN6hipcub22TransformInputIteratorIiNS6_6CastOpIiEEPilEEPdNS6_3SumEiiNS0_19lookback_scan_stateIiLb1ELb1EEEEEvT2_T3_mT5_T4_T7_jPT6_SM_bb ; -- Begin function _ZN7rocprim6detail20lookback_scan_kernelILNS0_25lookback_scan_determinismE0ELb0ENS0_19wrapped_scan_configINS_14default_configEiEEN6hipcub22TransformInputIteratorIiNS6_6CastOpIiEEPilEEPdNS6_3SumEiiNS0_19lookback_scan_stateIiLb1ELb1EEEEEvT2_T3_mT5_T4_T7_jPT6_SM_bb
	.globl	_ZN7rocprim6detail20lookback_scan_kernelILNS0_25lookback_scan_determinismE0ELb0ENS0_19wrapped_scan_configINS_14default_configEiEEN6hipcub22TransformInputIteratorIiNS6_6CastOpIiEEPilEEPdNS6_3SumEiiNS0_19lookback_scan_stateIiLb1ELb1EEEEEvT2_T3_mT5_T4_T7_jPT6_SM_bb
	.p2align	8
	.type	_ZN7rocprim6detail20lookback_scan_kernelILNS0_25lookback_scan_determinismE0ELb0ENS0_19wrapped_scan_configINS_14default_configEiEEN6hipcub22TransformInputIteratorIiNS6_6CastOpIiEEPilEEPdNS6_3SumEiiNS0_19lookback_scan_stateIiLb1ELb1EEEEEvT2_T3_mT5_T4_T7_jPT6_SM_bb,@function
_ZN7rocprim6detail20lookback_scan_kernelILNS0_25lookback_scan_determinismE0ELb0ENS0_19wrapped_scan_configINS_14default_configEiEEN6hipcub22TransformInputIteratorIiNS6_6CastOpIiEEPilEEPdNS6_3SumEiiNS0_19lookback_scan_stateIiLb1ELb1EEEEEvT2_T3_mT5_T4_T7_jPT6_SM_bb: ; @_ZN7rocprim6detail20lookback_scan_kernelILNS0_25lookback_scan_determinismE0ELb0ENS0_19wrapped_scan_configINS_14default_configEiEEN6hipcub22TransformInputIteratorIiNS6_6CastOpIiEEPilEEPdNS6_3SumEiiNS0_19lookback_scan_stateIiLb1ELb1EEEEEvT2_T3_mT5_T4_T7_jPT6_SM_bb
; %bb.0:
	s_endpgm
	.section	.rodata,"a",@progbits
	.p2align	6, 0x0
	.amdhsa_kernel _ZN7rocprim6detail20lookback_scan_kernelILNS0_25lookback_scan_determinismE0ELb0ENS0_19wrapped_scan_configINS_14default_configEiEEN6hipcub22TransformInputIteratorIiNS6_6CastOpIiEEPilEEPdNS6_3SumEiiNS0_19lookback_scan_stateIiLb1ELb1EEEEEvT2_T3_mT5_T4_T7_jPT6_SM_bb
		.amdhsa_group_segment_fixed_size 0
		.amdhsa_private_segment_fixed_size 0
		.amdhsa_kernarg_size 76
		.amdhsa_user_sgpr_count 2
		.amdhsa_user_sgpr_dispatch_ptr 0
		.amdhsa_user_sgpr_queue_ptr 0
		.amdhsa_user_sgpr_kernarg_segment_ptr 1
		.amdhsa_user_sgpr_dispatch_id 0
		.amdhsa_user_sgpr_kernarg_preload_length 0
		.amdhsa_user_sgpr_kernarg_preload_offset 0
		.amdhsa_user_sgpr_private_segment_size 0
		.amdhsa_uses_dynamic_stack 0
		.amdhsa_enable_private_segment 0
		.amdhsa_system_sgpr_workgroup_id_x 1
		.amdhsa_system_sgpr_workgroup_id_y 0
		.amdhsa_system_sgpr_workgroup_id_z 0
		.amdhsa_system_sgpr_workgroup_info 0
		.amdhsa_system_vgpr_workitem_id 0
		.amdhsa_next_free_vgpr 1
		.amdhsa_next_free_sgpr 0
		.amdhsa_accum_offset 4
		.amdhsa_reserve_vcc 0
		.amdhsa_float_round_mode_32 0
		.amdhsa_float_round_mode_16_64 0
		.amdhsa_float_denorm_mode_32 3
		.amdhsa_float_denorm_mode_16_64 3
		.amdhsa_dx10_clamp 1
		.amdhsa_ieee_mode 1
		.amdhsa_fp16_overflow 0
		.amdhsa_tg_split 0
		.amdhsa_exception_fp_ieee_invalid_op 0
		.amdhsa_exception_fp_denorm_src 0
		.amdhsa_exception_fp_ieee_div_zero 0
		.amdhsa_exception_fp_ieee_overflow 0
		.amdhsa_exception_fp_ieee_underflow 0
		.amdhsa_exception_fp_ieee_inexact 0
		.amdhsa_exception_int_div_zero 0
	.end_amdhsa_kernel
	.section	.text._ZN7rocprim6detail20lookback_scan_kernelILNS0_25lookback_scan_determinismE0ELb0ENS0_19wrapped_scan_configINS_14default_configEiEEN6hipcub22TransformInputIteratorIiNS6_6CastOpIiEEPilEEPdNS6_3SumEiiNS0_19lookback_scan_stateIiLb1ELb1EEEEEvT2_T3_mT5_T4_T7_jPT6_SM_bb,"axG",@progbits,_ZN7rocprim6detail20lookback_scan_kernelILNS0_25lookback_scan_determinismE0ELb0ENS0_19wrapped_scan_configINS_14default_configEiEEN6hipcub22TransformInputIteratorIiNS6_6CastOpIiEEPilEEPdNS6_3SumEiiNS0_19lookback_scan_stateIiLb1ELb1EEEEEvT2_T3_mT5_T4_T7_jPT6_SM_bb,comdat
.Lfunc_end18:
	.size	_ZN7rocprim6detail20lookback_scan_kernelILNS0_25lookback_scan_determinismE0ELb0ENS0_19wrapped_scan_configINS_14default_configEiEEN6hipcub22TransformInputIteratorIiNS6_6CastOpIiEEPilEEPdNS6_3SumEiiNS0_19lookback_scan_stateIiLb1ELb1EEEEEvT2_T3_mT5_T4_T7_jPT6_SM_bb, .Lfunc_end18-_ZN7rocprim6detail20lookback_scan_kernelILNS0_25lookback_scan_determinismE0ELb0ENS0_19wrapped_scan_configINS_14default_configEiEEN6hipcub22TransformInputIteratorIiNS6_6CastOpIiEEPilEEPdNS6_3SumEiiNS0_19lookback_scan_stateIiLb1ELb1EEEEEvT2_T3_mT5_T4_T7_jPT6_SM_bb
                                        ; -- End function
	.section	.AMDGPU.csdata,"",@progbits
; Kernel info:
; codeLenInByte = 4
; NumSgprs: 6
; NumVgprs: 0
; NumAgprs: 0
; TotalNumVgprs: 0
; ScratchSize: 0
; MemoryBound: 0
; FloatMode: 240
; IeeeMode: 1
; LDSByteSize: 0 bytes/workgroup (compile time only)
; SGPRBlocks: 0
; VGPRBlocks: 0
; NumSGPRsForWavesPerEU: 6
; NumVGPRsForWavesPerEU: 1
; AccumOffset: 4
; Occupancy: 8
; WaveLimiterHint : 0
; COMPUTE_PGM_RSRC2:SCRATCH_EN: 0
; COMPUTE_PGM_RSRC2:USER_SGPR: 2
; COMPUTE_PGM_RSRC2:TRAP_HANDLER: 0
; COMPUTE_PGM_RSRC2:TGID_X_EN: 1
; COMPUTE_PGM_RSRC2:TGID_Y_EN: 0
; COMPUTE_PGM_RSRC2:TGID_Z_EN: 0
; COMPUTE_PGM_RSRC2:TIDIG_COMP_CNT: 0
; COMPUTE_PGM_RSRC3_GFX90A:ACCUM_OFFSET: 0
; COMPUTE_PGM_RSRC3_GFX90A:TG_SPLIT: 0
	.section	.text._ZN7rocprim6detail20lookback_scan_kernelILNS0_25lookback_scan_determinismE0ELb0ENS0_19wrapped_scan_configINS_14default_configEiEEN6hipcub22TransformInputIteratorIiNS6_6CastOpIiEEPilEEPdNS6_3SumEiiNS0_19lookback_scan_stateIiLb0ELb1EEEEEvT2_T3_mT5_T4_T7_jPT6_SM_bb,"axG",@progbits,_ZN7rocprim6detail20lookback_scan_kernelILNS0_25lookback_scan_determinismE0ELb0ENS0_19wrapped_scan_configINS_14default_configEiEEN6hipcub22TransformInputIteratorIiNS6_6CastOpIiEEPilEEPdNS6_3SumEiiNS0_19lookback_scan_stateIiLb0ELb1EEEEEvT2_T3_mT5_T4_T7_jPT6_SM_bb,comdat
	.protected	_ZN7rocprim6detail20lookback_scan_kernelILNS0_25lookback_scan_determinismE0ELb0ENS0_19wrapped_scan_configINS_14default_configEiEEN6hipcub22TransformInputIteratorIiNS6_6CastOpIiEEPilEEPdNS6_3SumEiiNS0_19lookback_scan_stateIiLb0ELb1EEEEEvT2_T3_mT5_T4_T7_jPT6_SM_bb ; -- Begin function _ZN7rocprim6detail20lookback_scan_kernelILNS0_25lookback_scan_determinismE0ELb0ENS0_19wrapped_scan_configINS_14default_configEiEEN6hipcub22TransformInputIteratorIiNS6_6CastOpIiEEPilEEPdNS6_3SumEiiNS0_19lookback_scan_stateIiLb0ELb1EEEEEvT2_T3_mT5_T4_T7_jPT6_SM_bb
	.globl	_ZN7rocprim6detail20lookback_scan_kernelILNS0_25lookback_scan_determinismE0ELb0ENS0_19wrapped_scan_configINS_14default_configEiEEN6hipcub22TransformInputIteratorIiNS6_6CastOpIiEEPilEEPdNS6_3SumEiiNS0_19lookback_scan_stateIiLb0ELb1EEEEEvT2_T3_mT5_T4_T7_jPT6_SM_bb
	.p2align	8
	.type	_ZN7rocprim6detail20lookback_scan_kernelILNS0_25lookback_scan_determinismE0ELb0ENS0_19wrapped_scan_configINS_14default_configEiEEN6hipcub22TransformInputIteratorIiNS6_6CastOpIiEEPilEEPdNS6_3SumEiiNS0_19lookback_scan_stateIiLb0ELb1EEEEEvT2_T3_mT5_T4_T7_jPT6_SM_bb,@function
_ZN7rocprim6detail20lookback_scan_kernelILNS0_25lookback_scan_determinismE0ELb0ENS0_19wrapped_scan_configINS_14default_configEiEEN6hipcub22TransformInputIteratorIiNS6_6CastOpIiEEPilEEPdNS6_3SumEiiNS0_19lookback_scan_stateIiLb0ELb1EEEEEvT2_T3_mT5_T4_T7_jPT6_SM_bb: ; @_ZN7rocprim6detail20lookback_scan_kernelILNS0_25lookback_scan_determinismE0ELb0ENS0_19wrapped_scan_configINS_14default_configEiEEN6hipcub22TransformInputIteratorIiNS6_6CastOpIiEEPilEEPdNS6_3SumEiiNS0_19lookback_scan_stateIiLb0ELb1EEEEEvT2_T3_mT5_T4_T7_jPT6_SM_bb
; %bb.0:
	s_load_dword s3, s[0:1], 0x30
	s_load_dwordx2 s[4:5], s[0:1], 0x0
	s_load_dwordx4 s[8:11], s[0:1], 0x10
	s_mul_i32 s12, s2, 0x1500
	s_mov_b32 s13, 0
	s_waitcnt lgkmcnt(0)
	s_add_i32 s3, s3, -1
	s_mul_i32 s6, s3, 0x1500
	s_sub_u32 s20, s10, s6
	s_subb_u32 s21, s11, 0
	s_cmp_lg_u32 s2, s3
	s_cselect_b64 s[10:11], -1, 0
	s_lshl_b64 s[6:7], s[12:13], 2
	s_add_u32 s6, s4, s6
	s_addc_u32 s7, s5, s7
	s_mov_b64 s[4:5], -1
	s_and_b64 vcc, exec, s[10:11]
	s_cbranch_vccz .LBB19_2
; %bb.1:
	v_lshlrev_b32_e32 v2, 2, v0
	v_mov_b32_e32 v3, 0
	v_lshl_add_u64 v[4:5], s[6:7], 0, v[2:3]
	v_add_co_u32_e32 v6, vcc, 0x1000, v4
	global_load_dword v1, v2, s[6:7]
	global_load_dword v3, v2, s[6:7] offset:1024
	global_load_dword v10, v2, s[6:7] offset:2048
	global_load_dword v11, v2, s[6:7] offset:3072
	v_addc_co_u32_e32 v7, vcc, 0, v5, vcc
	v_add_co_u32_e32 v8, vcc, 0x2000, v4
	s_mov_b64 s[4:5], 0
	s_nop 0
	v_addc_co_u32_e32 v9, vcc, 0, v5, vcc
	global_load_dword v12, v[6:7], off
	global_load_dword v13, v[6:7], off offset:1024
	global_load_dword v14, v[6:7], off offset:2048
	;; [unrolled: 1-line block ×3, first 2 shown]
	global_load_dword v16, v[8:9], off
	global_load_dword v17, v[8:9], off offset:1024
	global_load_dword v18, v[8:9], off offset:2048
	;; [unrolled: 1-line block ×3, first 2 shown]
	v_add_co_u32_e32 v6, vcc, 0x3000, v4
	s_nop 1
	v_addc_co_u32_e32 v7, vcc, 0, v5, vcc
	v_add_co_u32_e32 v8, vcc, 0x4000, v4
	s_nop 1
	v_addc_co_u32_e32 v9, vcc, 0, v5, vcc
	global_load_dword v20, v[6:7], off
	global_load_dword v21, v[6:7], off offset:1024
	global_load_dword v22, v[6:7], off offset:2048
	;; [unrolled: 1-line block ×3, first 2 shown]
	global_load_dword v24, v[8:9], off
	global_load_dword v25, v[8:9], off offset:1024
	global_load_dword v26, v[8:9], off offset:2048
	;; [unrolled: 1-line block ×3, first 2 shown]
	v_add_co_u32_e32 v4, vcc, 0x5000, v4
	s_nop 1
	v_addc_co_u32_e32 v5, vcc, 0, v5, vcc
	global_load_dword v4, v[4:5], off
	s_waitcnt vmcnt(19)
	ds_write2st64_b32 v2, v1, v3 offset1:4
	s_waitcnt vmcnt(17)
	ds_write2st64_b32 v2, v10, v11 offset0:8 offset1:12
	s_waitcnt vmcnt(15)
	ds_write2st64_b32 v2, v12, v13 offset0:16 offset1:20
	;; [unrolled: 2-line block ×9, first 2 shown]
	s_waitcnt vmcnt(0)
	ds_write_b32 v2, v4 offset:20480
	s_waitcnt lgkmcnt(0)
	s_barrier
.LBB19_2:
	s_andn2_b64 vcc, exec, s[4:5]
	v_cmp_gt_u32_e64 s[4:5], s20, v0
	s_cbranch_vccnz .LBB19_46
; %bb.3:
	s_load_dword s3, s[6:7], 0x0
	v_lshlrev_b32_e32 v2, 2, v0
	v_mov_b32_e32 v3, 0
	v_lshl_add_u64 v[4:5], s[6:7], 0, v[2:3]
	s_waitcnt lgkmcnt(0)
	v_mov_b32_e32 v1, s3
	s_and_saveexec_b64 s[6:7], s[4:5]
	s_cbranch_execz .LBB19_5
; %bb.4:
	global_load_dword v1, v[4:5], off
.LBB19_5:
	s_or_b64 exec, exec, s[6:7]
	v_or_b32_e32 v3, 0x100, v0
	v_cmp_gt_u32_e32 vcc, s20, v3
	v_mov_b32_e32 v3, s3
	s_and_saveexec_b64 s[4:5], vcc
	s_cbranch_execz .LBB19_7
; %bb.6:
	global_load_dword v3, v[4:5], off offset:1024
.LBB19_7:
	s_or_b64 exec, exec, s[4:5]
	v_or_b32_e32 v6, 0x200, v0
	v_cmp_gt_u32_e32 vcc, s20, v6
	v_mov_b32_e32 v6, s3
	s_and_saveexec_b64 s[4:5], vcc
	s_cbranch_execz .LBB19_9
; %bb.8:
	global_load_dword v6, v[4:5], off offset:2048
.LBB19_9:
	;; [unrolled: 9-line block ×3, first 2 shown]
	s_or_b64 exec, exec, s[4:5]
	v_or_b32_e32 v8, 0x400, v0
	v_cmp_gt_u32_e32 vcc, s20, v8
	v_mov_b32_e32 v8, s3
	s_and_saveexec_b64 s[4:5], vcc
	s_cbranch_execz .LBB19_13
; %bb.12:
	v_add_co_u32_e32 v8, vcc, 0x1000, v4
	s_nop 1
	v_addc_co_u32_e32 v9, vcc, 0, v5, vcc
	global_load_dword v8, v[8:9], off
.LBB19_13:
	s_or_b64 exec, exec, s[4:5]
	v_or_b32_e32 v9, 0x500, v0
	v_cmp_gt_u32_e32 vcc, s20, v9
	v_mov_b32_e32 v9, s3
	s_and_saveexec_b64 s[4:5], vcc
	s_cbranch_execz .LBB19_15
; %bb.14:
	v_add_co_u32_e32 v10, vcc, 0x1000, v4
	s_nop 1
	v_addc_co_u32_e32 v11, vcc, 0, v5, vcc
	global_load_dword v9, v[10:11], off offset:1024
.LBB19_15:
	s_or_b64 exec, exec, s[4:5]
	v_or_b32_e32 v10, 0x600, v0
	v_cmp_gt_u32_e32 vcc, s20, v10
	v_mov_b32_e32 v10, s3
	s_and_saveexec_b64 s[4:5], vcc
	s_cbranch_execz .LBB19_17
; %bb.16:
	v_add_co_u32_e32 v10, vcc, 0x1000, v4
	s_nop 1
	v_addc_co_u32_e32 v11, vcc, 0, v5, vcc
	global_load_dword v10, v[10:11], off offset:2048
.LBB19_17:
	s_or_b64 exec, exec, s[4:5]
	v_or_b32_e32 v11, 0x700, v0
	v_cmp_gt_u32_e32 vcc, s20, v11
	v_mov_b32_e32 v11, s3
	s_and_saveexec_b64 s[4:5], vcc
	s_cbranch_execz .LBB19_19
; %bb.18:
	v_add_co_u32_e32 v12, vcc, 0x1000, v4
	s_nop 1
	v_addc_co_u32_e32 v13, vcc, 0, v5, vcc
	global_load_dword v11, v[12:13], off offset:3072
.LBB19_19:
	s_or_b64 exec, exec, s[4:5]
	v_or_b32_e32 v12, 0x800, v0
	v_cmp_gt_u32_e32 vcc, s20, v12
	v_mov_b32_e32 v12, s3
	s_and_saveexec_b64 s[4:5], vcc
	s_cbranch_execz .LBB19_21
; %bb.20:
	v_add_co_u32_e32 v12, vcc, 0x2000, v4
	s_nop 1
	v_addc_co_u32_e32 v13, vcc, 0, v5, vcc
	global_load_dword v12, v[12:13], off
.LBB19_21:
	s_or_b64 exec, exec, s[4:5]
	v_or_b32_e32 v13, 0x900, v0
	v_cmp_gt_u32_e32 vcc, s20, v13
	v_mov_b32_e32 v13, s3
	s_and_saveexec_b64 s[4:5], vcc
	s_cbranch_execz .LBB19_23
; %bb.22:
	v_add_co_u32_e32 v14, vcc, 0x2000, v4
	s_nop 1
	v_addc_co_u32_e32 v15, vcc, 0, v5, vcc
	global_load_dword v13, v[14:15], off offset:1024
.LBB19_23:
	s_or_b64 exec, exec, s[4:5]
	v_or_b32_e32 v14, 0xa00, v0
	v_cmp_gt_u32_e32 vcc, s20, v14
	v_mov_b32_e32 v14, s3
	s_and_saveexec_b64 s[4:5], vcc
	s_cbranch_execz .LBB19_25
; %bb.24:
	v_add_co_u32_e32 v14, vcc, 0x2000, v4
	s_nop 1
	v_addc_co_u32_e32 v15, vcc, 0, v5, vcc
	global_load_dword v14, v[14:15], off offset:2048
.LBB19_25:
	s_or_b64 exec, exec, s[4:5]
	v_or_b32_e32 v15, 0xb00, v0
	v_cmp_gt_u32_e32 vcc, s20, v15
	v_mov_b32_e32 v15, s3
	s_and_saveexec_b64 s[4:5], vcc
	s_cbranch_execz .LBB19_27
; %bb.26:
	v_add_co_u32_e32 v16, vcc, 0x2000, v4
	s_nop 1
	v_addc_co_u32_e32 v17, vcc, 0, v5, vcc
	global_load_dword v15, v[16:17], off offset:3072
.LBB19_27:
	;; [unrolled: 48-line block ×4, first 2 shown]
	s_or_b64 exec, exec, s[4:5]
	v_or_b32_e32 v24, 0x1400, v0
	v_cmp_gt_u32_e32 vcc, s20, v24
	v_mov_b32_e32 v24, s3
	s_and_saveexec_b64 s[4:5], vcc
	s_cbranch_execz .LBB19_45
; %bb.44:
	v_add_co_u32_e32 v4, vcc, 0x5000, v4
	s_nop 1
	v_addc_co_u32_e32 v5, vcc, 0, v5, vcc
	global_load_dword v24, v[4:5], off
.LBB19_45:
	s_or_b64 exec, exec, s[4:5]
	s_waitcnt vmcnt(0)
	ds_write2st64_b32 v2, v1, v3 offset1:4
	ds_write2st64_b32 v2, v6, v7 offset0:8 offset1:12
	ds_write2st64_b32 v2, v8, v9 offset0:16 offset1:20
	;; [unrolled: 1-line block ×9, first 2 shown]
	ds_write_b32 v2, v24 offset:20480
	s_waitcnt lgkmcnt(0)
	s_barrier
.LBB19_46:
	v_mul_u32_u24_e32 v32, 21, v0
	v_lshlrev_b32_e32 v1, 2, v32
	ds_read2_b32 v[18:19], v1 offset1:1
	ds_read2_b32 v[20:21], v1 offset0:2 offset1:3
	ds_read2_b32 v[16:17], v1 offset0:4 offset1:5
	;; [unrolled: 1-line block ×9, first 2 shown]
	ds_read_b32 v1, v1 offset:80
	s_load_dwordx2 s[14:15], s[0:1], 0x28
	s_cmp_lg_u32 s2, 0
	v_mbcnt_lo_u32_b32 v35, -1, 0
	v_lshrrev_b32_e32 v33, 6, v0
	v_or_b32_e32 v34, 63, v0
	s_waitcnt lgkmcnt(0)
	s_barrier
	s_cbranch_scc0 .LBB19_73
; %bb.47:
	v_add3_u32 v22, v19, v18, v20
	v_add3_u32 v22, v22, v21, v16
	;; [unrolled: 1-line block ×9, first 2 shown]
	v_mbcnt_hi_u32_b32 v25, -1, v35
	v_add3_u32 v22, v22, v3, v1
	v_and_b32_e32 v23, 15, v25
	v_cmp_ne_u32_e32 vcc, 0, v23
	v_mov_b32_dpp v24, v22 row_shr:1 row_mask:0xf bank_mask:0xf
	s_nop 0
	v_cndmask_b32_e32 v24, 0, v24, vcc
	v_add_u32_e32 v22, v24, v22
	v_cmp_lt_u32_e32 vcc, 1, v23
	s_nop 0
	v_mov_b32_dpp v24, v22 row_shr:2 row_mask:0xf bank_mask:0xf
	v_cndmask_b32_e32 v24, 0, v24, vcc
	v_add_u32_e32 v22, v22, v24
	v_cmp_lt_u32_e32 vcc, 3, v23
	s_nop 0
	v_mov_b32_dpp v24, v22 row_shr:4 row_mask:0xf bank_mask:0xf
	;; [unrolled: 5-line block ×3, first 2 shown]
	v_cndmask_b32_e32 v23, 0, v24, vcc
	v_add_u32_e32 v22, v22, v23
	v_bfe_i32 v24, v25, 4, 1
	v_cmp_lt_u32_e32 vcc, 31, v25
	v_mov_b32_dpp v23, v22 row_bcast:15 row_mask:0xf bank_mask:0xf
	v_and_b32_e32 v23, v24, v23
	v_add_u32_e32 v22, v22, v23
	s_nop 1
	v_mov_b32_dpp v23, v22 row_bcast:31 row_mask:0xf bank_mask:0xf
	v_cndmask_b32_e32 v23, 0, v23, vcc
	v_add_u32_e32 v22, v22, v23
	v_cmp_eq_u32_e32 vcc, v34, v0
	s_and_saveexec_b64 s[4:5], vcc
	s_cbranch_execz .LBB19_49
; %bb.48:
	v_lshlrev_b32_e32 v23, 2, v33
	ds_write_b32 v23, v22
.LBB19_49:
	s_or_b64 exec, exec, s[4:5]
	v_cmp_gt_u32_e32 vcc, 4, v0
	s_waitcnt lgkmcnt(0)
	s_barrier
	s_and_saveexec_b64 s[4:5], vcc
	s_cbranch_execz .LBB19_51
; %bb.50:
	v_lshlrev_b32_e32 v23, 2, v0
	ds_read_b32 v24, v23
	v_and_b32_e32 v26, 3, v25
	v_cmp_ne_u32_e32 vcc, 0, v26
	s_waitcnt lgkmcnt(0)
	v_mov_b32_dpp v27, v24 row_shr:1 row_mask:0xf bank_mask:0xf
	v_cndmask_b32_e32 v27, 0, v27, vcc
	v_add_u32_e32 v24, v27, v24
	v_cmp_lt_u32_e32 vcc, 1, v26
	s_nop 0
	v_mov_b32_dpp v27, v24 row_shr:2 row_mask:0xf bank_mask:0xf
	v_cndmask_b32_e32 v26, 0, v27, vcc
	v_add_u32_e32 v24, v24, v26
	ds_write_b32 v23, v24
.LBB19_51:
	s_or_b64 exec, exec, s[4:5]
	v_cmp_gt_u32_e32 vcc, 64, v0
	v_cmp_lt_u32_e64 s[4:5], 63, v0
	s_waitcnt lgkmcnt(0)
	s_barrier
	s_waitcnt lgkmcnt(0)
                                        ; implicit-def: $vgpr36
	s_and_saveexec_b64 s[6:7], s[4:5]
	s_cbranch_execz .LBB19_53
; %bb.52:
	v_lshl_add_u32 v23, v33, 2, -4
	ds_read_b32 v36, v23
	s_waitcnt lgkmcnt(0)
	v_add_u32_e32 v22, v36, v22
.LBB19_53:
	s_or_b64 exec, exec, s[6:7]
	v_add_u32_e32 v23, -1, v25
	v_and_b32_e32 v24, 64, v25
	v_cmp_lt_i32_e64 s[4:5], v23, v24
	s_nop 1
	v_cndmask_b32_e64 v23, v23, v25, s[4:5]
	v_lshlrev_b32_e32 v23, 2, v23
	ds_bpermute_b32 v37, v23, v22
	v_cmp_eq_u32_e64 s[4:5], 0, v25
	s_and_saveexec_b64 s[6:7], vcc
	s_cbranch_execz .LBB19_72
; %bb.54:
	v_mov_b32_e32 v29, 0
	ds_read_b32 v22, v29 offset:12
	s_and_saveexec_b64 s[16:17], s[4:5]
	s_cbranch_execz .LBB19_56
; %bb.55:
	s_add_i32 s18, s2, 64
	s_mov_b32 s19, 0
	s_lshl_b64 s[18:19], s[18:19], 3
	s_add_u32 s18, s14, s18
	s_addc_u32 s19, s15, s19
	v_mov_b32_e32 v23, 1
	s_waitcnt lgkmcnt(0)
	global_store_dwordx2 v29, v[22:23], s[18:19] sc1
.LBB19_56:
	s_or_b64 exec, exec, s[16:17]
	v_xad_u32 v24, v25, -1, s2
	v_add_u32_e32 v28, 64, v24
	v_lshl_add_u64 v[30:31], v[28:29], 3, s[14:15]
	global_load_dwordx2 v[26:27], v[30:31], off sc1
	s_waitcnt vmcnt(0)
	v_cmp_eq_u16_sdwa s[18:19], v27, v29 src0_sel:BYTE_0 src1_sel:DWORD
	s_and_saveexec_b64 s[16:17], s[18:19]
	s_cbranch_execz .LBB19_60
; %bb.57:
	s_mov_b64 s[18:19], 0
	v_mov_b32_e32 v23, 0
.LBB19_58:                              ; =>This Inner Loop Header: Depth=1
	global_load_dwordx2 v[26:27], v[30:31], off sc1
	s_waitcnt vmcnt(0)
	v_cmp_ne_u16_sdwa s[22:23], v27, v23 src0_sel:BYTE_0 src1_sel:DWORD
	s_or_b64 s[18:19], s[22:23], s[18:19]
	s_andn2_b64 exec, exec, s[18:19]
	s_cbranch_execnz .LBB19_58
; %bb.59:
	s_or_b64 exec, exec, s[18:19]
.LBB19_60:
	s_or_b64 exec, exec, s[16:17]
	v_and_b32_e32 v46, 63, v25
	v_mov_b32_e32 v23, 2
	v_cmp_ne_u32_e32 vcc, 63, v46
	v_cmp_eq_u16_sdwa s[16:17], v27, v23 src0_sel:BYTE_0 src1_sel:DWORD
	v_lshlrev_b64 v[28:29], v25, -1
	v_addc_co_u32_e32 v38, vcc, 0, v25, vcc
	v_and_b32_e32 v30, s17, v29
	v_lshlrev_b32_e32 v38, 2, v38
	v_or_b32_e32 v30, 0x80000000, v30
	ds_bpermute_b32 v40, v38, v26
	v_and_b32_e32 v31, s16, v28
	v_ffbl_b32_e32 v30, v30
	v_add_u32_e32 v30, 32, v30
	v_ffbl_b32_e32 v31, v31
	v_min_u32_e32 v30, v31, v30
	v_add_u32_e32 v39, 1, v25
	v_cmp_le_u32_e32 vcc, v39, v30
	v_add_u32_e32 v41, 2, v25
	v_add_u32_e32 v43, 4, v25
	s_waitcnt lgkmcnt(0)
	v_cndmask_b32_e32 v31, 0, v40, vcc
	v_cmp_gt_u32_e32 vcc, 62, v46
	v_add_u32_e32 v26, v31, v26
	v_add_u32_e32 v45, 8, v25
	v_cndmask_b32_e64 v31, 0, 1, vcc
	v_lshlrev_b32_e32 v31, 1, v31
	v_add_lshl_u32 v40, v31, v25, 2
	ds_bpermute_b32 v31, v40, v26
	v_cmp_le_u32_e32 vcc, v41, v30
	v_add_u32_e32 v48, 16, v25
	v_add_u32_e32 v50, 32, v25
	s_waitcnt lgkmcnt(0)
	v_cndmask_b32_e32 v31, 0, v31, vcc
	v_cmp_gt_u32_e32 vcc, 60, v46
	v_add_u32_e32 v26, v26, v31
	s_nop 0
	v_cndmask_b32_e64 v31, 0, 1, vcc
	v_lshlrev_b32_e32 v31, 2, v31
	v_add_lshl_u32 v42, v31, v25, 2
	ds_bpermute_b32 v31, v42, v26
	v_cmp_le_u32_e32 vcc, v43, v30
	s_waitcnt lgkmcnt(0)
	s_nop 0
	v_cndmask_b32_e32 v31, 0, v31, vcc
	v_cmp_gt_u32_e32 vcc, 56, v46
	v_add_u32_e32 v26, v26, v31
	s_nop 0
	v_cndmask_b32_e64 v31, 0, 1, vcc
	v_lshlrev_b32_e32 v31, 3, v31
	v_add_lshl_u32 v44, v31, v25, 2
	ds_bpermute_b32 v31, v44, v26
	v_cmp_le_u32_e32 vcc, v45, v30
	s_waitcnt lgkmcnt(0)
	s_nop 0
	;; [unrolled: 11-line block ×4, first 2 shown]
	v_cndmask_b32_e32 v25, 0, v31, vcc
	v_add_u32_e32 v26, v26, v25
	v_mov_b32_e32 v25, 0
	s_branch .LBB19_62
.LBB19_61:                              ;   in Loop: Header=BB19_62 Depth=1
	s_or_b64 exec, exec, s[16:17]
	v_cmp_eq_u16_sdwa s[16:17], v27, v23 src0_sel:BYTE_0 src1_sel:DWORD
	ds_bpermute_b32 v51, v38, v26
	v_subrev_u32_e32 v24, 64, v24
	v_and_b32_e32 v30, s17, v29
	v_or_b32_e32 v30, 0x80000000, v30
	v_and_b32_e32 v31, s16, v28
	v_ffbl_b32_e32 v30, v30
	v_add_u32_e32 v30, 32, v30
	v_ffbl_b32_e32 v31, v31
	v_min_u32_e32 v30, v31, v30
	v_cmp_le_u32_e32 vcc, v39, v30
	s_waitcnt lgkmcnt(0)
	s_nop 0
	v_cndmask_b32_e32 v31, 0, v51, vcc
	v_add_u32_e32 v26, v31, v26
	ds_bpermute_b32 v31, v40, v26
	v_cmp_le_u32_e32 vcc, v41, v30
	s_waitcnt lgkmcnt(0)
	s_nop 0
	v_cndmask_b32_e32 v31, 0, v31, vcc
	v_add_u32_e32 v26, v26, v31
	ds_bpermute_b32 v31, v42, v26
	;; [unrolled: 6-line block ×5, first 2 shown]
	v_cmp_le_u32_e32 vcc, v50, v30
	s_waitcnt lgkmcnt(0)
	s_nop 0
	v_cndmask_b32_e32 v30, 0, v31, vcc
	v_add3_u32 v26, v30, v46, v26
.LBB19_62:                              ; =>This Loop Header: Depth=1
                                        ;     Child Loop BB19_65 Depth 2
	v_cmp_ne_u16_sdwa s[16:17], v27, v23 src0_sel:BYTE_0 src1_sel:DWORD
	v_mov_b32_e32 v46, v26
	s_nop 0
	v_cndmask_b32_e64 v27, 0, 1, s[16:17]
	;;#ASMSTART
	;;#ASMEND
	s_nop 0
	v_cmp_ne_u32_e32 vcc, 0, v27
	s_cmp_lg_u64 vcc, exec
	s_cbranch_scc1 .LBB19_67
; %bb.63:                               ;   in Loop: Header=BB19_62 Depth=1
	v_lshl_add_u64 v[30:31], v[24:25], 3, s[14:15]
	global_load_dwordx2 v[26:27], v[30:31], off sc1
	s_waitcnt vmcnt(0)
	v_cmp_eq_u16_sdwa s[18:19], v27, v25 src0_sel:BYTE_0 src1_sel:DWORD
	s_and_saveexec_b64 s[16:17], s[18:19]
	s_cbranch_execz .LBB19_61
; %bb.64:                               ;   in Loop: Header=BB19_62 Depth=1
	s_mov_b64 s[18:19], 0
.LBB19_65:                              ;   Parent Loop BB19_62 Depth=1
                                        ; =>  This Inner Loop Header: Depth=2
	global_load_dwordx2 v[26:27], v[30:31], off sc1
	s_waitcnt vmcnt(0)
	v_cmp_ne_u16_sdwa s[22:23], v27, v25 src0_sel:BYTE_0 src1_sel:DWORD
	s_or_b64 s[18:19], s[22:23], s[18:19]
	s_andn2_b64 exec, exec, s[18:19]
	s_cbranch_execnz .LBB19_65
; %bb.66:                               ;   in Loop: Header=BB19_62 Depth=1
	s_or_b64 exec, exec, s[18:19]
	s_branch .LBB19_61
.LBB19_67:                              ;   in Loop: Header=BB19_62 Depth=1
                                        ; implicit-def: $vgpr26
                                        ; implicit-def: $vgpr27
	s_cbranch_execz .LBB19_62
; %bb.68:
	s_and_saveexec_b64 s[16:17], s[4:5]
	s_cbranch_execz .LBB19_70
; %bb.69:
	s_add_i32 s2, s2, 64
	s_mov_b32 s3, 0
	s_lshl_b64 s[2:3], s[2:3], 3
	s_add_u32 s2, s14, s2
	s_addc_u32 s3, s15, s3
	v_mov_b32_e32 v24, 0
	v_add_u32_e32 v22, v46, v22
	v_mov_b32_e32 v23, 2
	global_store_dwordx2 v24, v[22:23], s[2:3] sc1
.LBB19_70:
	s_or_b64 exec, exec, s[16:17]
	v_cmp_eq_u32_e32 vcc, 0, v0
	s_and_b64 exec, exec, vcc
	s_cbranch_execz .LBB19_72
; %bb.71:
	v_mov_b32_e32 v22, 0
	ds_write_b32 v22, v46 offset:12
.LBB19_72:
	s_or_b64 exec, exec, s[6:7]
	v_mov_b32_e32 v22, 0
	s_waitcnt lgkmcnt(0)
	s_barrier
	ds_read_b32 v22, v22 offset:12
	v_cndmask_b32_e64 v23, v37, v36, s[4:5]
	v_cmp_ne_u32_e32 vcc, 0, v0
	s_nop 1
	v_cndmask_b32_e32 v23, 0, v23, vcc
	s_waitcnt lgkmcnt(0)
	v_add3_u32 v22, v23, v18, v22
	s_load_dwordx4 s[4:7], s[0:1], 0x38
	s_branch .LBB19_85
.LBB19_73:
                                        ; implicit-def: $vgpr22
	s_load_dwordx4 s[4:7], s[0:1], 0x38
	s_cbranch_execz .LBB19_85
; %bb.74:
	s_load_dword s2, s[0:1], 0x48
	v_cmp_eq_u32_e32 vcc, 0, v0
	s_waitcnt lgkmcnt(0)
	s_bitcmp1_b32 s2, 0
	s_cselect_b64 s[2:3], -1, 0
	s_and_b64 s[16:17], vcc, s[2:3]
	s_and_saveexec_b64 s[2:3], s[16:17]
	s_cbranch_execz .LBB19_76
; %bb.75:
	s_load_dword s4, s[4:5], 0x0
	s_waitcnt lgkmcnt(0)
	v_add_u32_e32 v18, s4, v18
.LBB19_76:
	s_or_b64 exec, exec, s[2:3]
	v_add3_u32 v22, v20, v19, v21
	v_add3_u32 v22, v22, v16, v17
	;; [unrolled: 1-line block ×10, first 2 shown]
	v_mbcnt_hi_u32_b32 v22, -1, v35
	v_and_b32_e32 v24, 15, v22
	v_mov_b32_dpp v25, v23 row_shr:1 row_mask:0xf bank_mask:0xf
	v_cmp_ne_u32_e64 s[2:3], 0, v24
	s_nop 1
	v_cndmask_b32_e64 v25, 0, v25, s[2:3]
	v_add_u32_e32 v23, v23, v25
	v_cmp_lt_u32_e64 s[2:3], 1, v24
	s_nop 0
	v_mov_b32_dpp v25, v23 row_shr:2 row_mask:0xf bank_mask:0xf
	v_cndmask_b32_e64 v25, 0, v25, s[2:3]
	v_add_u32_e32 v23, v23, v25
	v_cmp_lt_u32_e64 s[2:3], 3, v24
	s_nop 0
	v_mov_b32_dpp v25, v23 row_shr:4 row_mask:0xf bank_mask:0xf
	v_cndmask_b32_e64 v25, 0, v25, s[2:3]
	v_add_u32_e32 v23, v23, v25
	v_cmp_lt_u32_e64 s[2:3], 7, v24
	s_nop 0
	v_mov_b32_dpp v25, v23 row_shr:8 row_mask:0xf bank_mask:0xf
	v_cndmask_b32_e64 v24, 0, v25, s[2:3]
	v_add_u32_e32 v23, v23, v24
	v_bfe_i32 v25, v22, 4, 1
	v_cmp_lt_u32_e64 s[2:3], 31, v22
	v_mov_b32_dpp v24, v23 row_bcast:15 row_mask:0xf bank_mask:0xf
	v_and_b32_e32 v24, v25, v24
	v_add_u32_e32 v23, v23, v24
	s_nop 1
	v_mov_b32_dpp v24, v23 row_bcast:31 row_mask:0xf bank_mask:0xf
	v_cndmask_b32_e64 v24, 0, v24, s[2:3]
	v_add_u32_e32 v23, v23, v24
	v_cmp_eq_u32_e64 s[2:3], v34, v0
	s_and_saveexec_b64 s[4:5], s[2:3]
	s_cbranch_execz .LBB19_78
; %bb.77:
	v_lshlrev_b32_e32 v24, 2, v33
	ds_write_b32 v24, v23
.LBB19_78:
	s_or_b64 exec, exec, s[4:5]
	v_cmp_gt_u32_e64 s[2:3], 4, v0
	s_waitcnt lgkmcnt(0)
	s_barrier
	s_and_saveexec_b64 s[4:5], s[2:3]
	s_cbranch_execz .LBB19_80
; %bb.79:
	v_lshlrev_b32_e32 v24, 2, v0
	ds_read_b32 v25, v24
	v_and_b32_e32 v26, 3, v22
	v_cmp_ne_u32_e64 s[2:3], 0, v26
	s_waitcnt lgkmcnt(0)
	v_mov_b32_dpp v27, v25 row_shr:1 row_mask:0xf bank_mask:0xf
	v_cndmask_b32_e64 v27, 0, v27, s[2:3]
	v_add_u32_e32 v25, v27, v25
	v_cmp_lt_u32_e64 s[2:3], 1, v26
	s_nop 0
	v_mov_b32_dpp v27, v25 row_shr:2 row_mask:0xf bank_mask:0xf
	v_cndmask_b32_e64 v26, 0, v27, s[2:3]
	v_add_u32_e32 v25, v25, v26
	ds_write_b32 v24, v25
.LBB19_80:
	s_or_b64 exec, exec, s[4:5]
	v_cmp_lt_u32_e64 s[2:3], 63, v0
	s_waitcnt lgkmcnt(0)
	s_barrier
	s_waitcnt lgkmcnt(0)
                                        ; implicit-def: $vgpr24
	s_and_saveexec_b64 s[4:5], s[2:3]
	s_cbranch_execz .LBB19_82
; %bb.81:
	v_lshl_add_u32 v24, v33, 2, -4
	ds_read_b32 v24, v24
	s_waitcnt lgkmcnt(0)
	v_add_u32_e32 v23, v24, v23
.LBB19_82:
	s_or_b64 exec, exec, s[4:5]
	v_add_u32_e32 v25, -1, v22
	v_and_b32_e32 v26, 64, v22
	v_cmp_lt_i32_e64 s[2:3], v25, v26
	s_nop 1
	v_cndmask_b32_e64 v25, v25, v22, s[2:3]
	v_lshlrev_b32_e32 v25, 2, v25
	ds_bpermute_b32 v23, v25, v23
	v_cmp_eq_u32_e64 s[2:3], 0, v22
	s_waitcnt lgkmcnt(0)
	s_nop 0
	v_cndmask_b32_e64 v22, v23, v24, s[2:3]
	v_cndmask_b32_e64 v22, v22, 0, vcc
	s_and_saveexec_b64 s[2:3], vcc
	s_cbranch_execz .LBB19_84
; %bb.83:
	v_mov_b32_e32 v23, 0
	ds_read_b32 v24, v23 offset:12
	v_mov_b32_e32 v25, 2
	s_waitcnt lgkmcnt(0)
	global_store_dwordx2 v23, v[24:25], s[14:15] offset:512 sc1
.LBB19_84:
	s_or_b64 exec, exec, s[2:3]
	v_add_u32_e32 v22, v22, v18
.LBB19_85:
	v_add_u32_e32 v18, v22, v19
	v_add_u32_e32 v19, v18, v20
	;; [unrolled: 1-line block ×18, first 2 shown]
	s_lshl_b64 s[2:3], s[12:13], 3
	v_add_u32_e32 v3, v2, v3
	s_add_u32 s2, s8, s2
	v_add_u32_e32 v1, v3, v1
	s_addc_u32 s3, s9, s3
	s_waitcnt lgkmcnt(0)
	s_mov_b64 s[4:5], -1
	s_and_b64 vcc, exec, s[10:11]
	v_lshlrev_b32_e32 v20, 3, v0
	s_barrier
	s_cbranch_vccz .LBB19_87
; %bb.86:
	v_mul_u32_u24_e32 v21, 0x54, v0
	s_movk_i32 s4, 0x54
	ds_write2_b32 v21, v22, v18 offset1:1
	ds_write2_b32 v21, v19, v23 offset0:2 offset1:3
	ds_write2_b32 v21, v16, v17 offset0:4 offset1:5
	;; [unrolled: 1-line block ×9, first 2 shown]
	ds_write_b32 v21, v1 offset:80
	v_mul_i32_i24_e32 v21, 0xffffffb0, v0
	v_mad_u32_u24 v21, v0, s4, v21
	s_waitcnt lgkmcnt(0)
	s_barrier
	ds_read2st64_b32 v[24:25], v21 offset1:4
	ds_read2st64_b32 v[26:27], v21 offset0:8 offset1:12
	ds_read2st64_b32 v[28:29], v21 offset0:16 offset1:20
	;; [unrolled: 1-line block ×9, first 2 shown]
	ds_read_b32 v33, v21 offset:20480
	v_mov_b32_e32 v21, 0
	v_lshl_add_u64 v[46:47], s[2:3], 0, v[20:21]
	s_waitcnt lgkmcnt(10)
	v_cvt_f64_i32_e32 v[48:49], v24
	s_movk_i32 s4, 0x1000
	global_store_dwordx2 v20, v[48:49], s[2:3]
	v_add_co_u32_e32 v48, vcc, s4, v46
	s_movk_i32 s4, 0x2000
	s_nop 0
	v_addc_co_u32_e32 v49, vcc, 0, v47, vcc
	v_cvt_f64_i32_e32 v[24:25], v25
	v_add_co_u32_e32 v50, vcc, s4, v46
	global_store_dwordx2 v20, v[24:25], s[2:3] offset:2048
	s_waitcnt lgkmcnt(9)
	v_cvt_f64_i32_e32 v[24:25], v26
	v_addc_co_u32_e32 v51, vcc, 0, v47, vcc
	s_movk_i32 s4, 0x3000
	global_store_dwordx2 v[50:51], v[24:25], off offset:-4096
	v_cvt_f64_i32_e32 v[24:25], v27
	v_add_co_u32_e32 v26, vcc, s4, v46
	global_store_dwordx2 v[48:49], v[24:25], off offset:2048
	s_waitcnt lgkmcnt(8)
	v_cvt_f64_i32_e32 v[24:25], v28
	v_addc_co_u32_e32 v27, vcc, 0, v47, vcc
	s_movk_i32 s4, 0x4000
	global_store_dwordx2 v[50:51], v[24:25], off
	v_cvt_f64_i32_e32 v[24:25], v29
	v_add_co_u32_e32 v28, vcc, s4, v46
	global_store_dwordx2 v[50:51], v[24:25], off offset:2048
	s_waitcnt lgkmcnt(7)
	v_cvt_f64_i32_e32 v[24:25], v30
	v_addc_co_u32_e32 v29, vcc, 0, v47, vcc
	global_store_dwordx2 v[28:29], v[24:25], off offset:-4096
	v_cvt_f64_i32_e32 v[24:25], v31
	s_movk_i32 s4, 0x5000
	global_store_dwordx2 v[26:27], v[24:25], off offset:2048
	s_waitcnt lgkmcnt(6)
	v_cvt_f64_i32_e32 v[24:25], v34
	v_add_co_u32_e32 v26, vcc, s4, v46
	global_store_dwordx2 v[28:29], v[24:25], off
	v_cvt_f64_i32_e32 v[24:25], v35
	v_addc_co_u32_e32 v27, vcc, 0, v47, vcc
	s_movk_i32 s4, 0x6000
	global_store_dwordx2 v[28:29], v[24:25], off offset:2048
	v_add_co_u32_e32 v28, vcc, s4, v46
	s_waitcnt lgkmcnt(5)
	v_cvt_f64_i32_e32 v[24:25], v36
	v_addc_co_u32_e32 v29, vcc, 0, v47, vcc
	global_store_dwordx2 v[28:29], v[24:25], off offset:-4096
	v_cvt_f64_i32_e32 v[24:25], v37
	s_movk_i32 s4, 0x7000
	global_store_dwordx2 v[26:27], v[24:25], off offset:2048
	s_waitcnt lgkmcnt(4)
	v_cvt_f64_i32_e32 v[24:25], v38
	v_add_co_u32_e32 v26, vcc, s4, v46
	global_store_dwordx2 v[28:29], v[24:25], off
	v_cvt_f64_i32_e32 v[24:25], v39
	v_addc_co_u32_e32 v27, vcc, 0, v47, vcc
	s_mov_b32 s4, 0x8000
	global_store_dwordx2 v[28:29], v[24:25], off offset:2048
	v_add_co_u32_e32 v28, vcc, s4, v46
	s_waitcnt lgkmcnt(3)
	v_cvt_f64_i32_e32 v[24:25], v40
	v_addc_co_u32_e32 v29, vcc, 0, v47, vcc
	global_store_dwordx2 v[28:29], v[24:25], off offset:-4096
	v_cvt_f64_i32_e32 v[24:25], v41
	global_store_dwordx2 v[26:27], v[24:25], off offset:2048
	s_waitcnt lgkmcnt(2)
	v_cvt_f64_i32_e32 v[24:25], v42
	global_store_dwordx2 v[28:29], v[24:25], off
	v_cvt_f64_i32_e32 v[24:25], v43
	v_add_co_u32_e32 v26, vcc, 0x9000, v46
	global_store_dwordx2 v[28:29], v[24:25], off offset:2048
	s_waitcnt lgkmcnt(1)
	v_cvt_f64_i32_e32 v[24:25], v44
	v_addc_co_u32_e32 v27, vcc, 0, v47, vcc
	global_store_dwordx2 v[26:27], v[24:25], off
	v_cvt_f64_i32_e32 v[24:25], v45
	global_store_dwordx2 v[26:27], v[24:25], off offset:2048
	v_add_co_u32_e32 v26, vcc, 0xa000, v46
	s_waitcnt lgkmcnt(0)
	v_cvt_f64_i32_e32 v[24:25], v33
	v_addc_co_u32_e32 v27, vcc, 0, v47, vcc
	global_store_dwordx2 v[26:27], v[24:25], off
	s_mov_b64 s[4:5], 0
.LBB19_87:
	s_andn2_b64 vcc, exec, s[4:5]
	s_cbranch_vccnz .LBB19_208
; %bb.88:
	v_mul_u32_u24_e32 v21, 0x54, v0
	s_movk_i32 s4, 0x54
	ds_write2_b32 v21, v22, v18 offset1:1
	ds_write2_b32 v21, v19, v23 offset0:2 offset1:3
	ds_write2_b32 v21, v16, v17 offset0:4 offset1:5
	;; [unrolled: 1-line block ×9, first 2 shown]
	ds_write_b32 v21, v1 offset:80
	v_mul_i32_i24_e32 v1, 0xffffffb0, v0
	v_mad_u32_u24 v1, v0, s4, v1
	s_waitcnt lgkmcnt(0)
	s_barrier
	ds_read2st64_b32 v[4:5], v1 offset1:4
	ds_read2st64_b32 v[6:7], v1 offset0:8 offset1:12
	ds_read2st64_b32 v[8:9], v1 offset0:16 offset1:20
	;; [unrolled: 1-line block ×9, first 2 shown]
	ds_read_b32 v26, v1 offset:20480
	v_mov_b32_e32 v21, 0
	v_lshl_add_u64 v[24:25], s[2:3], 0, v[20:21]
	v_cmp_gt_u32_e32 vcc, s20, v0
	s_and_saveexec_b64 s[2:3], vcc
	s_cbranch_execz .LBB19_90
; %bb.89:
	s_waitcnt lgkmcnt(10)
	v_cvt_f64_i32_e32 v[28:29], v4
	global_store_dwordx2 v[24:25], v[28:29], off
.LBB19_90:
	s_or_b64 exec, exec, s[2:3]
	v_or_b32_e32 v1, 0x100, v0
	v_cmp_gt_u32_e32 vcc, s20, v1
	s_and_saveexec_b64 s[2:3], vcc
	s_cbranch_execz .LBB19_92
; %bb.91:
	s_waitcnt lgkmcnt(10)
	v_cvt_f64_i32_e32 v[28:29], v5
	global_store_dwordx2 v[24:25], v[28:29], off offset:2048
.LBB19_92:
	s_or_b64 exec, exec, s[2:3]
	v_or_b32_e32 v1, 0x200, v0
	v_cmp_gt_u32_e32 vcc, s20, v1
	s_and_saveexec_b64 s[2:3], vcc
	s_cbranch_execz .LBB19_94
; %bb.93:
	v_add_co_u32_e32 v30, vcc, 0x1000, v24
	s_waitcnt lgkmcnt(9)
	v_cvt_f64_i32_e32 v[28:29], v6
	v_addc_co_u32_e32 v31, vcc, 0, v25, vcc
	global_store_dwordx2 v[30:31], v[28:29], off
.LBB19_94:
	s_or_b64 exec, exec, s[2:3]
	v_or_b32_e32 v1, 0x300, v0
	v_cmp_gt_u32_e32 vcc, s20, v1
	s_and_saveexec_b64 s[2:3], vcc
	s_cbranch_execz .LBB19_96
; %bb.95:
	v_add_co_u32_e32 v30, vcc, 0x1000, v24
	s_waitcnt lgkmcnt(9)
	v_cvt_f64_i32_e32 v[28:29], v7
	v_addc_co_u32_e32 v31, vcc, 0, v25, vcc
	global_store_dwordx2 v[30:31], v[28:29], off offset:2048
.LBB19_96:
	s_or_b64 exec, exec, s[2:3]
	v_or_b32_e32 v1, 0x400, v0
	v_cmp_gt_u32_e32 vcc, s20, v1
	s_and_saveexec_b64 s[2:3], vcc
	s_cbranch_execz .LBB19_98
; %bb.97:
	v_add_co_u32_e32 v30, vcc, 0x2000, v24
	s_waitcnt lgkmcnt(8)
	v_cvt_f64_i32_e32 v[28:29], v8
	v_addc_co_u32_e32 v31, vcc, 0, v25, vcc
	global_store_dwordx2 v[30:31], v[28:29], off
.LBB19_98:
	s_or_b64 exec, exec, s[2:3]
	v_or_b32_e32 v1, 0x500, v0
	v_cmp_gt_u32_e32 vcc, s20, v1
	s_and_saveexec_b64 s[2:3], vcc
	s_cbranch_execz .LBB19_100
; %bb.99:
	v_add_co_u32_e32 v30, vcc, 0x2000, v24
	s_waitcnt lgkmcnt(8)
	v_cvt_f64_i32_e32 v[28:29], v9
	v_addc_co_u32_e32 v31, vcc, 0, v25, vcc
	global_store_dwordx2 v[30:31], v[28:29], off offset:2048
.LBB19_100:
	;; [unrolled: 24-line block ×9, first 2 shown]
	s_or_b64 exec, exec, s[2:3]
	v_or_b32_e32 v1, 0x1400, v0
	v_cmp_gt_u32_e32 vcc, s20, v1
	s_and_saveexec_b64 s[2:3], vcc
	s_cbranch_execz .LBB19_130
; %bb.129:
	v_add_co_u32_e32 v24, vcc, 0xa000, v24
	s_waitcnt lgkmcnt(0)
	v_cvt_f64_i32_e32 v[28:29], v26
	v_addc_co_u32_e32 v25, vcc, 0, v25, vcc
	global_store_dwordx2 v[24:25], v[28:29], off
.LBB19_130:
	s_or_b64 exec, exec, s[2:3]
	s_load_dword s0, s[0:1], 0x48
	s_waitcnt lgkmcnt(0)
	s_bfe_u32 s0, s0, 0x10008
	s_cmp_eq_u32 s0, 0
	s_cbranch_scc1 .LBB19_208
; %bb.131:
	s_add_u32 s0, s20, -1
	s_addc_u32 s1, s21, -1
	s_add_u32 s2, 0, 0x30c26c00
	s_addc_u32 s3, 0, 44
	s_add_i32 s3, s3, 0xc30c2e0
	s_mul_hi_u32 s9, s2, 0xffffffeb
	s_sub_i32 s9, s9, s2
	s_mul_i32 s10, s3, 0xffffffeb
	s_mul_i32 s4, s2, 0xffffffeb
	s_add_i32 s9, s9, s10
	s_mul_hi_u32 s5, s3, s4
	s_mul_i32 s8, s3, s4
	s_mul_i32 s11, s2, s9
	s_mul_hi_u32 s4, s2, s4
	s_mul_hi_u32 s10, s2, s9
	s_add_u32 s4, s4, s11
	s_addc_u32 s10, 0, s10
	s_add_u32 s4, s4, s8
	s_mul_hi_u32 s11, s3, s9
	s_addc_u32 s4, s10, s5
	s_addc_u32 s5, s11, 0
	s_mul_i32 s8, s3, s9
	s_add_u32 s4, s4, s8
	v_mov_b32_e32 v20, s4
	s_addc_u32 s5, 0, s5
	v_add_co_u32_e32 v20, vcc, s2, v20
	s_cmp_lg_u64 vcc, 0
	s_addc_u32 s2, s3, s5
	v_readfirstlane_b32 s5, v20
	s_mul_i32 s4, s0, s2
	s_mul_hi_u32 s8, s0, s5
	s_mul_hi_u32 s3, s0, s2
	s_add_u32 s4, s8, s4
	s_addc_u32 s3, 0, s3
	s_mul_hi_u32 s9, s1, s5
	s_mul_i32 s5, s1, s5
	s_add_u32 s4, s4, s5
	s_mul_hi_u32 s8, s1, s2
	s_addc_u32 s3, s3, s9
	s_addc_u32 s4, s8, 0
	s_mul_i32 s2, s1, s2
	s_add_u32 s2, s3, s2
	s_addc_u32 s3, 0, s4
	s_add_u32 s4, s2, 1
	s_addc_u32 s5, s3, 0
	s_add_u32 s8, s2, 2
	s_mul_i32 s10, s3, 21
	s_mul_hi_u32 s11, s2, 21
	s_addc_u32 s9, s3, 0
	s_add_i32 s11, s11, s10
	s_mul_i32 s10, s2, 21
	v_mov_b32_e32 v20, s10
	v_sub_co_u32_e32 v20, vcc, s0, v20
	s_cmp_lg_u64 vcc, 0
	v_mov_b32_e32 v1, v21
	s_subb_u32 s10, s1, s11
	v_subrev_co_u32_e32 v21, vcc, 21, v20
	s_cmp_lg_u64 vcc, 0
	s_subb_u32 s11, s10, 0
	v_readfirstlane_b32 s12, v21
	s_cmp_gt_u32 s12, 20
	s_cselect_b32 s12, -1, 0
	s_cmp_eq_u32 s11, 0
	s_cselect_b32 s11, s12, -1
	s_cmp_lg_u32 s11, 0
	s_cselect_b32 s4, s8, s4
	v_readfirstlane_b32 s8, v20
	s_cselect_b32 s5, s9, s5
	s_cmp_gt_u32 s8, 20
	s_cselect_b32 s8, -1, 0
	s_cmp_eq_u32 s10, 0
	s_cselect_b32 s8, s8, -1
	s_cmp_lg_u32 s8, 0
	s_cselect_b32 s3, s5, s3
	s_cselect_b32 s2, s4, s2
	v_cmp_eq_u64_e32 vcc, s[2:3], v[0:1]
	s_and_saveexec_b64 s[2:3], vcc
	s_cbranch_execz .LBB19_208
; %bb.132:
	v_mul_hi_u32_u24_e32 v1, 21, v0
	v_mov_b32_e32 v20, s1
	v_sub_co_u32_e32 v0, vcc, s0, v32
	s_nop 1
	v_subb_co_u32_e32 v1, vcc, v20, v1, vcc
	v_cmp_lt_i64_e32 vcc, 10, v[0:1]
	s_and_saveexec_b64 s[0:1], vcc
	s_xor_b64 s[0:1], exec, s[0:1]
	s_cbranch_execz .LBB19_170
; %bb.133:
	v_cmp_lt_i64_e32 vcc, 15, v[0:1]
	s_and_saveexec_b64 s[2:3], vcc
	s_xor_b64 s[2:3], exec, s[2:3]
	s_cbranch_execz .LBB19_151
; %bb.134:
	;; [unrolled: 5-line block ×5, first 2 shown]
	v_mov_b32_e32 v0, 0
	global_store_dword v0, v26, s[6:7]
                                        ; implicit-def: $vgpr18_vgpr19
.LBB19_138:
	s_andn2_saveexec_b64 s[10:11], s[10:11]
	s_cbranch_execz .LBB19_140
; %bb.139:
	v_mov_b32_e32 v0, 0
	global_store_dword v0, v19, s[6:7]
.LBB19_140:
	s_or_b64 exec, exec, s[10:11]
                                        ; implicit-def: $vgpr18_vgpr19
.LBB19_141:
	s_andn2_saveexec_b64 s[8:9], s[8:9]
	s_cbranch_execz .LBB19_143
; %bb.142:
	v_mov_b32_e32 v0, 0
	global_store_dword v0, v18, s[6:7]
.LBB19_143:
	s_or_b64 exec, exec, s[8:9]
                                        ; implicit-def: $vgpr22_vgpr23
                                        ; implicit-def: $vgpr0_vgpr1
.LBB19_144:
	s_andn2_saveexec_b64 s[4:5], s[4:5]
	s_cbranch_execz .LBB19_150
; %bb.145:
	v_cmp_lt_i64_e32 vcc, 16, v[0:1]
	s_and_saveexec_b64 s[8:9], vcc
	s_xor_b64 s[8:9], exec, s[8:9]
	s_cbranch_execz .LBB19_147
; %bb.146:
	v_mov_b32_e32 v0, 0
	global_store_dword v0, v23, s[6:7]
                                        ; implicit-def: $vgpr22_vgpr23
.LBB19_147:
	s_andn2_saveexec_b64 s[8:9], s[8:9]
	s_cbranch_execz .LBB19_149
; %bb.148:
	v_mov_b32_e32 v0, 0
	global_store_dword v0, v22, s[6:7]
.LBB19_149:
	s_or_b64 exec, exec, s[8:9]
.LBB19_150:
	s_or_b64 exec, exec, s[4:5]
                                        ; implicit-def: $vgpr0_vgpr1
                                        ; implicit-def: $vgpr2_vgpr3
                                        ; implicit-def: $vgpr12_vgpr13
                                        ; implicit-def: $vgpr16_vgpr17
.LBB19_151:
	s_andn2_saveexec_b64 s[2:3], s[2:3]
	s_cbranch_execz .LBB19_169
; %bb.152:
	v_cmp_lt_i64_e32 vcc, 12, v[0:1]
	s_and_saveexec_b64 s[4:5], vcc
	s_xor_b64 s[4:5], exec, s[4:5]
	s_cbranch_execz .LBB19_162
; %bb.153:
	v_cmp_lt_i64_e32 vcc, 13, v[0:1]
	s_and_saveexec_b64 s[8:9], vcc
	s_xor_b64 s[8:9], exec, s[8:9]
	s_cbranch_execz .LBB19_159
; %bb.154:
	v_cmp_lt_i64_e32 vcc, 14, v[0:1]
	s_and_saveexec_b64 s[10:11], vcc
	s_xor_b64 s[10:11], exec, s[10:11]
	s_cbranch_execz .LBB19_156
; %bb.155:
	v_mov_b32_e32 v0, 0
	global_store_dword v0, v17, s[6:7]
                                        ; implicit-def: $vgpr16_vgpr17
.LBB19_156:
	s_andn2_saveexec_b64 s[10:11], s[10:11]
	s_cbranch_execz .LBB19_158
; %bb.157:
	v_mov_b32_e32 v0, 0
	global_store_dword v0, v16, s[6:7]
.LBB19_158:
	s_or_b64 exec, exec, s[10:11]
                                        ; implicit-def: $vgpr12_vgpr13
.LBB19_159:
	s_andn2_saveexec_b64 s[8:9], s[8:9]
	s_cbranch_execz .LBB19_161
; %bb.160:
	v_mov_b32_e32 v0, 0
	global_store_dword v0, v13, s[6:7]
.LBB19_161:
	s_or_b64 exec, exec, s[8:9]
                                        ; implicit-def: $vgpr2_vgpr3
                                        ; implicit-def: $vgpr0_vgpr1
                                        ; implicit-def: $vgpr12_vgpr13
.LBB19_162:
	s_andn2_saveexec_b64 s[4:5], s[4:5]
	s_cbranch_execz .LBB19_168
; %bb.163:
	v_cmp_lt_i64_e32 vcc, 11, v[0:1]
	s_and_saveexec_b64 s[8:9], vcc
	s_xor_b64 s[8:9], exec, s[8:9]
	s_cbranch_execz .LBB19_165
; %bb.164:
	v_mov_b32_e32 v0, 0
	global_store_dword v0, v12, s[6:7]
                                        ; implicit-def: $vgpr2_vgpr3
.LBB19_165:
	s_andn2_saveexec_b64 s[8:9], s[8:9]
	s_cbranch_execz .LBB19_167
; %bb.166:
	v_mov_b32_e32 v0, 0
	global_store_dword v0, v3, s[6:7]
.LBB19_167:
	s_or_b64 exec, exec, s[8:9]
.LBB19_168:
	s_or_b64 exec, exec, s[4:5]
.LBB19_169:
	s_or_b64 exec, exec, s[2:3]
                                        ; implicit-def: $vgpr0_vgpr1
                                        ; implicit-def: $vgpr14_vgpr15
                                        ; implicit-def: $vgpr6_vgpr7
                                        ; implicit-def: $vgpr4_vgpr5
                                        ; implicit-def: $vgpr10_vgpr11
                                        ; implicit-def: $vgpr8_vgpr9
                                        ; implicit-def: $vgpr2_vgpr3
.LBB19_170:
	s_andn2_saveexec_b64 s[0:1], s[0:1]
	s_cbranch_execz .LBB19_208
; %bb.171:
	v_cmp_lt_i64_e32 vcc, 5, v[0:1]
	s_and_saveexec_b64 s[0:1], vcc
	s_xor_b64 s[0:1], exec, s[0:1]
	s_cbranch_execz .LBB19_189
; %bb.172:
	v_cmp_lt_i64_e32 vcc, 7, v[0:1]
	s_and_saveexec_b64 s[2:3], vcc
	s_xor_b64 s[2:3], exec, s[2:3]
	;; [unrolled: 5-line block ×4, first 2 shown]
	s_cbranch_execz .LBB19_176
; %bb.175:
	v_mov_b32_e32 v0, 0
	global_store_dword v0, v2, s[6:7]
                                        ; implicit-def: $vgpr10_vgpr11
.LBB19_176:
	s_andn2_saveexec_b64 s[8:9], s[8:9]
	s_cbranch_execz .LBB19_178
; %bb.177:
	v_mov_b32_e32 v0, 0
	global_store_dword v0, v11, s[6:7]
.LBB19_178:
	s_or_b64 exec, exec, s[8:9]
                                        ; implicit-def: $vgpr10_vgpr11
.LBB19_179:
	s_andn2_saveexec_b64 s[4:5], s[4:5]
	s_cbranch_execz .LBB19_181
; %bb.180:
	v_mov_b32_e32 v0, 0
	global_store_dword v0, v10, s[6:7]
.LBB19_181:
	s_or_b64 exec, exec, s[4:5]
                                        ; implicit-def: $vgpr14_vgpr15
                                        ; implicit-def: $vgpr0_vgpr1
.LBB19_182:
	s_andn2_saveexec_b64 s[2:3], s[2:3]
	s_cbranch_execz .LBB19_188
; %bb.183:
	v_cmp_lt_i64_e32 vcc, 6, v[0:1]
	s_and_saveexec_b64 s[4:5], vcc
	s_xor_b64 s[4:5], exec, s[4:5]
	s_cbranch_execz .LBB19_185
; %bb.184:
	v_mov_b32_e32 v0, 0
	global_store_dword v0, v15, s[6:7]
                                        ; implicit-def: $vgpr14_vgpr15
.LBB19_185:
	s_andn2_saveexec_b64 s[4:5], s[4:5]
	s_cbranch_execz .LBB19_187
; %bb.186:
	v_mov_b32_e32 v0, 0
	global_store_dword v0, v14, s[6:7]
.LBB19_187:
	s_or_b64 exec, exec, s[4:5]
.LBB19_188:
	s_or_b64 exec, exec, s[2:3]
                                        ; implicit-def: $vgpr0_vgpr1
                                        ; implicit-def: $vgpr6_vgpr7
                                        ; implicit-def: $vgpr4_vgpr5
                                        ; implicit-def: $vgpr8_vgpr9
.LBB19_189:
	s_andn2_saveexec_b64 s[0:1], s[0:1]
	s_cbranch_execz .LBB19_208
; %bb.190:
	v_cmp_lt_i64_e32 vcc, 2, v[0:1]
	s_and_saveexec_b64 s[0:1], vcc
	s_xor_b64 s[0:1], exec, s[0:1]
	s_cbranch_execz .LBB19_200
; %bb.191:
	v_cmp_lt_i64_e32 vcc, 3, v[0:1]
	s_and_saveexec_b64 s[2:3], vcc
	s_xor_b64 s[2:3], exec, s[2:3]
	;; [unrolled: 5-line block ×3, first 2 shown]
	s_cbranch_execz .LBB19_194
; %bb.193:
	v_mov_b32_e32 v0, 0
	global_store_dword v0, v9, s[6:7]
                                        ; implicit-def: $vgpr8_vgpr9
.LBB19_194:
	s_andn2_saveexec_b64 s[4:5], s[4:5]
	s_cbranch_execz .LBB19_196
; %bb.195:
	v_mov_b32_e32 v0, 0
	global_store_dword v0, v8, s[6:7]
.LBB19_196:
	s_or_b64 exec, exec, s[4:5]
                                        ; implicit-def: $vgpr6_vgpr7
.LBB19_197:
	s_andn2_saveexec_b64 s[2:3], s[2:3]
	s_cbranch_execz .LBB19_199
; %bb.198:
	v_mov_b32_e32 v0, 0
	global_store_dword v0, v7, s[6:7]
.LBB19_199:
	s_or_b64 exec, exec, s[2:3]
                                        ; implicit-def: $vgpr0_vgpr1
                                        ; implicit-def: $vgpr6_vgpr7
                                        ; implicit-def: $vgpr4_vgpr5
.LBB19_200:
	s_andn2_saveexec_b64 s[0:1], s[0:1]
	s_cbranch_execz .LBB19_208
; %bb.201:
	v_cmp_lt_i64_e32 vcc, 1, v[0:1]
	s_and_saveexec_b64 s[0:1], vcc
	s_xor_b64 s[0:1], exec, s[0:1]
	s_cbranch_execz .LBB19_203
; %bb.202:
	v_mov_b32_e32 v0, 0
	global_store_dword v0, v6, s[6:7]
                                        ; implicit-def: $vgpr4_vgpr5
                                        ; implicit-def: $vgpr0_vgpr1
.LBB19_203:
	s_andn2_saveexec_b64 s[0:1], s[0:1]
	s_cbranch_execz .LBB19_208
; %bb.204:
	v_cmp_ne_u64_e32 vcc, 1, v[0:1]
	s_and_saveexec_b64 s[0:1], vcc
	s_xor_b64 s[0:1], exec, s[0:1]
	s_cbranch_execz .LBB19_206
; %bb.205:
	v_mov_b32_e32 v0, 0
	global_store_dword v0, v4, s[6:7]
                                        ; implicit-def: $vgpr4_vgpr5
.LBB19_206:
	s_andn2_saveexec_b64 s[0:1], s[0:1]
	s_cbranch_execz .LBB19_208
; %bb.207:
	v_mov_b32_e32 v0, 0
	global_store_dword v0, v5, s[6:7]
.LBB19_208:
	s_endpgm
	.section	.rodata,"a",@progbits
	.p2align	6, 0x0
	.amdhsa_kernel _ZN7rocprim6detail20lookback_scan_kernelILNS0_25lookback_scan_determinismE0ELb0ENS0_19wrapped_scan_configINS_14default_configEiEEN6hipcub22TransformInputIteratorIiNS6_6CastOpIiEEPilEEPdNS6_3SumEiiNS0_19lookback_scan_stateIiLb0ELb1EEEEEvT2_T3_mT5_T4_T7_jPT6_SM_bb
		.amdhsa_group_segment_fixed_size 21504
		.amdhsa_private_segment_fixed_size 0
		.amdhsa_kernarg_size 76
		.amdhsa_user_sgpr_count 2
		.amdhsa_user_sgpr_dispatch_ptr 0
		.amdhsa_user_sgpr_queue_ptr 0
		.amdhsa_user_sgpr_kernarg_segment_ptr 1
		.amdhsa_user_sgpr_dispatch_id 0
		.amdhsa_user_sgpr_kernarg_preload_length 0
		.amdhsa_user_sgpr_kernarg_preload_offset 0
		.amdhsa_user_sgpr_private_segment_size 0
		.amdhsa_uses_dynamic_stack 0
		.amdhsa_enable_private_segment 0
		.amdhsa_system_sgpr_workgroup_id_x 1
		.amdhsa_system_sgpr_workgroup_id_y 0
		.amdhsa_system_sgpr_workgroup_id_z 0
		.amdhsa_system_sgpr_workgroup_info 0
		.amdhsa_system_vgpr_workitem_id 0
		.amdhsa_next_free_vgpr 52
		.amdhsa_next_free_sgpr 24
		.amdhsa_accum_offset 52
		.amdhsa_reserve_vcc 1
		.amdhsa_float_round_mode_32 0
		.amdhsa_float_round_mode_16_64 0
		.amdhsa_float_denorm_mode_32 3
		.amdhsa_float_denorm_mode_16_64 3
		.amdhsa_dx10_clamp 1
		.amdhsa_ieee_mode 1
		.amdhsa_fp16_overflow 0
		.amdhsa_tg_split 0
		.amdhsa_exception_fp_ieee_invalid_op 0
		.amdhsa_exception_fp_denorm_src 0
		.amdhsa_exception_fp_ieee_div_zero 0
		.amdhsa_exception_fp_ieee_overflow 0
		.amdhsa_exception_fp_ieee_underflow 0
		.amdhsa_exception_fp_ieee_inexact 0
		.amdhsa_exception_int_div_zero 0
	.end_amdhsa_kernel
	.section	.text._ZN7rocprim6detail20lookback_scan_kernelILNS0_25lookback_scan_determinismE0ELb0ENS0_19wrapped_scan_configINS_14default_configEiEEN6hipcub22TransformInputIteratorIiNS6_6CastOpIiEEPilEEPdNS6_3SumEiiNS0_19lookback_scan_stateIiLb0ELb1EEEEEvT2_T3_mT5_T4_T7_jPT6_SM_bb,"axG",@progbits,_ZN7rocprim6detail20lookback_scan_kernelILNS0_25lookback_scan_determinismE0ELb0ENS0_19wrapped_scan_configINS_14default_configEiEEN6hipcub22TransformInputIteratorIiNS6_6CastOpIiEEPilEEPdNS6_3SumEiiNS0_19lookback_scan_stateIiLb0ELb1EEEEEvT2_T3_mT5_T4_T7_jPT6_SM_bb,comdat
.Lfunc_end19:
	.size	_ZN7rocprim6detail20lookback_scan_kernelILNS0_25lookback_scan_determinismE0ELb0ENS0_19wrapped_scan_configINS_14default_configEiEEN6hipcub22TransformInputIteratorIiNS6_6CastOpIiEEPilEEPdNS6_3SumEiiNS0_19lookback_scan_stateIiLb0ELb1EEEEEvT2_T3_mT5_T4_T7_jPT6_SM_bb, .Lfunc_end19-_ZN7rocprim6detail20lookback_scan_kernelILNS0_25lookback_scan_determinismE0ELb0ENS0_19wrapped_scan_configINS_14default_configEiEEN6hipcub22TransformInputIteratorIiNS6_6CastOpIiEEPilEEPdNS6_3SumEiiNS0_19lookback_scan_stateIiLb0ELb1EEEEEvT2_T3_mT5_T4_T7_jPT6_SM_bb
                                        ; -- End function
	.section	.AMDGPU.csdata,"",@progbits
; Kernel info:
; codeLenInByte = 7208
; NumSgprs: 30
; NumVgprs: 52
; NumAgprs: 0
; TotalNumVgprs: 52
; ScratchSize: 0
; MemoryBound: 0
; FloatMode: 240
; IeeeMode: 1
; LDSByteSize: 21504 bytes/workgroup (compile time only)
; SGPRBlocks: 3
; VGPRBlocks: 6
; NumSGPRsForWavesPerEU: 30
; NumVGPRsForWavesPerEU: 52
; AccumOffset: 52
; Occupancy: 3
; WaveLimiterHint : 1
; COMPUTE_PGM_RSRC2:SCRATCH_EN: 0
; COMPUTE_PGM_RSRC2:USER_SGPR: 2
; COMPUTE_PGM_RSRC2:TRAP_HANDLER: 0
; COMPUTE_PGM_RSRC2:TGID_X_EN: 1
; COMPUTE_PGM_RSRC2:TGID_Y_EN: 0
; COMPUTE_PGM_RSRC2:TGID_Z_EN: 0
; COMPUTE_PGM_RSRC2:TIDIG_COMP_CNT: 0
; COMPUTE_PGM_RSRC3_GFX90A:ACCUM_OFFSET: 12
; COMPUTE_PGM_RSRC3_GFX90A:TG_SPLIT: 0
	.section	.text._ZN7rocprim6detail18single_scan_kernelILb0ENS0_19wrapped_scan_configINS_14default_configEiEEN6hipcub22TransformInputIteratorIiNS5_6CastOpIiEEPilEEPdNS5_3SumEiiEEvT1_mT4_T2_T3_,"axG",@progbits,_ZN7rocprim6detail18single_scan_kernelILb0ENS0_19wrapped_scan_configINS_14default_configEiEEN6hipcub22TransformInputIteratorIiNS5_6CastOpIiEEPilEEPdNS5_3SumEiiEEvT1_mT4_T2_T3_,comdat
	.protected	_ZN7rocprim6detail18single_scan_kernelILb0ENS0_19wrapped_scan_configINS_14default_configEiEEN6hipcub22TransformInputIteratorIiNS5_6CastOpIiEEPilEEPdNS5_3SumEiiEEvT1_mT4_T2_T3_ ; -- Begin function _ZN7rocprim6detail18single_scan_kernelILb0ENS0_19wrapped_scan_configINS_14default_configEiEEN6hipcub22TransformInputIteratorIiNS5_6CastOpIiEEPilEEPdNS5_3SumEiiEEvT1_mT4_T2_T3_
	.globl	_ZN7rocprim6detail18single_scan_kernelILb0ENS0_19wrapped_scan_configINS_14default_configEiEEN6hipcub22TransformInputIteratorIiNS5_6CastOpIiEEPilEEPdNS5_3SumEiiEEvT1_mT4_T2_T3_
	.p2align	8
	.type	_ZN7rocprim6detail18single_scan_kernelILb0ENS0_19wrapped_scan_configINS_14default_configEiEEN6hipcub22TransformInputIteratorIiNS5_6CastOpIiEEPilEEPdNS5_3SumEiiEEvT1_mT4_T2_T3_,@function
_ZN7rocprim6detail18single_scan_kernelILb0ENS0_19wrapped_scan_configINS_14default_configEiEEN6hipcub22TransformInputIteratorIiNS5_6CastOpIiEEPilEEPdNS5_3SumEiiEEvT1_mT4_T2_T3_: ; @_ZN7rocprim6detail18single_scan_kernelILb0ENS0_19wrapped_scan_configINS_14default_configEiEEN6hipcub22TransformInputIteratorIiNS5_6CastOpIiEEPilEEPdNS5_3SumEiiEEvT1_mT4_T2_T3_
; %bb.0:
	s_load_dwordx2 s[2:3], s[0:1], 0x0
	s_load_dword s33, s[0:1], 0x10
	v_mov_b32_e32 v3, 0
	v_lshlrev_b32_e32 v2, 2, v0
	s_waitcnt lgkmcnt(0)
	s_load_dword s46, s[2:3], 0x0
	v_lshl_add_u64 v[4:5], s[2:3], 0, v[2:3]
	v_cmp_gt_u32_e64 s[26:27], s33, v0
	s_waitcnt lgkmcnt(0)
	v_mov_b32_e32 v1, s46
	s_and_saveexec_b64 s[2:3], s[26:27]
	s_cbranch_execz .LBB20_2
; %bb.1:
	global_load_dword v1, v[4:5], off
.LBB20_2:
	s_or_b64 exec, exec, s[2:3]
	v_or_b32_e32 v3, 0x100, v0
	v_cmp_gt_u32_e64 s[2:3], s33, v3
	v_mov_b32_e32 v3, s46
	s_and_saveexec_b64 s[4:5], s[2:3]
	s_cbranch_execz .LBB20_4
; %bb.3:
	global_load_dword v3, v[4:5], off offset:1024
.LBB20_4:
	s_or_b64 exec, exec, s[4:5]
	v_or_b32_e32 v6, 0x200, v0
	v_cmp_gt_u32_e64 s[8:9], s33, v6
	v_mov_b32_e32 v6, s46
	s_and_saveexec_b64 s[4:5], s[8:9]
	s_cbranch_execz .LBB20_6
; %bb.5:
	global_load_dword v6, v[4:5], off offset:2048
.LBB20_6:
	;; [unrolled: 9-line block ×3, first 2 shown]
	s_or_b64 exec, exec, s[4:5]
	v_or_b32_e32 v8, 0x400, v0
	v_cmp_gt_u32_e64 s[4:5], s33, v8
	v_mov_b32_e32 v8, s46
	s_and_saveexec_b64 s[10:11], s[4:5]
	s_cbranch_execz .LBB20_10
; %bb.9:
	v_add_co_u32_e32 v8, vcc, 0x1000, v4
	s_nop 1
	v_addc_co_u32_e32 v9, vcc, 0, v5, vcc
	global_load_dword v8, v[8:9], off
.LBB20_10:
	s_or_b64 exec, exec, s[10:11]
	v_or_b32_e32 v9, 0x500, v0
	v_cmp_gt_u32_e64 s[10:11], s33, v9
	v_mov_b32_e32 v9, s46
	s_and_saveexec_b64 s[12:13], s[10:11]
	s_cbranch_execz .LBB20_12
; %bb.11:
	v_add_co_u32_e32 v10, vcc, 0x1000, v4
	s_nop 1
	v_addc_co_u32_e32 v11, vcc, 0, v5, vcc
	global_load_dword v9, v[10:11], off offset:1024
.LBB20_12:
	s_or_b64 exec, exec, s[12:13]
	v_or_b32_e32 v10, 0x600, v0
	v_cmp_gt_u32_e64 s[12:13], s33, v10
	v_mov_b32_e32 v10, s46
	s_and_saveexec_b64 s[14:15], s[12:13]
	s_cbranch_execz .LBB20_14
; %bb.13:
	v_add_co_u32_e32 v10, vcc, 0x1000, v4
	s_nop 1
	v_addc_co_u32_e32 v11, vcc, 0, v5, vcc
	global_load_dword v10, v[10:11], off offset:2048
.LBB20_14:
	s_or_b64 exec, exec, s[14:15]
	v_or_b32_e32 v11, 0x700, v0
	v_cmp_gt_u32_e64 s[14:15], s33, v11
	v_mov_b32_e32 v11, s46
	s_and_saveexec_b64 s[16:17], s[14:15]
	s_cbranch_execz .LBB20_16
; %bb.15:
	v_add_co_u32_e32 v12, vcc, 0x1000, v4
	s_nop 1
	v_addc_co_u32_e32 v13, vcc, 0, v5, vcc
	global_load_dword v11, v[12:13], off offset:3072
.LBB20_16:
	s_or_b64 exec, exec, s[16:17]
	v_or_b32_e32 v12, 0x800, v0
	v_cmp_gt_u32_e64 s[16:17], s33, v12
	v_mov_b32_e32 v12, s46
	s_and_saveexec_b64 s[18:19], s[16:17]
	s_cbranch_execz .LBB20_18
; %bb.17:
	v_add_co_u32_e32 v12, vcc, 0x2000, v4
	s_nop 1
	v_addc_co_u32_e32 v13, vcc, 0, v5, vcc
	global_load_dword v12, v[12:13], off
.LBB20_18:
	s_or_b64 exec, exec, s[18:19]
	v_or_b32_e32 v13, 0x900, v0
	v_cmp_gt_u32_e64 s[18:19], s33, v13
	v_mov_b32_e32 v13, s46
	s_and_saveexec_b64 s[20:21], s[18:19]
	s_cbranch_execz .LBB20_20
; %bb.19:
	v_add_co_u32_e32 v14, vcc, 0x2000, v4
	s_nop 1
	v_addc_co_u32_e32 v15, vcc, 0, v5, vcc
	global_load_dword v13, v[14:15], off offset:1024
.LBB20_20:
	s_or_b64 exec, exec, s[20:21]
	v_or_b32_e32 v14, 0xa00, v0
	v_cmp_gt_u32_e64 s[20:21], s33, v14
	v_mov_b32_e32 v14, s46
	s_and_saveexec_b64 s[22:23], s[20:21]
	s_cbranch_execz .LBB20_22
; %bb.21:
	v_add_co_u32_e32 v14, vcc, 0x2000, v4
	s_nop 1
	v_addc_co_u32_e32 v15, vcc, 0, v5, vcc
	global_load_dword v14, v[14:15], off offset:2048
.LBB20_22:
	s_or_b64 exec, exec, s[22:23]
	v_or_b32_e32 v15, 0xb00, v0
	v_cmp_gt_u32_e64 s[22:23], s33, v15
	v_mov_b32_e32 v15, s46
	s_and_saveexec_b64 s[24:25], s[22:23]
	s_cbranch_execz .LBB20_24
; %bb.23:
	v_add_co_u32_e32 v16, vcc, 0x2000, v4
	s_nop 1
	v_addc_co_u32_e32 v17, vcc, 0, v5, vcc
	global_load_dword v15, v[16:17], off offset:3072
.LBB20_24:
	;; [unrolled: 48-line block ×4, first 2 shown]
	s_or_b64 exec, exec, s[44:45]
	v_or_b32_e32 v24, 0x1400, v0
	v_cmp_gt_u32_e64 s[44:45], s33, v24
	v_mov_b32_e32 v24, s46
	s_and_saveexec_b64 s[46:47], s[44:45]
	s_cbranch_execz .LBB20_42
; %bb.41:
	v_add_co_u32_e32 v4, vcc, 0x5000, v4
	s_nop 1
	v_addc_co_u32_e32 v5, vcc, 0, v5, vcc
	global_load_dword v24, v[4:5], off
.LBB20_42:
	s_or_b64 exec, exec, s[46:47]
	s_movk_i32 s33, 0x50
	s_waitcnt vmcnt(0)
	ds_write2st64_b32 v2, v1, v3 offset1:4
	ds_write2st64_b32 v2, v6, v7 offset0:8 offset1:12
	ds_write2st64_b32 v2, v8, v9 offset0:16 offset1:20
	;; [unrolled: 1-line block ×9, first 2 shown]
	ds_write_b32 v2, v24 offset:20480
	v_mad_u32_u24 v1, v0, s33, v2
	s_waitcnt lgkmcnt(0)
	s_barrier
	ds_read2_b32 v[22:23], v1 offset1:1
	ds_read2_b32 v[20:21], v1 offset0:2 offset1:3
	ds_read2_b32 v[18:19], v1 offset0:4 offset1:5
	;; [unrolled: 1-line block ×9, first 2 shown]
	ds_read_b32 v1, v1 offset:80
	s_waitcnt lgkmcnt(9)
	v_add3_u32 v3, v23, v22, v20
	s_waitcnt lgkmcnt(8)
	v_add3_u32 v3, v3, v21, v18
	;; [unrolled: 2-line block ×10, first 2 shown]
	v_mbcnt_lo_u32_b32 v3, -1, 0
	v_mbcnt_hi_u32_b32 v3, -1, v3
	v_and_b32_e32 v25, 15, v3
	v_mov_b32_dpp v26, v24 row_shr:1 row_mask:0xf bank_mask:0xf
	v_cmp_ne_u32_e32 vcc, 0, v25
	s_barrier
	s_nop 0
	v_cndmask_b32_e32 v26, 0, v26, vcc
	v_add_u32_e32 v24, v26, v24
	v_cmp_lt_u32_e32 vcc, 1, v25
	s_nop 0
	v_mov_b32_dpp v26, v24 row_shr:2 row_mask:0xf bank_mask:0xf
	v_cndmask_b32_e32 v26, 0, v26, vcc
	v_add_u32_e32 v24, v24, v26
	v_cmp_lt_u32_e32 vcc, 3, v25
	s_nop 0
	v_mov_b32_dpp v26, v24 row_shr:4 row_mask:0xf bank_mask:0xf
	v_cndmask_b32_e32 v26, 0, v26, vcc
	v_add_u32_e32 v24, v24, v26
	v_cmp_lt_u32_e32 vcc, 7, v25
	s_nop 0
	v_mov_b32_dpp v26, v24 row_shr:8 row_mask:0xf bank_mask:0xf
	v_cndmask_b32_e32 v25, 0, v26, vcc
	v_add_u32_e32 v24, v24, v25
	v_bfe_i32 v26, v3, 4, 1
	v_cmp_lt_u32_e32 vcc, 31, v3
	v_mov_b32_dpp v25, v24 row_bcast:15 row_mask:0xf bank_mask:0xf
	v_and_b32_e32 v25, v26, v25
	v_add_u32_e32 v24, v24, v25
	v_lshrrev_b32_e32 v26, 6, v0
	s_nop 0
	v_mov_b32_dpp v25, v24 row_bcast:31 row_mask:0xf bank_mask:0xf
	v_cndmask_b32_e32 v25, 0, v25, vcc
	v_add_u32_e32 v24, v24, v25
	v_or_b32_e32 v25, 63, v0
	v_cmp_eq_u32_e32 vcc, v25, v0
	s_and_saveexec_b64 s[46:47], vcc
	s_cbranch_execz .LBB20_44
; %bb.43:
	v_lshlrev_b32_e32 v25, 2, v26
	ds_write_b32 v25, v24
.LBB20_44:
	s_or_b64 exec, exec, s[46:47]
	v_cmp_gt_u32_e32 vcc, 4, v0
	s_waitcnt lgkmcnt(0)
	s_barrier
	s_and_saveexec_b64 s[46:47], vcc
	s_cbranch_execz .LBB20_46
; %bb.45:
	ds_read_b32 v25, v2
	v_and_b32_e32 v27, 3, v3
	v_cmp_ne_u32_e32 vcc, 0, v27
	s_waitcnt lgkmcnt(0)
	v_mov_b32_dpp v28, v25 row_shr:1 row_mask:0xf bank_mask:0xf
	v_cndmask_b32_e32 v28, 0, v28, vcc
	v_add_u32_e32 v25, v28, v25
	v_cmp_lt_u32_e32 vcc, 1, v27
	s_nop 0
	v_mov_b32_dpp v28, v25 row_shr:2 row_mask:0xf bank_mask:0xf
	v_cndmask_b32_e32 v27, 0, v28, vcc
	v_add_u32_e32 v25, v25, v27
	ds_write_b32 v2, v25
.LBB20_46:
	s_or_b64 exec, exec, s[46:47]
	v_mul_u32_u24_e32 v25, 0x50, v0
	v_cmp_lt_u32_e32 vcc, 63, v0
	s_waitcnt lgkmcnt(0)
	s_barrier
	s_waitcnt lgkmcnt(0)
                                        ; implicit-def: $vgpr27
	s_and_saveexec_b64 s[46:47], vcc
	s_cbranch_execz .LBB20_48
; %bb.47:
	v_lshl_add_u32 v26, v26, 2, -4
	ds_read_b32 v27, v26
	s_waitcnt lgkmcnt(0)
	v_add_u32_e32 v24, v27, v24
.LBB20_48:
	s_or_b64 exec, exec, s[46:47]
	v_add_u32_e32 v26, -1, v3
	v_and_b32_e32 v28, 64, v3
	v_cmp_lt_i32_e32 vcc, v26, v28
	s_barrier
	s_nop 0
	v_cndmask_b32_e32 v26, v26, v3, vcc
	v_lshlrev_b32_e32 v26, 2, v26
	ds_bpermute_b32 v24, v26, v24
	v_cmp_eq_u32_e32 vcc, 0, v3
	s_waitcnt lgkmcnt(0)
	s_load_dwordx2 s[0:1], s[0:1], 0x20
	v_cndmask_b32_e32 v3, v24, v27, vcc
	v_cmp_ne_u32_e32 vcc, 0, v0
	v_lshlrev_b32_e32 v0, 3, v0
	s_nop 0
	v_cndmask_b32_e32 v3, 0, v3, vcc
	v_add_u32_e32 v3, v3, v22
	v_add_u32_e32 v22, v3, v23
	;; [unrolled: 1-line block ×22, first 2 shown]
	ds_write2_b32 v23, v3, v22 offset1:1
	ds_write2_b32 v23, v20, v21 offset0:2 offset1:3
	ds_write2_b32 v23, v18, v19 offset0:4 offset1:5
	;; [unrolled: 1-line block ×9, first 2 shown]
	ds_write_b32 v23, v1 offset:80
	s_waitcnt lgkmcnt(0)
	s_barrier
	ds_read2st64_b32 v[22:23], v2 offset0:4 offset1:8
	ds_read2st64_b32 v[20:21], v2 offset0:12 offset1:16
	;; [unrolled: 1-line block ×10, first 2 shown]
	v_mov_b32_e32 v1, 0
	v_lshl_add_u64 v[0:1], s[0:1], 0, v[0:1]
	s_and_saveexec_b64 s[0:1], s[26:27]
	s_cbranch_execnz .LBB20_70
; %bb.49:
	s_or_b64 exec, exec, s[0:1]
	s_and_saveexec_b64 s[0:1], s[2:3]
	s_cbranch_execnz .LBB20_71
.LBB20_50:
	s_or_b64 exec, exec, s[0:1]
	s_and_saveexec_b64 s[0:1], s[8:9]
	s_cbranch_execnz .LBB20_72
.LBB20_51:
	s_or_b64 exec, exec, s[0:1]
	s_and_saveexec_b64 s[0:1], s[6:7]
	s_cbranch_execnz .LBB20_73
.LBB20_52:
	s_or_b64 exec, exec, s[0:1]
	s_and_saveexec_b64 s[0:1], s[4:5]
	s_cbranch_execnz .LBB20_74
.LBB20_53:
	s_or_b64 exec, exec, s[0:1]
	s_and_saveexec_b64 s[0:1], s[10:11]
	s_cbranch_execnz .LBB20_75
.LBB20_54:
	s_or_b64 exec, exec, s[0:1]
	s_and_saveexec_b64 s[0:1], s[12:13]
	s_cbranch_execnz .LBB20_76
.LBB20_55:
	s_or_b64 exec, exec, s[0:1]
	s_and_saveexec_b64 s[0:1], s[14:15]
	s_cbranch_execnz .LBB20_77
.LBB20_56:
	s_or_b64 exec, exec, s[0:1]
	s_and_saveexec_b64 s[0:1], s[16:17]
	s_cbranch_execnz .LBB20_78
.LBB20_57:
	s_or_b64 exec, exec, s[0:1]
	s_and_saveexec_b64 s[0:1], s[18:19]
	s_cbranch_execnz .LBB20_79
.LBB20_58:
	s_or_b64 exec, exec, s[0:1]
	s_and_saveexec_b64 s[0:1], s[20:21]
	s_cbranch_execnz .LBB20_80
.LBB20_59:
	s_or_b64 exec, exec, s[0:1]
	s_and_saveexec_b64 s[0:1], s[22:23]
	s_cbranch_execnz .LBB20_81
.LBB20_60:
	s_or_b64 exec, exec, s[0:1]
	s_and_saveexec_b64 s[0:1], s[24:25]
	s_cbranch_execnz .LBB20_82
.LBB20_61:
	s_or_b64 exec, exec, s[0:1]
	s_and_saveexec_b64 s[0:1], s[28:29]
	s_cbranch_execnz .LBB20_83
.LBB20_62:
	s_or_b64 exec, exec, s[0:1]
	s_and_saveexec_b64 s[0:1], s[30:31]
	s_cbranch_execnz .LBB20_84
.LBB20_63:
	s_or_b64 exec, exec, s[0:1]
	s_and_saveexec_b64 s[0:1], s[34:35]
	s_cbranch_execnz .LBB20_85
.LBB20_64:
	s_or_b64 exec, exec, s[0:1]
	s_and_saveexec_b64 s[0:1], s[36:37]
	s_cbranch_execnz .LBB20_86
.LBB20_65:
	s_or_b64 exec, exec, s[0:1]
	s_and_saveexec_b64 s[0:1], s[38:39]
	s_cbranch_execnz .LBB20_87
.LBB20_66:
	s_or_b64 exec, exec, s[0:1]
	s_and_saveexec_b64 s[0:1], s[40:41]
	s_cbranch_execnz .LBB20_88
.LBB20_67:
	s_or_b64 exec, exec, s[0:1]
	s_and_saveexec_b64 s[0:1], s[42:43]
	s_cbranch_execnz .LBB20_89
.LBB20_68:
	s_or_b64 exec, exec, s[0:1]
	s_and_saveexec_b64 s[0:1], s[44:45]
	s_cbranch_execnz .LBB20_90
.LBB20_69:
	s_endpgm
.LBB20_70:
	ds_read_b32 v2, v2
	s_waitcnt lgkmcnt(0)
	v_cvt_f64_i32_e32 v[2:3], v2
	global_store_dwordx2 v[0:1], v[2:3], off
	s_or_b64 exec, exec, s[0:1]
	s_and_saveexec_b64 s[0:1], s[2:3]
	s_cbranch_execz .LBB20_50
.LBB20_71:
	s_waitcnt lgkmcnt(9)
	v_cvt_f64_i32_e32 v[2:3], v22
	global_store_dwordx2 v[0:1], v[2:3], off offset:2048
	s_or_b64 exec, exec, s[0:1]
	s_and_saveexec_b64 s[0:1], s[8:9]
	s_cbranch_execz .LBB20_51
.LBB20_72:
	s_waitcnt lgkmcnt(9)
	v_add_co_u32_e32 v22, vcc, 0x1000, v0
	v_cvt_f64_i32_e32 v[2:3], v23
	s_nop 0
	v_addc_co_u32_e32 v23, vcc, 0, v1, vcc
	global_store_dwordx2 v[22:23], v[2:3], off
	s_or_b64 exec, exec, s[0:1]
	s_and_saveexec_b64 s[0:1], s[6:7]
	s_cbranch_execz .LBB20_52
.LBB20_73:
	s_waitcnt lgkmcnt(9)
	v_add_co_u32_e32 v22, vcc, 0x1000, v0
	s_waitcnt lgkmcnt(8)
	v_cvt_f64_i32_e32 v[2:3], v20
	v_addc_co_u32_e32 v23, vcc, 0, v1, vcc
	global_store_dwordx2 v[22:23], v[2:3], off offset:2048
	s_or_b64 exec, exec, s[0:1]
	s_and_saveexec_b64 s[0:1], s[4:5]
	s_cbranch_execz .LBB20_53
.LBB20_74:
	s_waitcnt lgkmcnt(8)
	v_add_co_u32_e32 v20, vcc, 0x2000, v0
	v_cvt_f64_i32_e32 v[2:3], v21
	s_nop 0
	v_addc_co_u32_e32 v21, vcc, 0, v1, vcc
	global_store_dwordx2 v[20:21], v[2:3], off
	s_or_b64 exec, exec, s[0:1]
	s_and_saveexec_b64 s[0:1], s[10:11]
	s_cbranch_execz .LBB20_54
.LBB20_75:
	s_waitcnt lgkmcnt(8)
	v_add_co_u32_e32 v20, vcc, 0x2000, v0
	s_waitcnt lgkmcnt(7)
	v_cvt_f64_i32_e32 v[2:3], v18
	v_addc_co_u32_e32 v21, vcc, 0, v1, vcc
	global_store_dwordx2 v[20:21], v[2:3], off offset:2048
	s_or_b64 exec, exec, s[0:1]
	s_and_saveexec_b64 s[0:1], s[12:13]
	s_cbranch_execz .LBB20_55
.LBB20_76:
	s_waitcnt lgkmcnt(7)
	v_add_co_u32_e32 v18, vcc, 0x3000, v0
	v_cvt_f64_i32_e32 v[2:3], v19
	s_nop 0
	v_addc_co_u32_e32 v19, vcc, 0, v1, vcc
	global_store_dwordx2 v[18:19], v[2:3], off
	s_or_b64 exec, exec, s[0:1]
	s_and_saveexec_b64 s[0:1], s[14:15]
	s_cbranch_execz .LBB20_56
.LBB20_77:
	s_waitcnt lgkmcnt(7)
	v_add_co_u32_e32 v18, vcc, 0x3000, v0
	s_waitcnt lgkmcnt(6)
	v_cvt_f64_i32_e32 v[2:3], v16
	v_addc_co_u32_e32 v19, vcc, 0, v1, vcc
	global_store_dwordx2 v[18:19], v[2:3], off offset:2048
	s_or_b64 exec, exec, s[0:1]
	s_and_saveexec_b64 s[0:1], s[16:17]
	s_cbranch_execz .LBB20_57
.LBB20_78:
	s_waitcnt lgkmcnt(6)
	v_add_co_u32_e32 v16, vcc, 0x4000, v0
	v_cvt_f64_i32_e32 v[2:3], v17
	s_nop 0
	v_addc_co_u32_e32 v17, vcc, 0, v1, vcc
	global_store_dwordx2 v[16:17], v[2:3], off
	s_or_b64 exec, exec, s[0:1]
	s_and_saveexec_b64 s[0:1], s[18:19]
	s_cbranch_execz .LBB20_58
.LBB20_79:
	s_waitcnt lgkmcnt(6)
	v_add_co_u32_e32 v16, vcc, 0x4000, v0
	s_waitcnt lgkmcnt(5)
	v_cvt_f64_i32_e32 v[2:3], v14
	v_addc_co_u32_e32 v17, vcc, 0, v1, vcc
	global_store_dwordx2 v[16:17], v[2:3], off offset:2048
	s_or_b64 exec, exec, s[0:1]
	s_and_saveexec_b64 s[0:1], s[20:21]
	s_cbranch_execz .LBB20_59
.LBB20_80:
	s_waitcnt lgkmcnt(5)
	v_add_co_u32_e32 v14, vcc, 0x5000, v0
	v_cvt_f64_i32_e32 v[2:3], v15
	s_nop 0
	v_addc_co_u32_e32 v15, vcc, 0, v1, vcc
	global_store_dwordx2 v[14:15], v[2:3], off
	s_or_b64 exec, exec, s[0:1]
	s_and_saveexec_b64 s[0:1], s[22:23]
	s_cbranch_execz .LBB20_60
.LBB20_81:
	s_waitcnt lgkmcnt(5)
	v_add_co_u32_e32 v14, vcc, 0x5000, v0
	s_waitcnt lgkmcnt(4)
	v_cvt_f64_i32_e32 v[2:3], v12
	v_addc_co_u32_e32 v15, vcc, 0, v1, vcc
	global_store_dwordx2 v[14:15], v[2:3], off offset:2048
	s_or_b64 exec, exec, s[0:1]
	s_and_saveexec_b64 s[0:1], s[24:25]
	s_cbranch_execz .LBB20_61
.LBB20_82:
	s_waitcnt lgkmcnt(4)
	v_add_co_u32_e32 v12, vcc, 0x6000, v0
	v_cvt_f64_i32_e32 v[2:3], v13
	s_nop 0
	v_addc_co_u32_e32 v13, vcc, 0, v1, vcc
	global_store_dwordx2 v[12:13], v[2:3], off
	s_or_b64 exec, exec, s[0:1]
	s_and_saveexec_b64 s[0:1], s[28:29]
	s_cbranch_execz .LBB20_62
.LBB20_83:
	s_waitcnt lgkmcnt(4)
	v_add_co_u32_e32 v12, vcc, 0x6000, v0
	s_waitcnt lgkmcnt(3)
	v_cvt_f64_i32_e32 v[2:3], v10
	v_addc_co_u32_e32 v13, vcc, 0, v1, vcc
	global_store_dwordx2 v[12:13], v[2:3], off offset:2048
	s_or_b64 exec, exec, s[0:1]
	s_and_saveexec_b64 s[0:1], s[30:31]
	s_cbranch_execz .LBB20_63
.LBB20_84:
	s_waitcnt lgkmcnt(3)
	v_add_co_u32_e32 v10, vcc, 0x7000, v0
	v_cvt_f64_i32_e32 v[2:3], v11
	s_nop 0
	v_addc_co_u32_e32 v11, vcc, 0, v1, vcc
	global_store_dwordx2 v[10:11], v[2:3], off
	s_or_b64 exec, exec, s[0:1]
	s_and_saveexec_b64 s[0:1], s[34:35]
	s_cbranch_execz .LBB20_64
.LBB20_85:
	s_waitcnt lgkmcnt(3)
	v_add_co_u32_e32 v10, vcc, 0x7000, v0
	s_waitcnt lgkmcnt(2)
	v_cvt_f64_i32_e32 v[2:3], v8
	v_addc_co_u32_e32 v11, vcc, 0, v1, vcc
	global_store_dwordx2 v[10:11], v[2:3], off offset:2048
	s_or_b64 exec, exec, s[0:1]
	s_and_saveexec_b64 s[0:1], s[36:37]
	s_cbranch_execz .LBB20_65
.LBB20_86:
	s_waitcnt lgkmcnt(2)
	v_add_co_u32_e32 v8, vcc, 0x8000, v0
	v_cvt_f64_i32_e32 v[2:3], v9
	s_nop 0
	v_addc_co_u32_e32 v9, vcc, 0, v1, vcc
	global_store_dwordx2 v[8:9], v[2:3], off
	s_or_b64 exec, exec, s[0:1]
	s_and_saveexec_b64 s[0:1], s[38:39]
	s_cbranch_execz .LBB20_66
.LBB20_87:
	s_waitcnt lgkmcnt(2)
	v_add_co_u32_e32 v8, vcc, 0x8000, v0
	s_waitcnt lgkmcnt(1)
	v_cvt_f64_i32_e32 v[2:3], v6
	v_addc_co_u32_e32 v9, vcc, 0, v1, vcc
	global_store_dwordx2 v[8:9], v[2:3], off offset:2048
	s_or_b64 exec, exec, s[0:1]
	s_and_saveexec_b64 s[0:1], s[40:41]
	s_cbranch_execz .LBB20_67
.LBB20_88:
	s_waitcnt lgkmcnt(1)
	v_add_co_u32_e32 v6, vcc, 0x9000, v0
	v_cvt_f64_i32_e32 v[2:3], v7
	s_nop 0
	v_addc_co_u32_e32 v7, vcc, 0, v1, vcc
	global_store_dwordx2 v[6:7], v[2:3], off
	s_or_b64 exec, exec, s[0:1]
	s_and_saveexec_b64 s[0:1], s[42:43]
	s_cbranch_execz .LBB20_68
.LBB20_89:
	s_waitcnt lgkmcnt(1)
	v_add_co_u32_e32 v6, vcc, 0x9000, v0
	s_waitcnt lgkmcnt(0)
	v_cvt_f64_i32_e32 v[2:3], v4
	v_addc_co_u32_e32 v7, vcc, 0, v1, vcc
	global_store_dwordx2 v[6:7], v[2:3], off offset:2048
	s_or_b64 exec, exec, s[0:1]
	s_and_saveexec_b64 s[0:1], s[44:45]
	s_cbranch_execz .LBB20_69
.LBB20_90:
	v_add_co_u32_e32 v0, vcc, 0xa000, v0
	s_waitcnt lgkmcnt(0)
	v_cvt_f64_i32_e32 v[2:3], v5
	v_addc_co_u32_e32 v1, vcc, 0, v1, vcc
	global_store_dwordx2 v[0:1], v[2:3], off
	s_endpgm
	.section	.rodata,"a",@progbits
	.p2align	6, 0x0
	.amdhsa_kernel _ZN7rocprim6detail18single_scan_kernelILb0ENS0_19wrapped_scan_configINS_14default_configEiEEN6hipcub22TransformInputIteratorIiNS5_6CastOpIiEEPilEEPdNS5_3SumEiiEEvT1_mT4_T2_T3_
		.amdhsa_group_segment_fixed_size 21504
		.amdhsa_private_segment_fixed_size 0
		.amdhsa_kernarg_size 44
		.amdhsa_user_sgpr_count 2
		.amdhsa_user_sgpr_dispatch_ptr 0
		.amdhsa_user_sgpr_queue_ptr 0
		.amdhsa_user_sgpr_kernarg_segment_ptr 1
		.amdhsa_user_sgpr_dispatch_id 0
		.amdhsa_user_sgpr_kernarg_preload_length 0
		.amdhsa_user_sgpr_kernarg_preload_offset 0
		.amdhsa_user_sgpr_private_segment_size 0
		.amdhsa_uses_dynamic_stack 0
		.amdhsa_enable_private_segment 0
		.amdhsa_system_sgpr_workgroup_id_x 1
		.amdhsa_system_sgpr_workgroup_id_y 0
		.amdhsa_system_sgpr_workgroup_id_z 0
		.amdhsa_system_sgpr_workgroup_info 0
		.amdhsa_system_vgpr_workitem_id 0
		.amdhsa_next_free_vgpr 29
		.amdhsa_next_free_sgpr 48
		.amdhsa_accum_offset 32
		.amdhsa_reserve_vcc 1
		.amdhsa_float_round_mode_32 0
		.amdhsa_float_round_mode_16_64 0
		.amdhsa_float_denorm_mode_32 3
		.amdhsa_float_denorm_mode_16_64 3
		.amdhsa_dx10_clamp 1
		.amdhsa_ieee_mode 1
		.amdhsa_fp16_overflow 0
		.amdhsa_tg_split 0
		.amdhsa_exception_fp_ieee_invalid_op 0
		.amdhsa_exception_fp_denorm_src 0
		.amdhsa_exception_fp_ieee_div_zero 0
		.amdhsa_exception_fp_ieee_overflow 0
		.amdhsa_exception_fp_ieee_underflow 0
		.amdhsa_exception_fp_ieee_inexact 0
		.amdhsa_exception_int_div_zero 0
	.end_amdhsa_kernel
	.section	.text._ZN7rocprim6detail18single_scan_kernelILb0ENS0_19wrapped_scan_configINS_14default_configEiEEN6hipcub22TransformInputIteratorIiNS5_6CastOpIiEEPilEEPdNS5_3SumEiiEEvT1_mT4_T2_T3_,"axG",@progbits,_ZN7rocprim6detail18single_scan_kernelILb0ENS0_19wrapped_scan_configINS_14default_configEiEEN6hipcub22TransformInputIteratorIiNS5_6CastOpIiEEPilEEPdNS5_3SumEiiEEvT1_mT4_T2_T3_,comdat
.Lfunc_end20:
	.size	_ZN7rocprim6detail18single_scan_kernelILb0ENS0_19wrapped_scan_configINS_14default_configEiEEN6hipcub22TransformInputIteratorIiNS5_6CastOpIiEEPilEEPdNS5_3SumEiiEEvT1_mT4_T2_T3_, .Lfunc_end20-_ZN7rocprim6detail18single_scan_kernelILb0ENS0_19wrapped_scan_configINS_14default_configEiEEN6hipcub22TransformInputIteratorIiNS5_6CastOpIiEEPilEEPdNS5_3SumEiiEEvT1_mT4_T2_T3_
                                        ; -- End function
	.section	.AMDGPU.csdata,"",@progbits
; Kernel info:
; codeLenInByte = 3316
; NumSgprs: 54
; NumVgprs: 29
; NumAgprs: 0
; TotalNumVgprs: 29
; ScratchSize: 0
; MemoryBound: 0
; FloatMode: 240
; IeeeMode: 1
; LDSByteSize: 21504 bytes/workgroup (compile time only)
; SGPRBlocks: 6
; VGPRBlocks: 3
; NumSGPRsForWavesPerEU: 54
; NumVGPRsForWavesPerEU: 29
; AccumOffset: 32
; Occupancy: 3
; WaveLimiterHint : 0
; COMPUTE_PGM_RSRC2:SCRATCH_EN: 0
; COMPUTE_PGM_RSRC2:USER_SGPR: 2
; COMPUTE_PGM_RSRC2:TRAP_HANDLER: 0
; COMPUTE_PGM_RSRC2:TGID_X_EN: 1
; COMPUTE_PGM_RSRC2:TGID_Y_EN: 0
; COMPUTE_PGM_RSRC2:TGID_Z_EN: 0
; COMPUTE_PGM_RSRC2:TIDIG_COMP_CNT: 0
; COMPUTE_PGM_RSRC3_GFX90A:ACCUM_OFFSET: 7
; COMPUTE_PGM_RSRC3_GFX90A:TG_SPLIT: 0
	.section	.text._ZN7rocprim6detail31init_lookback_scan_state_kernelINS0_19lookback_scan_stateIsLb1ELb1EEEEEvT_jjPNS4_10value_typeE,"axG",@progbits,_ZN7rocprim6detail31init_lookback_scan_state_kernelINS0_19lookback_scan_stateIsLb1ELb1EEEEEvT_jjPNS4_10value_typeE,comdat
	.protected	_ZN7rocprim6detail31init_lookback_scan_state_kernelINS0_19lookback_scan_stateIsLb1ELb1EEEEEvT_jjPNS4_10value_typeE ; -- Begin function _ZN7rocprim6detail31init_lookback_scan_state_kernelINS0_19lookback_scan_stateIsLb1ELb1EEEEEvT_jjPNS4_10value_typeE
	.globl	_ZN7rocprim6detail31init_lookback_scan_state_kernelINS0_19lookback_scan_stateIsLb1ELb1EEEEEvT_jjPNS4_10value_typeE
	.p2align	8
	.type	_ZN7rocprim6detail31init_lookback_scan_state_kernelINS0_19lookback_scan_stateIsLb1ELb1EEEEEvT_jjPNS4_10value_typeE,@function
_ZN7rocprim6detail31init_lookback_scan_state_kernelINS0_19lookback_scan_stateIsLb1ELb1EEEEEvT_jjPNS4_10value_typeE: ; @_ZN7rocprim6detail31init_lookback_scan_state_kernelINS0_19lookback_scan_stateIsLb1ELb1EEEEEvT_jjPNS4_10value_typeE
; %bb.0:
	s_load_dword s3, s[0:1], 0x24
	s_load_dwordx2 s[8:9], s[0:1], 0x10
	s_load_dwordx4 s[4:7], s[0:1], 0x0
	s_waitcnt lgkmcnt(0)
	s_and_b32 s0, s3, 0xffff
	s_mul_i32 s2, s2, s0
	s_cmp_eq_u64 s[8:9], 0
	v_add_u32_e32 v0, s2, v0
	s_cbranch_scc1 .LBB21_9
; %bb.1:
	s_cmp_lt_u32 s7, s6
	s_cselect_b32 s0, s7, 0
	s_mov_b32 s3, 0
	v_cmp_eq_u32_e32 vcc, s0, v0
	s_and_saveexec_b64 s[0:1], vcc
	s_cbranch_execz .LBB21_8
; %bb.2:
	s_add_i32 s2, s7, 64
	s_lshl_b64 s[2:3], s[2:3], 2
	s_add_u32 s2, s4, s2
	s_addc_u32 s3, s5, s3
	v_mov_b32_e32 v1, 0
	global_load_dword v2, v1, s[2:3] sc1
	s_waitcnt vmcnt(0)
	v_and_b32_e32 v3, 0xff0000, v2
	v_cmp_ne_u32_e32 vcc, 0, v3
	s_cbranch_vccnz .LBB21_7
; %bb.3:
	s_mov_b32 s7, 1
.LBB21_4:                               ; =>This Loop Header: Depth=1
                                        ;     Child Loop BB21_5 Depth 2
	s_max_u32 s10, s7, 1
.LBB21_5:                               ;   Parent Loop BB21_4 Depth=1
                                        ; =>  This Inner Loop Header: Depth=2
	s_add_i32 s10, s10, -1
	s_cmp_eq_u32 s10, 0
	s_sleep 1
	s_cbranch_scc0 .LBB21_5
; %bb.6:                                ;   in Loop: Header=BB21_4 Depth=1
	global_load_dword v2, v1, s[2:3] sc1
	s_cmp_lt_u32 s7, 32
	s_cselect_b64 s[10:11], -1, 0
	s_cmp_lg_u64 s[10:11], 0
	s_addc_u32 s7, s7, 0
	s_waitcnt vmcnt(0)
	v_and_b32_e32 v3, 0xff0000, v2
	v_cmp_ne_u32_e32 vcc, 0, v3
	s_cbranch_vccz .LBB21_4
.LBB21_7:
	v_mov_b32_e32 v1, 0
	global_store_short v1, v2, s[8:9]
.LBB21_8:
	s_or_b64 exec, exec, s[0:1]
.LBB21_9:
	v_cmp_gt_u32_e32 vcc, s6, v0
	s_and_saveexec_b64 s[0:1], vcc
	s_cbranch_execnz .LBB21_12
; %bb.10:
	s_or_b64 exec, exec, s[0:1]
	v_cmp_gt_u32_e32 vcc, 64, v0
	s_and_saveexec_b64 s[0:1], vcc
	s_cbranch_execnz .LBB21_13
.LBB21_11:
	s_endpgm
.LBB21_12:
	v_add_u32_e32 v2, 64, v0
	v_mov_b32_e32 v3, 0
	v_lshl_add_u64 v[4:5], v[2:3], 2, s[4:5]
	global_store_dword v[4:5], v3, off
	s_or_b64 exec, exec, s[0:1]
	v_cmp_gt_u32_e32 vcc, 64, v0
	s_and_saveexec_b64 s[0:1], vcc
	s_cbranch_execz .LBB21_11
.LBB21_13:
	v_mov_b32_e32 v1, 0
	v_lshl_add_u64 v[0:1], v[0:1], 2, s[4:5]
	v_mov_b32_e32 v2, 0xff0000
	global_store_dword v[0:1], v2, off
	s_endpgm
	.section	.rodata,"a",@progbits
	.p2align	6, 0x0
	.amdhsa_kernel _ZN7rocprim6detail31init_lookback_scan_state_kernelINS0_19lookback_scan_stateIsLb1ELb1EEEEEvT_jjPNS4_10value_typeE
		.amdhsa_group_segment_fixed_size 0
		.amdhsa_private_segment_fixed_size 0
		.amdhsa_kernarg_size 280
		.amdhsa_user_sgpr_count 2
		.amdhsa_user_sgpr_dispatch_ptr 0
		.amdhsa_user_sgpr_queue_ptr 0
		.amdhsa_user_sgpr_kernarg_segment_ptr 1
		.amdhsa_user_sgpr_dispatch_id 0
		.amdhsa_user_sgpr_kernarg_preload_length 0
		.amdhsa_user_sgpr_kernarg_preload_offset 0
		.amdhsa_user_sgpr_private_segment_size 0
		.amdhsa_uses_dynamic_stack 0
		.amdhsa_enable_private_segment 0
		.amdhsa_system_sgpr_workgroup_id_x 1
		.amdhsa_system_sgpr_workgroup_id_y 0
		.amdhsa_system_sgpr_workgroup_id_z 0
		.amdhsa_system_sgpr_workgroup_info 0
		.amdhsa_system_vgpr_workitem_id 0
		.amdhsa_next_free_vgpr 6
		.amdhsa_next_free_sgpr 12
		.amdhsa_accum_offset 8
		.amdhsa_reserve_vcc 1
		.amdhsa_float_round_mode_32 0
		.amdhsa_float_round_mode_16_64 0
		.amdhsa_float_denorm_mode_32 3
		.amdhsa_float_denorm_mode_16_64 3
		.amdhsa_dx10_clamp 1
		.amdhsa_ieee_mode 1
		.amdhsa_fp16_overflow 0
		.amdhsa_tg_split 0
		.amdhsa_exception_fp_ieee_invalid_op 0
		.amdhsa_exception_fp_denorm_src 0
		.amdhsa_exception_fp_ieee_div_zero 0
		.amdhsa_exception_fp_ieee_overflow 0
		.amdhsa_exception_fp_ieee_underflow 0
		.amdhsa_exception_fp_ieee_inexact 0
		.amdhsa_exception_int_div_zero 0
	.end_amdhsa_kernel
	.section	.text._ZN7rocprim6detail31init_lookback_scan_state_kernelINS0_19lookback_scan_stateIsLb1ELb1EEEEEvT_jjPNS4_10value_typeE,"axG",@progbits,_ZN7rocprim6detail31init_lookback_scan_state_kernelINS0_19lookback_scan_stateIsLb1ELb1EEEEEvT_jjPNS4_10value_typeE,comdat
.Lfunc_end21:
	.size	_ZN7rocprim6detail31init_lookback_scan_state_kernelINS0_19lookback_scan_stateIsLb1ELb1EEEEEvT_jjPNS4_10value_typeE, .Lfunc_end21-_ZN7rocprim6detail31init_lookback_scan_state_kernelINS0_19lookback_scan_stateIsLb1ELb1EEEEEvT_jjPNS4_10value_typeE
                                        ; -- End function
	.section	.AMDGPU.csdata,"",@progbits
; Kernel info:
; codeLenInByte = 312
; NumSgprs: 18
; NumVgprs: 6
; NumAgprs: 0
; TotalNumVgprs: 6
; ScratchSize: 0
; MemoryBound: 0
; FloatMode: 240
; IeeeMode: 1
; LDSByteSize: 0 bytes/workgroup (compile time only)
; SGPRBlocks: 2
; VGPRBlocks: 0
; NumSGPRsForWavesPerEU: 18
; NumVGPRsForWavesPerEU: 6
; AccumOffset: 8
; Occupancy: 8
; WaveLimiterHint : 0
; COMPUTE_PGM_RSRC2:SCRATCH_EN: 0
; COMPUTE_PGM_RSRC2:USER_SGPR: 2
; COMPUTE_PGM_RSRC2:TRAP_HANDLER: 0
; COMPUTE_PGM_RSRC2:TGID_X_EN: 1
; COMPUTE_PGM_RSRC2:TGID_Y_EN: 0
; COMPUTE_PGM_RSRC2:TGID_Z_EN: 0
; COMPUTE_PGM_RSRC2:TIDIG_COMP_CNT: 0
; COMPUTE_PGM_RSRC3_GFX90A:ACCUM_OFFSET: 1
; COMPUTE_PGM_RSRC3_GFX90A:TG_SPLIT: 0
	.section	.text._ZN7rocprim6detail31init_lookback_scan_state_kernelINS0_19lookback_scan_stateIsLb0ELb1EEEEEvT_jjPNS4_10value_typeE,"axG",@progbits,_ZN7rocprim6detail31init_lookback_scan_state_kernelINS0_19lookback_scan_stateIsLb0ELb1EEEEEvT_jjPNS4_10value_typeE,comdat
	.protected	_ZN7rocprim6detail31init_lookback_scan_state_kernelINS0_19lookback_scan_stateIsLb0ELb1EEEEEvT_jjPNS4_10value_typeE ; -- Begin function _ZN7rocprim6detail31init_lookback_scan_state_kernelINS0_19lookback_scan_stateIsLb0ELb1EEEEEvT_jjPNS4_10value_typeE
	.globl	_ZN7rocprim6detail31init_lookback_scan_state_kernelINS0_19lookback_scan_stateIsLb0ELb1EEEEEvT_jjPNS4_10value_typeE
	.p2align	8
	.type	_ZN7rocprim6detail31init_lookback_scan_state_kernelINS0_19lookback_scan_stateIsLb0ELb1EEEEEvT_jjPNS4_10value_typeE,@function
_ZN7rocprim6detail31init_lookback_scan_state_kernelINS0_19lookback_scan_stateIsLb0ELb1EEEEEvT_jjPNS4_10value_typeE: ; @_ZN7rocprim6detail31init_lookback_scan_state_kernelINS0_19lookback_scan_stateIsLb0ELb1EEEEEvT_jjPNS4_10value_typeE
; %bb.0:
	s_load_dword s3, s[0:1], 0x24
	s_load_dwordx2 s[8:9], s[0:1], 0x10
	s_load_dwordx4 s[4:7], s[0:1], 0x0
	s_waitcnt lgkmcnt(0)
	s_and_b32 s0, s3, 0xffff
	s_mul_i32 s2, s2, s0
	s_cmp_eq_u64 s[8:9], 0
	v_add_u32_e32 v0, s2, v0
	s_cbranch_scc1 .LBB22_6
; %bb.1:
	s_cmp_lt_u32 s7, s6
	s_cselect_b32 s0, s7, 0
	s_mov_b32 s3, 0
	v_cmp_eq_u32_e32 vcc, s0, v0
	s_and_saveexec_b64 s[0:1], vcc
	s_cbranch_execz .LBB22_5
; %bb.2:
	s_add_i32 s2, s7, 64
	s_lshl_b64 s[2:3], s[2:3], 2
	s_add_u32 s2, s4, s2
	s_addc_u32 s3, s5, s3
	v_mov_b32_e32 v2, 0
	global_load_dword v1, v2, s[2:3] sc1
	s_waitcnt vmcnt(0)
	v_and_b32_e32 v3, 0xff0000, v1
	v_cmp_ne_u32_e32 vcc, 0, v3
	s_cbranch_vccnz .LBB22_4
.LBB22_3:                               ; =>This Inner Loop Header: Depth=1
	global_load_dword v1, v2, s[2:3] sc1
	s_waitcnt vmcnt(0)
	v_and_b32_e32 v3, 0xff0000, v1
	v_cmp_eq_u32_e32 vcc, 0, v3
	s_cbranch_vccnz .LBB22_3
.LBB22_4:
	v_mov_b32_e32 v2, 0
	global_store_short v2, v1, s[8:9]
.LBB22_5:
	s_or_b64 exec, exec, s[0:1]
.LBB22_6:
	v_cmp_gt_u32_e32 vcc, s6, v0
	s_and_saveexec_b64 s[0:1], vcc
	s_cbranch_execnz .LBB22_9
; %bb.7:
	s_or_b64 exec, exec, s[0:1]
	v_cmp_gt_u32_e32 vcc, 64, v0
	s_and_saveexec_b64 s[0:1], vcc
	s_cbranch_execnz .LBB22_10
.LBB22_8:
	s_endpgm
.LBB22_9:
	v_add_u32_e32 v2, 64, v0
	v_mov_b32_e32 v3, 0
	v_lshl_add_u64 v[4:5], v[2:3], 2, s[4:5]
	global_store_dword v[4:5], v3, off
	s_or_b64 exec, exec, s[0:1]
	v_cmp_gt_u32_e32 vcc, 64, v0
	s_and_saveexec_b64 s[0:1], vcc
	s_cbranch_execz .LBB22_8
.LBB22_10:
	v_mov_b32_e32 v1, 0
	v_lshl_add_u64 v[0:1], v[0:1], 2, s[4:5]
	v_mov_b32_e32 v2, 0xff0000
	global_store_dword v[0:1], v2, off
	s_endpgm
	.section	.rodata,"a",@progbits
	.p2align	6, 0x0
	.amdhsa_kernel _ZN7rocprim6detail31init_lookback_scan_state_kernelINS0_19lookback_scan_stateIsLb0ELb1EEEEEvT_jjPNS4_10value_typeE
		.amdhsa_group_segment_fixed_size 0
		.amdhsa_private_segment_fixed_size 0
		.amdhsa_kernarg_size 280
		.amdhsa_user_sgpr_count 2
		.amdhsa_user_sgpr_dispatch_ptr 0
		.amdhsa_user_sgpr_queue_ptr 0
		.amdhsa_user_sgpr_kernarg_segment_ptr 1
		.amdhsa_user_sgpr_dispatch_id 0
		.amdhsa_user_sgpr_kernarg_preload_length 0
		.amdhsa_user_sgpr_kernarg_preload_offset 0
		.amdhsa_user_sgpr_private_segment_size 0
		.amdhsa_uses_dynamic_stack 0
		.amdhsa_enable_private_segment 0
		.amdhsa_system_sgpr_workgroup_id_x 1
		.amdhsa_system_sgpr_workgroup_id_y 0
		.amdhsa_system_sgpr_workgroup_id_z 0
		.amdhsa_system_sgpr_workgroup_info 0
		.amdhsa_system_vgpr_workitem_id 0
		.amdhsa_next_free_vgpr 6
		.amdhsa_next_free_sgpr 10
		.amdhsa_accum_offset 8
		.amdhsa_reserve_vcc 1
		.amdhsa_float_round_mode_32 0
		.amdhsa_float_round_mode_16_64 0
		.amdhsa_float_denorm_mode_32 3
		.amdhsa_float_denorm_mode_16_64 3
		.amdhsa_dx10_clamp 1
		.amdhsa_ieee_mode 1
		.amdhsa_fp16_overflow 0
		.amdhsa_tg_split 0
		.amdhsa_exception_fp_ieee_invalid_op 0
		.amdhsa_exception_fp_denorm_src 0
		.amdhsa_exception_fp_ieee_div_zero 0
		.amdhsa_exception_fp_ieee_overflow 0
		.amdhsa_exception_fp_ieee_underflow 0
		.amdhsa_exception_fp_ieee_inexact 0
		.amdhsa_exception_int_div_zero 0
	.end_amdhsa_kernel
	.section	.text._ZN7rocprim6detail31init_lookback_scan_state_kernelINS0_19lookback_scan_stateIsLb0ELb1EEEEEvT_jjPNS4_10value_typeE,"axG",@progbits,_ZN7rocprim6detail31init_lookback_scan_state_kernelINS0_19lookback_scan_stateIsLb0ELb1EEEEEvT_jjPNS4_10value_typeE,comdat
.Lfunc_end22:
	.size	_ZN7rocprim6detail31init_lookback_scan_state_kernelINS0_19lookback_scan_stateIsLb0ELb1EEEEEvT_jjPNS4_10value_typeE, .Lfunc_end22-_ZN7rocprim6detail31init_lookback_scan_state_kernelINS0_19lookback_scan_stateIsLb0ELb1EEEEEvT_jjPNS4_10value_typeE
                                        ; -- End function
	.section	.AMDGPU.csdata,"",@progbits
; Kernel info:
; codeLenInByte = 272
; NumSgprs: 16
; NumVgprs: 6
; NumAgprs: 0
; TotalNumVgprs: 6
; ScratchSize: 0
; MemoryBound: 0
; FloatMode: 240
; IeeeMode: 1
; LDSByteSize: 0 bytes/workgroup (compile time only)
; SGPRBlocks: 1
; VGPRBlocks: 0
; NumSGPRsForWavesPerEU: 16
; NumVGPRsForWavesPerEU: 6
; AccumOffset: 8
; Occupancy: 8
; WaveLimiterHint : 0
; COMPUTE_PGM_RSRC2:SCRATCH_EN: 0
; COMPUTE_PGM_RSRC2:USER_SGPR: 2
; COMPUTE_PGM_RSRC2:TRAP_HANDLER: 0
; COMPUTE_PGM_RSRC2:TGID_X_EN: 1
; COMPUTE_PGM_RSRC2:TGID_Y_EN: 0
; COMPUTE_PGM_RSRC2:TGID_Z_EN: 0
; COMPUTE_PGM_RSRC2:TIDIG_COMP_CNT: 0
; COMPUTE_PGM_RSRC3_GFX90A:ACCUM_OFFSET: 1
; COMPUTE_PGM_RSRC3_GFX90A:TG_SPLIT: 0
	.section	.text._ZN7rocprim6detail20lookback_scan_kernelILNS0_25lookback_scan_determinismE0ELb0ENS0_19wrapped_scan_configINS_14default_configEsEEN6hipcub22TransformInputIteratorIsNS6_6CastOpIsEEPslEEPfNS6_3MaxEssNS0_19lookback_scan_stateIsLb1ELb1EEEEEvT2_T3_mT5_T4_T7_jPT6_SM_bb,"axG",@progbits,_ZN7rocprim6detail20lookback_scan_kernelILNS0_25lookback_scan_determinismE0ELb0ENS0_19wrapped_scan_configINS_14default_configEsEEN6hipcub22TransformInputIteratorIsNS6_6CastOpIsEEPslEEPfNS6_3MaxEssNS0_19lookback_scan_stateIsLb1ELb1EEEEEvT2_T3_mT5_T4_T7_jPT6_SM_bb,comdat
	.protected	_ZN7rocprim6detail20lookback_scan_kernelILNS0_25lookback_scan_determinismE0ELb0ENS0_19wrapped_scan_configINS_14default_configEsEEN6hipcub22TransformInputIteratorIsNS6_6CastOpIsEEPslEEPfNS6_3MaxEssNS0_19lookback_scan_stateIsLb1ELb1EEEEEvT2_T3_mT5_T4_T7_jPT6_SM_bb ; -- Begin function _ZN7rocprim6detail20lookback_scan_kernelILNS0_25lookback_scan_determinismE0ELb0ENS0_19wrapped_scan_configINS_14default_configEsEEN6hipcub22TransformInputIteratorIsNS6_6CastOpIsEEPslEEPfNS6_3MaxEssNS0_19lookback_scan_stateIsLb1ELb1EEEEEvT2_T3_mT5_T4_T7_jPT6_SM_bb
	.globl	_ZN7rocprim6detail20lookback_scan_kernelILNS0_25lookback_scan_determinismE0ELb0ENS0_19wrapped_scan_configINS_14default_configEsEEN6hipcub22TransformInputIteratorIsNS6_6CastOpIsEEPslEEPfNS6_3MaxEssNS0_19lookback_scan_stateIsLb1ELb1EEEEEvT2_T3_mT5_T4_T7_jPT6_SM_bb
	.p2align	8
	.type	_ZN7rocprim6detail20lookback_scan_kernelILNS0_25lookback_scan_determinismE0ELb0ENS0_19wrapped_scan_configINS_14default_configEsEEN6hipcub22TransformInputIteratorIsNS6_6CastOpIsEEPslEEPfNS6_3MaxEssNS0_19lookback_scan_stateIsLb1ELb1EEEEEvT2_T3_mT5_T4_T7_jPT6_SM_bb,@function
_ZN7rocprim6detail20lookback_scan_kernelILNS0_25lookback_scan_determinismE0ELb0ENS0_19wrapped_scan_configINS_14default_configEsEEN6hipcub22TransformInputIteratorIsNS6_6CastOpIsEEPslEEPfNS6_3MaxEssNS0_19lookback_scan_stateIsLb1ELb1EEEEEvT2_T3_mT5_T4_T7_jPT6_SM_bb: ; @_ZN7rocprim6detail20lookback_scan_kernelILNS0_25lookback_scan_determinismE0ELb0ENS0_19wrapped_scan_configINS_14default_configEsEEN6hipcub22TransformInputIteratorIsNS6_6CastOpIsEEPslEEPfNS6_3MaxEssNS0_19lookback_scan_stateIsLb1ELb1EEEEEvT2_T3_mT5_T4_T7_jPT6_SM_bb
; %bb.0:
	s_endpgm
	.section	.rodata,"a",@progbits
	.p2align	6, 0x0
	.amdhsa_kernel _ZN7rocprim6detail20lookback_scan_kernelILNS0_25lookback_scan_determinismE0ELb0ENS0_19wrapped_scan_configINS_14default_configEsEEN6hipcub22TransformInputIteratorIsNS6_6CastOpIsEEPslEEPfNS6_3MaxEssNS0_19lookback_scan_stateIsLb1ELb1EEEEEvT2_T3_mT5_T4_T7_jPT6_SM_bb
		.amdhsa_group_segment_fixed_size 0
		.amdhsa_private_segment_fixed_size 0
		.amdhsa_kernarg_size 76
		.amdhsa_user_sgpr_count 2
		.amdhsa_user_sgpr_dispatch_ptr 0
		.amdhsa_user_sgpr_queue_ptr 0
		.amdhsa_user_sgpr_kernarg_segment_ptr 1
		.amdhsa_user_sgpr_dispatch_id 0
		.amdhsa_user_sgpr_kernarg_preload_length 0
		.amdhsa_user_sgpr_kernarg_preload_offset 0
		.amdhsa_user_sgpr_private_segment_size 0
		.amdhsa_uses_dynamic_stack 0
		.amdhsa_enable_private_segment 0
		.amdhsa_system_sgpr_workgroup_id_x 1
		.amdhsa_system_sgpr_workgroup_id_y 0
		.amdhsa_system_sgpr_workgroup_id_z 0
		.amdhsa_system_sgpr_workgroup_info 0
		.amdhsa_system_vgpr_workitem_id 0
		.amdhsa_next_free_vgpr 1
		.amdhsa_next_free_sgpr 0
		.amdhsa_accum_offset 4
		.amdhsa_reserve_vcc 0
		.amdhsa_float_round_mode_32 0
		.amdhsa_float_round_mode_16_64 0
		.amdhsa_float_denorm_mode_32 3
		.amdhsa_float_denorm_mode_16_64 3
		.amdhsa_dx10_clamp 1
		.amdhsa_ieee_mode 1
		.amdhsa_fp16_overflow 0
		.amdhsa_tg_split 0
		.amdhsa_exception_fp_ieee_invalid_op 0
		.amdhsa_exception_fp_denorm_src 0
		.amdhsa_exception_fp_ieee_div_zero 0
		.amdhsa_exception_fp_ieee_overflow 0
		.amdhsa_exception_fp_ieee_underflow 0
		.amdhsa_exception_fp_ieee_inexact 0
		.amdhsa_exception_int_div_zero 0
	.end_amdhsa_kernel
	.section	.text._ZN7rocprim6detail20lookback_scan_kernelILNS0_25lookback_scan_determinismE0ELb0ENS0_19wrapped_scan_configINS_14default_configEsEEN6hipcub22TransformInputIteratorIsNS6_6CastOpIsEEPslEEPfNS6_3MaxEssNS0_19lookback_scan_stateIsLb1ELb1EEEEEvT2_T3_mT5_T4_T7_jPT6_SM_bb,"axG",@progbits,_ZN7rocprim6detail20lookback_scan_kernelILNS0_25lookback_scan_determinismE0ELb0ENS0_19wrapped_scan_configINS_14default_configEsEEN6hipcub22TransformInputIteratorIsNS6_6CastOpIsEEPslEEPfNS6_3MaxEssNS0_19lookback_scan_stateIsLb1ELb1EEEEEvT2_T3_mT5_T4_T7_jPT6_SM_bb,comdat
.Lfunc_end23:
	.size	_ZN7rocprim6detail20lookback_scan_kernelILNS0_25lookback_scan_determinismE0ELb0ENS0_19wrapped_scan_configINS_14default_configEsEEN6hipcub22TransformInputIteratorIsNS6_6CastOpIsEEPslEEPfNS6_3MaxEssNS0_19lookback_scan_stateIsLb1ELb1EEEEEvT2_T3_mT5_T4_T7_jPT6_SM_bb, .Lfunc_end23-_ZN7rocprim6detail20lookback_scan_kernelILNS0_25lookback_scan_determinismE0ELb0ENS0_19wrapped_scan_configINS_14default_configEsEEN6hipcub22TransformInputIteratorIsNS6_6CastOpIsEEPslEEPfNS6_3MaxEssNS0_19lookback_scan_stateIsLb1ELb1EEEEEvT2_T3_mT5_T4_T7_jPT6_SM_bb
                                        ; -- End function
	.section	.AMDGPU.csdata,"",@progbits
; Kernel info:
; codeLenInByte = 4
; NumSgprs: 6
; NumVgprs: 0
; NumAgprs: 0
; TotalNumVgprs: 0
; ScratchSize: 0
; MemoryBound: 0
; FloatMode: 240
; IeeeMode: 1
; LDSByteSize: 0 bytes/workgroup (compile time only)
; SGPRBlocks: 0
; VGPRBlocks: 0
; NumSGPRsForWavesPerEU: 6
; NumVGPRsForWavesPerEU: 1
; AccumOffset: 4
; Occupancy: 8
; WaveLimiterHint : 0
; COMPUTE_PGM_RSRC2:SCRATCH_EN: 0
; COMPUTE_PGM_RSRC2:USER_SGPR: 2
; COMPUTE_PGM_RSRC2:TRAP_HANDLER: 0
; COMPUTE_PGM_RSRC2:TGID_X_EN: 1
; COMPUTE_PGM_RSRC2:TGID_Y_EN: 0
; COMPUTE_PGM_RSRC2:TGID_Z_EN: 0
; COMPUTE_PGM_RSRC2:TIDIG_COMP_CNT: 0
; COMPUTE_PGM_RSRC3_GFX90A:ACCUM_OFFSET: 0
; COMPUTE_PGM_RSRC3_GFX90A:TG_SPLIT: 0
	.section	.text._ZN7rocprim6detail20lookback_scan_kernelILNS0_25lookback_scan_determinismE0ELb0ENS0_19wrapped_scan_configINS_14default_configEsEEN6hipcub22TransformInputIteratorIsNS6_6CastOpIsEEPslEEPfNS6_3MaxEssNS0_19lookback_scan_stateIsLb0ELb1EEEEEvT2_T3_mT5_T4_T7_jPT6_SM_bb,"axG",@progbits,_ZN7rocprim6detail20lookback_scan_kernelILNS0_25lookback_scan_determinismE0ELb0ENS0_19wrapped_scan_configINS_14default_configEsEEN6hipcub22TransformInputIteratorIsNS6_6CastOpIsEEPslEEPfNS6_3MaxEssNS0_19lookback_scan_stateIsLb0ELb1EEEEEvT2_T3_mT5_T4_T7_jPT6_SM_bb,comdat
	.protected	_ZN7rocprim6detail20lookback_scan_kernelILNS0_25lookback_scan_determinismE0ELb0ENS0_19wrapped_scan_configINS_14default_configEsEEN6hipcub22TransformInputIteratorIsNS6_6CastOpIsEEPslEEPfNS6_3MaxEssNS0_19lookback_scan_stateIsLb0ELb1EEEEEvT2_T3_mT5_T4_T7_jPT6_SM_bb ; -- Begin function _ZN7rocprim6detail20lookback_scan_kernelILNS0_25lookback_scan_determinismE0ELb0ENS0_19wrapped_scan_configINS_14default_configEsEEN6hipcub22TransformInputIteratorIsNS6_6CastOpIsEEPslEEPfNS6_3MaxEssNS0_19lookback_scan_stateIsLb0ELb1EEEEEvT2_T3_mT5_T4_T7_jPT6_SM_bb
	.globl	_ZN7rocprim6detail20lookback_scan_kernelILNS0_25lookback_scan_determinismE0ELb0ENS0_19wrapped_scan_configINS_14default_configEsEEN6hipcub22TransformInputIteratorIsNS6_6CastOpIsEEPslEEPfNS6_3MaxEssNS0_19lookback_scan_stateIsLb0ELb1EEEEEvT2_T3_mT5_T4_T7_jPT6_SM_bb
	.p2align	8
	.type	_ZN7rocprim6detail20lookback_scan_kernelILNS0_25lookback_scan_determinismE0ELb0ENS0_19wrapped_scan_configINS_14default_configEsEEN6hipcub22TransformInputIteratorIsNS6_6CastOpIsEEPslEEPfNS6_3MaxEssNS0_19lookback_scan_stateIsLb0ELb1EEEEEvT2_T3_mT5_T4_T7_jPT6_SM_bb,@function
_ZN7rocprim6detail20lookback_scan_kernelILNS0_25lookback_scan_determinismE0ELb0ENS0_19wrapped_scan_configINS_14default_configEsEEN6hipcub22TransformInputIteratorIsNS6_6CastOpIsEEPslEEPfNS6_3MaxEssNS0_19lookback_scan_stateIsLb0ELb1EEEEEvT2_T3_mT5_T4_T7_jPT6_SM_bb: ; @_ZN7rocprim6detail20lookback_scan_kernelILNS0_25lookback_scan_determinismE0ELb0ENS0_19wrapped_scan_configINS_14default_configEsEEN6hipcub22TransformInputIteratorIsNS6_6CastOpIsEEPslEEPfNS6_3MaxEssNS0_19lookback_scan_stateIsLb0ELb1EEEEEvT2_T3_mT5_T4_T7_jPT6_SM_bb
; %bb.0:
	s_load_dword s3, s[0:1], 0x30
	s_load_dwordx2 s[4:5], s[0:1], 0x0
	s_load_dwordx4 s[8:11], s[0:1], 0x10
	s_mul_i32 s12, s2, 0x1800
	s_mov_b32 s13, 0
	s_waitcnt lgkmcnt(0)
	s_add_i32 s3, s3, -1
	s_mul_i32 s6, s3, 0x1800
	s_sub_u32 s20, s10, s6
	s_subb_u32 s21, s11, 0
	s_cmp_lg_u32 s2, s3
	s_cselect_b64 s[10:11], -1, 0
	s_lshl_b64 s[6:7], s[12:13], 1
	s_add_u32 s6, s4, s6
	s_addc_u32 s7, s5, s7
	s_mov_b64 s[4:5], -1
	s_and_b64 vcc, exec, s[10:11]
	v_lshlrev_b32_e32 v14, 1, v0
	s_cbranch_vccz .LBB24_2
; %bb.1:
	v_mov_b32_e32 v15, 0
	v_lshl_add_u64 v[2:3], s[6:7], 0, v[14:15]
	v_add_co_u32_e32 v4, vcc, 0x1000, v2
	global_load_ushort v1, v14, s[6:7]
	global_load_ushort v6, v14, s[6:7] offset:512
	global_load_ushort v7, v14, s[6:7] offset:1024
	;; [unrolled: 1-line block ×7, first 2 shown]
	v_addc_co_u32_e32 v5, vcc, 0, v3, vcc
	v_add_co_u32_e32 v2, vcc, 0x2000, v2
	global_load_ushort v13, v[4:5], off
	global_load_ushort v15, v[4:5], off offset:512
	global_load_ushort v16, v[4:5], off offset:1024
	;; [unrolled: 1-line block ×7, first 2 shown]
	v_addc_co_u32_e32 v3, vcc, 0, v3, vcc
	global_load_ushort v4, v[2:3], off
	global_load_ushort v5, v[2:3], off offset:512
	global_load_ushort v22, v[2:3], off offset:1024
	;; [unrolled: 1-line block ×7, first 2 shown]
	s_mov_b64 s[4:5], 0
	s_waitcnt vmcnt(23)
	ds_write_b16 v14, v1
	s_waitcnt vmcnt(22)
	ds_write_b16 v14, v6 offset:512
	s_waitcnt vmcnt(21)
	ds_write_b16 v14, v7 offset:1024
	;; [unrolled: 2-line block ×23, first 2 shown]
	s_waitcnt lgkmcnt(0)
	s_barrier
.LBB24_2:
	s_andn2_b64 vcc, exec, s[4:5]
	v_cmp_gt_u32_e64 s[4:5], s20, v0
	s_cbranch_vccnz .LBB24_52
; %bb.3:
	v_mov_b32_e32 v15, 0
	global_load_ushort v1, v15, s[6:7]
	v_lshl_add_u64 v[2:3], s[6:7], 0, v[14:15]
	s_waitcnt vmcnt(0)
	v_mov_b32_e32 v4, v1
	s_and_saveexec_b64 s[6:7], s[4:5]
	s_cbranch_execz .LBB24_5
; %bb.4:
	global_load_ushort v4, v[2:3], off
.LBB24_5:
	s_or_b64 exec, exec, s[6:7]
	v_or_b32_e32 v5, 0x100, v0
	v_cmp_gt_u32_e32 vcc, s20, v5
	v_mov_b32_e32 v5, v1
	s_and_saveexec_b64 s[4:5], vcc
	s_cbranch_execz .LBB24_7
; %bb.6:
	global_load_ushort v5, v[2:3], off offset:512
.LBB24_7:
	s_or_b64 exec, exec, s[4:5]
	v_or_b32_e32 v6, 0x200, v0
	v_cmp_gt_u32_e32 vcc, s20, v6
	v_mov_b32_e32 v6, v1
	s_and_saveexec_b64 s[4:5], vcc
	s_cbranch_execz .LBB24_9
; %bb.8:
	global_load_ushort v6, v[2:3], off offset:1024
.LBB24_9:
	;; [unrolled: 9-line block ×7, first 2 shown]
	s_or_b64 exec, exec, s[4:5]
	v_or_b32_e32 v12, 0x800, v0
	v_cmp_gt_u32_e32 vcc, s20, v12
	v_mov_b32_e32 v12, v1
	s_and_saveexec_b64 s[4:5], vcc
	s_cbranch_execz .LBB24_21
; %bb.20:
	v_add_co_u32_e32 v12, vcc, 0x1000, v2
	s_nop 1
	v_addc_co_u32_e32 v13, vcc, 0, v3, vcc
	global_load_ushort v12, v[12:13], off
.LBB24_21:
	s_or_b64 exec, exec, s[4:5]
	v_or_b32_e32 v13, 0x900, v0
	v_cmp_gt_u32_e32 vcc, s20, v13
	v_mov_b32_e32 v13, v1
	s_and_saveexec_b64 s[4:5], vcc
	s_cbranch_execz .LBB24_23
; %bb.22:
	v_add_co_u32_e32 v16, vcc, 0x1000, v2
	s_nop 1
	v_addc_co_u32_e32 v17, vcc, 0, v3, vcc
	global_load_ushort v13, v[16:17], off offset:512
.LBB24_23:
	s_or_b64 exec, exec, s[4:5]
	v_or_b32_e32 v15, 0xa00, v0
	v_cmp_gt_u32_e32 vcc, s20, v15
	v_mov_b32_e32 v15, v1
	s_and_saveexec_b64 s[4:5], vcc
	s_cbranch_execz .LBB24_25
; %bb.24:
	v_add_co_u32_e32 v16, vcc, 0x1000, v2
	s_nop 1
	v_addc_co_u32_e32 v17, vcc, 0, v3, vcc
	global_load_ushort v15, v[16:17], off offset:1024
.LBB24_25:
	;; [unrolled: 12-line block ×7, first 2 shown]
	s_or_b64 exec, exec, s[4:5]
	v_or_b32_e32 v21, 0x1000, v0
	v_cmp_gt_u32_e32 vcc, s20, v21
	v_mov_b32_e32 v21, v1
	s_and_saveexec_b64 s[4:5], vcc
	s_cbranch_execz .LBB24_37
; %bb.36:
	v_add_co_u32_e32 v22, vcc, 0x2000, v2
	s_nop 1
	v_addc_co_u32_e32 v23, vcc, 0, v3, vcc
	global_load_ushort v21, v[22:23], off
.LBB24_37:
	s_or_b64 exec, exec, s[4:5]
	v_or_b32_e32 v22, 0x1100, v0
	v_cmp_gt_u32_e32 vcc, s20, v22
	v_mov_b32_e32 v22, v1
	s_and_saveexec_b64 s[4:5], vcc
	s_cbranch_execz .LBB24_39
; %bb.38:
	v_add_co_u32_e32 v22, vcc, 0x2000, v2
	s_nop 1
	v_addc_co_u32_e32 v23, vcc, 0, v3, vcc
	global_load_ushort v22, v[22:23], off offset:512
.LBB24_39:
	s_or_b64 exec, exec, s[4:5]
	v_or_b32_e32 v23, 0x1200, v0
	v_cmp_gt_u32_e32 vcc, s20, v23
	v_mov_b32_e32 v23, v1
	s_and_saveexec_b64 s[4:5], vcc
	s_cbranch_execz .LBB24_41
; %bb.40:
	v_add_co_u32_e32 v24, vcc, 0x2000, v2
	s_nop 1
	v_addc_co_u32_e32 v25, vcc, 0, v3, vcc
	global_load_ushort v23, v[24:25], off offset:1024
.LBB24_41:
	;; [unrolled: 12-line block ×6, first 2 shown]
	s_or_b64 exec, exec, s[4:5]
	v_or_b32_e32 v28, 0x1700, v0
	v_cmp_gt_u32_e32 vcc, s20, v28
	s_and_saveexec_b64 s[4:5], vcc
	s_cbranch_execz .LBB24_51
; %bb.50:
	v_add_co_u32_e32 v2, vcc, 0x2000, v2
	s_nop 1
	v_addc_co_u32_e32 v3, vcc, 0, v3, vcc
	global_load_ushort v1, v[2:3], off offset:3584
.LBB24_51:
	s_or_b64 exec, exec, s[4:5]
	s_waitcnt vmcnt(0)
	ds_write_b16 v14, v4
	ds_write_b16 v14, v5 offset:512
	ds_write_b16 v14, v6 offset:1024
	;; [unrolled: 1-line block ×23, first 2 shown]
	s_waitcnt lgkmcnt(0)
	s_barrier
.LBB24_52:
	v_mul_u32_u24_e32 v15, 24, v0
	v_lshlrev_b32_e32 v1, 1, v15
	ds_read_b128 v[10:13], v1
	ds_read_b128 v[6:9], v1 offset:16
	ds_read_b128 v[2:5], v1 offset:32
	s_load_dwordx2 s[14:15], s[0:1], 0x28
	s_cmp_lg_u32 s2, 0
	v_mbcnt_lo_u32_b32 v35, -1, 0
	s_waitcnt lgkmcnt(0)
	v_lshrrev_b32_e32 v32, 16, v11
	v_lshrrev_b32_e32 v31, 16, v12
	;; [unrolled: 1-line block ×12, first 2 shown]
	v_or_b32_e32 v34, 63, v0
	s_barrier
	s_cbranch_scc0 .LBB24_79
; %bb.53:
	v_max_i16_sdwa v16, v10, v10 dst_sel:DWORD dst_unused:UNUSED_PAD src0_sel:DWORD src1_sel:WORD_1
	v_max3_i16 v16, v16, v11, v32
	v_max3_i16 v16, v16, v12, v31
	;; [unrolled: 1-line block ×11, first 2 shown]
	v_mbcnt_hi_u32_b32 v17, -1, v35
	v_and_b32_e32 v19, 0xffff, v16
	v_and_b32_e32 v18, 15, v17
	v_cmp_eq_u32_e32 vcc, 0, v18
	v_mov_b32_dpp v19, v19 row_shr:1 row_mask:0xf bank_mask:0xf
	v_max_i16_e32 v19, v19, v16
	v_cndmask_b32_e32 v16, v19, v16, vcc
	v_and_b32_e32 v19, 0xffff, v16
	v_cmp_lt_u32_e32 vcc, 1, v18
	s_nop 0
	v_mov_b32_dpp v19, v19 row_shr:2 row_mask:0xf bank_mask:0xf
	v_max_i16_e32 v19, v19, v16
	v_cndmask_b32_e32 v16, v16, v19, vcc
	v_and_b32_e32 v19, 0xffff, v16
	v_cmp_lt_u32_e32 vcc, 3, v18
	s_nop 0
	;; [unrolled: 6-line block ×3, first 2 shown]
	v_mov_b32_dpp v19, v19 row_shr:8 row_mask:0xf bank_mask:0xf
	v_max_i16_e32 v19, v19, v16
	v_cndmask_b32_e32 v16, v16, v19, vcc
	v_and_b32_e32 v18, 0xffff, v16
	v_and_b32_e32 v19, 16, v17
	v_cmp_eq_u32_e32 vcc, 0, v19
	v_mov_b32_dpp v18, v18 row_bcast:15 row_mask:0xf bank_mask:0xf
	v_max_i16_e32 v18, v18, v16
	v_cndmask_b32_e32 v16, v18, v16, vcc
	v_and_b32_e32 v18, 0xffff, v16
	v_cmp_lt_u32_e32 vcc, 31, v17
	s_nop 0
	v_mov_b32_dpp v18, v18 row_bcast:31 row_mask:0xf bank_mask:0xf
	v_max_i16_e32 v18, v18, v16
	v_cndmask_b32_e32 v16, v16, v18, vcc
	v_cmp_eq_u32_e32 vcc, v34, v0
	s_and_saveexec_b64 s[4:5], vcc
	s_cbranch_execz .LBB24_55
; %bb.54:
	v_lshlrev_b32_e32 v18, 1, v33
	ds_write_b16 v18, v16
.LBB24_55:
	s_or_b64 exec, exec, s[4:5]
	v_cmp_gt_u32_e32 vcc, 4, v0
	s_waitcnt lgkmcnt(0)
	s_barrier
	s_and_saveexec_b64 s[4:5], vcc
	s_cbranch_execz .LBB24_57
; %bb.56:
	ds_read_u16 v18, v14
	v_and_b32_e32 v19, 3, v17
	v_cmp_eq_u32_e32 vcc, 0, v19
	s_waitcnt lgkmcnt(0)
	v_and_b32_e32 v20, 0xffff, v18
	s_nop 1
	v_mov_b32_dpp v20, v20 row_shr:1 row_mask:0xf bank_mask:0xf
	v_max_i16_e32 v20, v20, v18
	v_cndmask_b32_e32 v18, v20, v18, vcc
	v_and_b32_e32 v20, 0xffff, v18
	v_cmp_lt_u32_e32 vcc, 1, v19
	s_nop 0
	v_mov_b32_dpp v20, v20 row_shr:2 row_mask:0xf bank_mask:0xf
	v_max_i16_e32 v20, v20, v18
	v_cndmask_b32_e32 v18, v18, v20, vcc
	ds_write_b16 v14, v18
.LBB24_57:
	s_or_b64 exec, exec, s[4:5]
	v_cmp_gt_u32_e32 vcc, 64, v0
	v_cmp_lt_u32_e64 s[4:5], 63, v0
	s_waitcnt lgkmcnt(0)
	s_barrier
	s_waitcnt lgkmcnt(0)
                                        ; implicit-def: $vgpr36
	s_and_saveexec_b64 s[6:7], s[4:5]
	s_cbranch_execz .LBB24_59
; %bb.58:
	v_lshl_add_u32 v18, v33, 1, -2
	ds_read_u16 v36, v18
	s_waitcnt lgkmcnt(0)
	v_max_i16_e32 v16, v36, v16
.LBB24_59:
	s_or_b64 exec, exec, s[6:7]
	v_add_u32_e32 v18, -1, v17
	v_and_b32_e32 v19, 64, v17
	v_cmp_lt_i32_e64 s[4:5], v18, v19
	v_and_b32_e32 v16, 0xffff, v16
	s_nop 0
	v_cndmask_b32_e64 v18, v18, v17, s[4:5]
	v_lshlrev_b32_e32 v18, 2, v18
	ds_bpermute_b32 v37, v18, v16
	v_cmp_eq_u32_e64 s[4:5], 0, v17
	s_and_saveexec_b64 s[16:17], vcc
	s_cbranch_execz .LBB24_78
; %bb.60:
	v_mov_b32_e32 v19, 0
	ds_read_u16 v38, v19 offset:6
	s_and_saveexec_b64 s[6:7], s[4:5]
	s_cbranch_execz .LBB24_62
; %bb.61:
	s_add_i32 s18, s2, 64
	s_mov_b32 s19, 0
	s_lshl_b64 s[18:19], s[18:19], 2
	s_add_u32 s18, s14, s18
	s_addc_u32 s19, s15, s19
	s_waitcnt lgkmcnt(0)
	v_or_b32_e32 v16, 0x10000, v38
	global_store_dword v19, v16, s[18:19] sc1
.LBB24_62:
	s_or_b64 exec, exec, s[6:7]
	v_xad_u32 v16, v17, -1, s2
	v_add_u32_e32 v18, 64, v16
	v_lshl_add_u64 v[20:21], v[18:19], 2, s[14:15]
	global_load_dword v44, v[20:21], off sc1
	s_waitcnt vmcnt(0)
	v_lshrrev_b32_e32 v39, 16, v44
	v_cmp_eq_u16_sdwa s[18:19], v39, v19 src0_sel:BYTE_0 src1_sel:DWORD
	s_and_saveexec_b64 s[6:7], s[18:19]
	s_cbranch_execz .LBB24_66
; %bb.63:
	s_mov_b64 s[18:19], 0
	v_mov_b32_e32 v18, 0
.LBB24_64:                              ; =>This Inner Loop Header: Depth=1
	global_load_dword v44, v[20:21], off sc1
	s_waitcnt vmcnt(0)
	v_lshrrev_b32_e32 v39, 16, v44
	v_cmp_ne_u16_sdwa s[22:23], v39, v18 src0_sel:BYTE_0 src1_sel:DWORD
	s_or_b64 s[18:19], s[22:23], s[18:19]
	s_andn2_b64 exec, exec, s[18:19]
	s_cbranch_execnz .LBB24_64
; %bb.65:
	s_or_b64 exec, exec, s[18:19]
.LBB24_66:
	s_or_b64 exec, exec, s[6:7]
	v_and_b32_e32 v51, 63, v17
	v_cmp_ne_u32_e32 vcc, 63, v51
	v_mov_b32_e32 v40, 2
	v_cmp_eq_u16_sdwa s[6:7], v39, v40 src0_sel:BYTE_0 src1_sel:DWORD
	v_addc_co_u32_e32 v41, vcc, 0, v17, vcc
	v_lshlrev_b64 v[18:19], v17, -1
	v_and_b32_e32 v43, 0xffff, v44
	v_lshlrev_b32_e32 v41, 2, v41
	v_and_b32_e32 v20, s7, v19
	ds_bpermute_b32 v45, v41, v43
	v_or_b32_e32 v20, 0x80000000, v20
	v_and_b32_e32 v21, s6, v18
	v_ffbl_b32_e32 v20, v20
	v_add_u32_e32 v20, 32, v20
	v_ffbl_b32_e32 v21, v21
	v_min_u32_e32 v20, v21, v20
	v_add_u32_e32 v42, 1, v17
	s_waitcnt lgkmcnt(0)
	v_max_i16_e32 v21, v45, v44
	v_cmp_gt_u32_e32 vcc, v42, v20
	v_cmp_gt_u32_e64 s[6:7], 62, v51
	s_nop 0
	v_cndmask_b32_e32 v45, v21, v43, vcc
	v_cndmask_b32_e64 v43, 0, 1, s[6:7]
	v_lshlrev_b32_e32 v43, 1, v43
	v_add_lshl_u32 v43, v43, v17, 2
	ds_bpermute_b32 v46, v43, v45
	v_cndmask_b32_e32 v21, v21, v44, vcc
	v_add_u32_e32 v44, 2, v17
	v_cmp_gt_u32_e32 vcc, v44, v20
	v_cmp_gt_u32_e64 s[6:7], 60, v51
	s_waitcnt lgkmcnt(0)
	v_max_i16_e32 v46, v46, v21
	v_cndmask_b32_e32 v47, v46, v45, vcc
	v_cndmask_b32_e64 v45, 0, 1, s[6:7]
	v_lshlrev_b32_e32 v45, 2, v45
	v_add_lshl_u32 v45, v45, v17, 2
	ds_bpermute_b32 v48, v45, v47
	v_cndmask_b32_e32 v21, v46, v21, vcc
	v_add_u32_e32 v46, 4, v17
	v_cmp_gt_u32_e32 vcc, v46, v20
	v_cmp_gt_u32_e64 s[6:7], 56, v51
	s_waitcnt lgkmcnt(0)
	v_max_i16_e32 v48, v48, v21
	;; [unrolled: 11-line block ×3, first 2 shown]
	v_cndmask_b32_e32 v52, v50, v49, vcc
	v_cndmask_b32_e64 v49, 0, 1, s[6:7]
	v_lshlrev_b32_e32 v49, 4, v49
	v_add_lshl_u32 v49, v49, v17, 2
	ds_bpermute_b32 v53, v49, v52
	v_cmp_gt_u32_e64 s[6:7], 32, v51
	v_cndmask_b32_e32 v21, v50, v21, vcc
	v_add_u32_e32 v50, 16, v17
	v_cndmask_b32_e64 v51, 0, 1, s[6:7]
	s_waitcnt lgkmcnt(0)
	v_max_i16_e32 v54, v53, v21
	v_cmp_gt_u32_e32 vcc, v50, v20
	v_lshlrev_b32_e32 v51, 5, v51
	s_nop 0
	v_cndmask_b32_e32 v53, v54, v52, vcc
	v_add_lshl_u32 v52, v51, v17, 2
	ds_bpermute_b32 v51, v52, v53
	v_add_u32_e32 v53, 32, v17
	v_cndmask_b32_e32 v17, v54, v21, vcc
	v_cmp_gt_u32_e32 vcc, v53, v20
	s_waitcnt lgkmcnt(0)
	v_max_i16_e32 v21, v51, v17
	v_cndmask_b32_e32 v20, v21, v17, vcc
	v_mov_b32_e32 v17, 0
	s_branch .LBB24_68
.LBB24_67:                              ;   in Loop: Header=BB24_68 Depth=1
	s_or_b64 exec, exec, s[6:7]
	v_cmp_eq_u16_sdwa s[6:7], v39, v40 src0_sel:BYTE_0 src1_sel:DWORD
	v_and_b32_e32 v55, 0xffff, v54
	ds_bpermute_b32 v56, v41, v55
	v_and_b32_e32 v20, s7, v19
	v_or_b32_e32 v20, 0x80000000, v20
	v_and_b32_e32 v21, s6, v18
	v_ffbl_b32_e32 v20, v20
	v_add_u32_e32 v20, 32, v20
	v_ffbl_b32_e32 v21, v21
	v_min_u32_e32 v20, v21, v20
	s_waitcnt lgkmcnt(0)
	v_max_i16_e32 v21, v56, v54
	v_cmp_gt_u32_e32 vcc, v42, v20
	v_subrev_u32_e32 v16, 64, v16
	s_nop 0
	v_cndmask_b32_e32 v55, v21, v55, vcc
	ds_bpermute_b32 v56, v43, v55
	v_cndmask_b32_e32 v21, v21, v54, vcc
	v_cmp_gt_u32_e32 vcc, v44, v20
	s_waitcnt lgkmcnt(0)
	v_max_i16_e32 v54, v56, v21
	v_cndmask_b32_e32 v55, v54, v55, vcc
	ds_bpermute_b32 v56, v45, v55
	v_cndmask_b32_e32 v21, v54, v21, vcc
	v_cmp_gt_u32_e32 vcc, v46, v20
	s_waitcnt lgkmcnt(0)
	v_max_i16_e32 v54, v56, v21
	;; [unrolled: 6-line block ×5, first 2 shown]
	v_cndmask_b32_e32 v20, v54, v21, vcc
	v_max_i16_e32 v20, v20, v51
.LBB24_68:                              ; =>This Loop Header: Depth=1
                                        ;     Child Loop BB24_71 Depth 2
	v_cmp_ne_u16_sdwa s[6:7], v39, v40 src0_sel:BYTE_0 src1_sel:DWORD
	v_mov_b32_e32 v51, v20
	s_nop 0
	v_cndmask_b32_e64 v21, 0, 1, s[6:7]
	;;#ASMSTART
	;;#ASMEND
	s_nop 0
	v_cmp_ne_u32_e32 vcc, 0, v21
	s_cmp_lg_u64 vcc, exec
	s_cbranch_scc1 .LBB24_73
; %bb.69:                               ;   in Loop: Header=BB24_68 Depth=1
	v_lshl_add_u64 v[20:21], v[16:17], 2, s[14:15]
	global_load_dword v54, v[20:21], off sc1
	s_waitcnt vmcnt(0)
	v_lshrrev_b32_e32 v39, 16, v54
	v_cmp_eq_u16_sdwa s[18:19], v39, v17 src0_sel:BYTE_0 src1_sel:DWORD
	s_and_saveexec_b64 s[6:7], s[18:19]
	s_cbranch_execz .LBB24_67
; %bb.70:                               ;   in Loop: Header=BB24_68 Depth=1
	s_mov_b64 s[18:19], 0
.LBB24_71:                              ;   Parent Loop BB24_68 Depth=1
                                        ; =>  This Inner Loop Header: Depth=2
	global_load_dword v54, v[20:21], off sc1
	s_waitcnt vmcnt(0)
	v_lshrrev_b32_e32 v39, 16, v54
	v_cmp_ne_u16_sdwa s[22:23], v39, v17 src0_sel:BYTE_0 src1_sel:DWORD
	s_or_b64 s[18:19], s[22:23], s[18:19]
	s_andn2_b64 exec, exec, s[18:19]
	s_cbranch_execnz .LBB24_71
; %bb.72:                               ;   in Loop: Header=BB24_68 Depth=1
	s_or_b64 exec, exec, s[18:19]
	s_branch .LBB24_67
.LBB24_73:                              ;   in Loop: Header=BB24_68 Depth=1
                                        ; implicit-def: $vgpr20
                                        ; implicit-def: $vgpr39
	s_cbranch_execz .LBB24_68
; %bb.74:
	s_and_saveexec_b64 s[6:7], s[4:5]
	s_cbranch_execz .LBB24_76
; %bb.75:
	s_add_i32 s2, s2, 64
	s_mov_b32 s3, 0
	s_lshl_b64 s[2:3], s[2:3], 2
	s_add_u32 s2, s14, s2
	v_max_i16_e32 v17, v51, v38
	s_addc_u32 s3, s15, s3
	v_mov_b32_e32 v16, 0
	v_or_b32_e32 v17, 0x20000, v17
	global_store_dword v16, v17, s[2:3] sc1
.LBB24_76:
	s_or_b64 exec, exec, s[6:7]
	v_cmp_eq_u32_e32 vcc, 0, v0
	s_and_b64 exec, exec, vcc
	s_cbranch_execz .LBB24_78
; %bb.77:
	v_mov_b32_e32 v16, 0
	ds_write_b16 v16, v51 offset:6
.LBB24_78:
	s_or_b64 exec, exec, s[16:17]
	v_mov_b32_e32 v16, 0
	s_waitcnt lgkmcnt(0)
	s_barrier
	ds_read_u16 v16, v16 offset:6
	v_cndmask_b32_e64 v17, v37, v36, s[4:5]
	v_max_i16_e32 v17, v17, v10
	v_cmp_eq_u32_e32 vcc, 0, v0
	s_nop 1
	v_cndmask_b32_e32 v17, v17, v10, vcc
	s_waitcnt lgkmcnt(0)
	v_max_i16_e32 v17, v16, v17
	v_max_i16_sdwa v16, v17, v10 dst_sel:DWORD dst_unused:UNUSED_PAD src0_sel:DWORD src1_sel:WORD_1
	v_max_i16_e32 v18, v16, v11
	v_max_i16_e32 v19, v18, v32
	;; [unrolled: 1-line block ×22, first 2 shown]
	s_load_dwordx4 s[4:7], s[0:1], 0x38
	s_branch .LBB24_91
.LBB24_79:
                                        ; implicit-def: $vgpr17
                                        ; implicit-def: $vgpr16
                                        ; implicit-def: $vgpr18
                                        ; implicit-def: $vgpr19
                                        ; implicit-def: $vgpr20
                                        ; implicit-def: $vgpr36
                                        ; implicit-def: $vgpr38
                                        ; implicit-def: $vgpr40
                                        ; implicit-def: $vgpr21
                                        ; implicit-def: $vgpr37
                                        ; implicit-def: $vgpr39
                                        ; implicit-def: $vgpr41
                                        ; implicit-def: $vgpr42
                                        ; implicit-def: $vgpr44
                                        ; implicit-def: $vgpr46
                                        ; implicit-def: $vgpr48
                                        ; implicit-def: $vgpr43
                                        ; implicit-def: $vgpr45
                                        ; implicit-def: $vgpr47
                                        ; implicit-def: $vgpr49
                                        ; implicit-def: $vgpr50
                                        ; implicit-def: $vgpr51
                                        ; implicit-def: $vgpr52
                                        ; implicit-def: $vgpr53
	s_load_dwordx4 s[4:7], s[0:1], 0x38
	s_cbranch_execz .LBB24_91
; %bb.80:
	s_load_dword s2, s[0:1], 0x48
	v_cmp_eq_u32_e32 vcc, 0, v0
	v_mov_b32_e32 v53, v10
	s_waitcnt lgkmcnt(0)
	s_bitcmp1_b32 s2, 0
	s_cselect_b64 s[2:3], -1, 0
	s_and_b64 s[16:17], vcc, s[2:3]
	s_and_saveexec_b64 s[2:3], s[16:17]
	s_cbranch_execz .LBB24_82
; %bb.81:
	v_mov_b32_e32 v16, 0
	global_load_ushort v16, v16, s[4:5]
	s_waitcnt vmcnt(0)
	v_max_i16_e32 v53, v16, v10
.LBB24_82:
	s_or_b64 exec, exec, s[2:3]
	v_max_i16_sdwa v16, v53, v10 dst_sel:DWORD dst_unused:UNUSED_PAD src0_sel:DWORD src1_sel:WORD_1
	v_max3_i16 v16, v16, v11, v32
	v_max3_i16 v16, v16, v12, v31
	;; [unrolled: 1-line block ×11, first 2 shown]
	v_mbcnt_hi_u32_b32 v16, -1, v35
	v_and_b32_e32 v19, 0xffff, v17
	v_and_b32_e32 v18, 15, v16
	v_cmp_eq_u32_e64 s[2:3], 0, v18
	v_mov_b32_dpp v19, v19 row_shr:1 row_mask:0xf bank_mask:0xf
	v_max_i16_e32 v19, v19, v17
	v_cndmask_b32_e64 v17, v19, v17, s[2:3]
	v_and_b32_e32 v19, 0xffff, v17
	v_cmp_lt_u32_e64 s[2:3], 1, v18
	s_nop 0
	v_mov_b32_dpp v19, v19 row_shr:2 row_mask:0xf bank_mask:0xf
	v_max_i16_e32 v19, v19, v17
	v_cndmask_b32_e64 v17, v17, v19, s[2:3]
	v_and_b32_e32 v19, 0xffff, v17
	v_cmp_lt_u32_e64 s[2:3], 3, v18
	s_nop 0
	;; [unrolled: 6-line block ×3, first 2 shown]
	v_mov_b32_dpp v19, v19 row_shr:8 row_mask:0xf bank_mask:0xf
	v_max_i16_e32 v19, v19, v17
	v_cndmask_b32_e64 v17, v17, v19, s[2:3]
	v_and_b32_e32 v18, 0xffff, v17
	v_and_b32_e32 v19, 16, v16
	v_cmp_eq_u32_e64 s[2:3], 0, v19
	v_mov_b32_dpp v18, v18 row_bcast:15 row_mask:0xf bank_mask:0xf
	v_max_i16_e32 v18, v18, v17
	v_cndmask_b32_e64 v17, v18, v17, s[2:3]
	v_and_b32_e32 v18, 0xffff, v17
	v_cmp_lt_u32_e64 s[2:3], 31, v16
	s_nop 0
	v_mov_b32_dpp v18, v18 row_bcast:31 row_mask:0xf bank_mask:0xf
	v_max_i16_e32 v18, v18, v17
	v_cndmask_b32_e64 v17, v17, v18, s[2:3]
	v_cmp_eq_u32_e64 s[2:3], v34, v0
	s_and_saveexec_b64 s[4:5], s[2:3]
	s_cbranch_execz .LBB24_84
; %bb.83:
	v_lshlrev_b32_e32 v18, 1, v33
	ds_write_b16 v18, v17
.LBB24_84:
	s_or_b64 exec, exec, s[4:5]
	v_cmp_gt_u32_e64 s[2:3], 4, v0
	s_waitcnt lgkmcnt(0)
	s_barrier
	s_and_saveexec_b64 s[4:5], s[2:3]
	s_cbranch_execz .LBB24_86
; %bb.85:
	s_movk_i32 s2, 0xffd2
	v_mad_i32_i24 v18, v0, s2, v1
	ds_read_u16 v19, v18
	v_and_b32_e32 v20, 3, v16
	v_cmp_eq_u32_e64 s[2:3], 0, v20
	s_waitcnt lgkmcnt(0)
	v_and_b32_e32 v21, 0xffff, v19
	s_nop 1
	v_mov_b32_dpp v21, v21 row_shr:1 row_mask:0xf bank_mask:0xf
	v_max_i16_e32 v21, v21, v19
	v_cndmask_b32_e64 v19, v21, v19, s[2:3]
	v_and_b32_e32 v21, 0xffff, v19
	v_cmp_lt_u32_e64 s[2:3], 1, v20
	s_nop 0
	v_mov_b32_dpp v21, v21 row_shr:2 row_mask:0xf bank_mask:0xf
	v_max_i16_e32 v21, v21, v19
	v_cndmask_b32_e64 v19, v19, v21, s[2:3]
	ds_write_b16 v18, v19
.LBB24_86:
	s_or_b64 exec, exec, s[4:5]
	v_cmp_lt_u32_e64 s[2:3], 63, v0
	s_waitcnt lgkmcnt(0)
	s_barrier
	s_waitcnt lgkmcnt(0)
                                        ; implicit-def: $vgpr18
	s_and_saveexec_b64 s[4:5], s[2:3]
	s_cbranch_execz .LBB24_88
; %bb.87:
	v_lshl_add_u32 v18, v33, 1, -2
	ds_read_u16 v18, v18
	s_waitcnt lgkmcnt(0)
	v_max_i16_e32 v17, v18, v17
.LBB24_88:
	s_or_b64 exec, exec, s[4:5]
	v_add_u32_e32 v19, -1, v16
	v_and_b32_e32 v20, 64, v16
	v_cmp_lt_i32_e64 s[2:3], v19, v20
	v_and_b32_e32 v17, 0xffff, v17
	s_nop 0
	v_cndmask_b32_e64 v19, v19, v16, s[2:3]
	v_lshlrev_b32_e32 v19, 2, v19
	ds_bpermute_b32 v17, v19, v17
	v_cmp_eq_u32_e64 s[2:3], 0, v16
	s_waitcnt lgkmcnt(0)
	s_nop 0
	v_cndmask_b32_e64 v16, v17, v18, s[2:3]
	v_max_i16_e32 v17, v16, v53
	v_cndmask_b32_e32 v16, v17, v53, vcc
	v_max_i16_sdwa v16, v16, v10 dst_sel:DWORD dst_unused:UNUSED_PAD src0_sel:DWORD src1_sel:WORD_1
	v_max_i16_e32 v18, v16, v11
	v_max_i16_e32 v19, v18, v32
	;; [unrolled: 1-line block ×21, first 2 shown]
	s_and_saveexec_b64 s[2:3], vcc
	s_cbranch_execz .LBB24_90
; %bb.89:
	v_mov_b32_e32 v2, 0
	ds_read_u16 v3, v2 offset:6
	v_mov_b32_e32 v17, v53
	s_waitcnt lgkmcnt(0)
	v_or_b32_e32 v3, 0x20000, v3
	global_store_dword v2, v3, s[14:15] offset:256 sc1
.LBB24_90:
	s_or_b64 exec, exec, s[2:3]
	v_max_i16_e32 v53, v52, v22
.LBB24_91:
	s_lshl_b64 s[2:3], s[12:13], 2
	s_add_u32 s2, s8, s2
	s_addc_u32 s3, s9, s3
	s_waitcnt lgkmcnt(0)
	s_mov_b64 s[4:5], -1
	s_and_b64 vcc, exec, s[10:11]
	v_lshlrev_b32_e32 v2, 2, v0
	s_barrier
	s_cbranch_vccz .LBB24_93
; %bb.92:
	s_mov_b32 s4, 0x5040100
	v_perm_b32 v7, v40, v38, s4
	v_perm_b32 v6, v36, v20, s4
	;; [unrolled: 1-line block ×4, first 2 shown]
	ds_write_b128 v1, v[4:7]
	v_perm_b32 v7, v48, v46, s4
	v_perm_b32 v6, v44, v42, s4
	;; [unrolled: 1-line block ×4, first 2 shown]
	ds_write_b128 v1, v[4:7] offset:16
	v_perm_b32 v7, v53, v52, s4
	v_perm_b32 v6, v51, v50, s4
	;; [unrolled: 1-line block ×4, first 2 shown]
	v_mov_b32_e32 v3, 0
	ds_write_b128 v1, v[4:7] offset:32
	s_waitcnt lgkmcnt(0)
	s_barrier
	ds_read_i16 v6, v14
	ds_read_i16 v7, v14 offset:512
	ds_read_i16 v8, v14 offset:1024
	;; [unrolled: 1-line block ×23, first 2 shown]
	v_lshl_add_u64 v[4:5], s[2:3], 0, v[2:3]
	s_waitcnt lgkmcnt(14)
	v_cvt_f32_i32_e32 v3, v6
	v_cvt_f32_i32_e32 v6, v7
	;; [unrolled: 1-line block ×4, first 2 shown]
	s_movk_i32 s4, 0x1000
	global_store_dword v2, v3, s[2:3]
	global_store_dword v2, v6, s[2:3] offset:1024
	global_store_dword v2, v7, s[2:3] offset:2048
	;; [unrolled: 1-line block ×3, first 2 shown]
	v_cvt_f32_i32_e32 v3, v10
	v_add_co_u32_e32 v6, vcc, s4, v4
	s_movk_i32 s4, 0x2000
	s_nop 0
	v_addc_co_u32_e32 v7, vcc, 0, v5, vcc
	v_cvt_f32_i32_e32 v10, v11
	v_add_co_u32_e32 v8, vcc, s4, v4
	v_cvt_f32_i32_e32 v11, v12
	s_nop 0
	v_addc_co_u32_e32 v9, vcc, 0, v5, vcc
	v_cvt_f32_i32_e32 v12, v13
	global_store_dword v[8:9], v3, off offset:-4096
	global_store_dword v[6:7], v10, off offset:1024
	global_store_dword v[6:7], v11, off offset:2048
	;; [unrolled: 1-line block ×3, first 2 shown]
	v_cvt_f32_i32_e32 v3, v22
	v_cvt_f32_i32_e32 v6, v23
	s_waitcnt lgkmcnt(13)
	v_cvt_f32_i32_e32 v7, v24
	s_waitcnt lgkmcnt(12)
	v_cvt_f32_i32_e32 v10, v25
	s_movk_i32 s4, 0x3000
	global_store_dword v[8:9], v3, off
	global_store_dword v[8:9], v6, off offset:1024
	global_store_dword v[8:9], v7, off offset:2048
	;; [unrolled: 1-line block ×3, first 2 shown]
	s_waitcnt lgkmcnt(11)
	v_cvt_f32_i32_e32 v3, v26
	v_add_co_u32_e32 v6, vcc, s4, v4
	s_movk_i32 s4, 0x4000
	s_nop 0
	v_addc_co_u32_e32 v7, vcc, 0, v5, vcc
	s_waitcnt lgkmcnt(10)
	v_cvt_f32_i32_e32 v10, v27
	v_add_co_u32_e32 v8, vcc, s4, v4
	s_waitcnt lgkmcnt(9)
	v_cvt_f32_i32_e32 v11, v28
	v_addc_co_u32_e32 v9, vcc, 0, v5, vcc
	s_waitcnt lgkmcnt(8)
	v_cvt_f32_i32_e32 v12, v29
	global_store_dword v[8:9], v3, off offset:-4096
	global_store_dword v[6:7], v10, off offset:1024
	global_store_dword v[6:7], v11, off offset:2048
	;; [unrolled: 1-line block ×3, first 2 shown]
	s_waitcnt lgkmcnt(7)
	v_cvt_f32_i32_e32 v3, v30
	s_waitcnt lgkmcnt(6)
	v_cvt_f32_i32_e32 v6, v31
	;; [unrolled: 2-line block ×4, first 2 shown]
	global_store_dword v[8:9], v3, off
	global_store_dword v[8:9], v6, off offset:1024
	global_store_dword v[8:9], v7, off offset:2048
	;; [unrolled: 1-line block ×3, first 2 shown]
	s_waitcnt lgkmcnt(3)
	v_cvt_f32_i32_e32 v3, v34
	s_waitcnt lgkmcnt(2)
	v_cvt_f32_i32_e32 v6, v35
	v_add_co_u32_e32 v4, vcc, 0x5000, v4
	s_waitcnt lgkmcnt(1)
	v_cvt_f32_i32_e32 v7, v54
	v_addc_co_u32_e32 v5, vcc, 0, v5, vcc
	s_waitcnt lgkmcnt(0)
	v_cvt_f32_i32_e32 v8, v14
	global_store_dword v[4:5], v3, off
	global_store_dword v[4:5], v6, off offset:1024
	global_store_dword v[4:5], v7, off offset:2048
	;; [unrolled: 1-line block ×3, first 2 shown]
	s_mov_b64 s[4:5], 0
.LBB24_93:
	s_andn2_b64 vcc, exec, s[4:5]
	s_cbranch_vccnz .LBB24_150
; %bb.94:
	s_mov_b32 s4, 0x5040100
	v_perm_b32 v7, v40, v38, s4
	v_perm_b32 v6, v36, v20, s4
	;; [unrolled: 1-line block ×4, first 2 shown]
	ds_write_b128 v1, v[4:7]
	v_perm_b32 v7, v48, v46, s4
	v_perm_b32 v6, v44, v42, s4
	;; [unrolled: 1-line block ×4, first 2 shown]
	ds_write_b128 v1, v[4:7] offset:16
	v_perm_b32 v7, v53, v52, s4
	v_perm_b32 v6, v51, v50, s4
	;; [unrolled: 1-line block ×4, first 2 shown]
	s_movk_i32 s4, 0xffd2
	ds_write_b128 v1, v[4:7] offset:32
	v_mad_i32_i24 v1, v0, s4, v1
	s_waitcnt lgkmcnt(0)
	s_barrier
	ds_read_u16 v7, v1
	ds_read_u16 v6, v1 offset:512
	ds_read_u16 v9, v1 offset:1024
	;; [unrolled: 1-line block ×23, first 2 shown]
	v_mov_b32_e32 v3, 0
	v_lshl_add_u64 v[4:5], s[2:3], 0, v[2:3]
	v_cmp_gt_u32_e32 vcc, s20, v0
	s_and_saveexec_b64 s[2:3], vcc
	s_cbranch_execz .LBB24_96
; %bb.95:
	s_waitcnt lgkmcnt(14)
	v_cvt_f32_i32_sdwa v1, sext(v7) dst_sel:DWORD dst_unused:UNUSED_PAD src0_sel:WORD_0
	global_store_dword v[4:5], v1, off
.LBB24_96:
	s_or_b64 exec, exec, s[2:3]
	v_or_b32_e32 v1, 0x100, v0
	v_cmp_gt_u32_e32 vcc, s20, v1
	s_and_saveexec_b64 s[2:3], vcc
	s_cbranch_execz .LBB24_98
; %bb.97:
	s_waitcnt lgkmcnt(14)
	v_cvt_f32_i32_sdwa v1, sext(v6) dst_sel:DWORD dst_unused:UNUSED_PAD src0_sel:WORD_0
	global_store_dword v[4:5], v1, off offset:1024
.LBB24_98:
	s_or_b64 exec, exec, s[2:3]
	v_or_b32_e32 v1, 0x200, v0
	v_cmp_gt_u32_e32 vcc, s20, v1
	s_and_saveexec_b64 s[2:3], vcc
	s_cbranch_execz .LBB24_100
; %bb.99:
	s_waitcnt lgkmcnt(14)
	v_cvt_f32_i32_sdwa v1, sext(v9) dst_sel:DWORD dst_unused:UNUSED_PAD src0_sel:WORD_0
	global_store_dword v[4:5], v1, off offset:2048
.LBB24_100:
	s_or_b64 exec, exec, s[2:3]
	v_or_b32_e32 v1, 0x300, v0
	v_cmp_gt_u32_e32 vcc, s20, v1
	s_and_saveexec_b64 s[2:3], vcc
	s_cbranch_execz .LBB24_102
; %bb.101:
	s_waitcnt lgkmcnt(14)
	v_cvt_f32_i32_sdwa v1, sext(v10) dst_sel:DWORD dst_unused:UNUSED_PAD src0_sel:WORD_0
	global_store_dword v[4:5], v1, off offset:3072
.LBB24_102:
	s_or_b64 exec, exec, s[2:3]
	v_or_b32_e32 v1, 0x400, v0
	v_cmp_gt_u32_e32 vcc, s20, v1
	s_and_saveexec_b64 s[2:3], vcc
	s_cbranch_execz .LBB24_104
; %bb.103:
	s_waitcnt lgkmcnt(14)
	v_cvt_f32_i32_sdwa v1, sext(v8) dst_sel:DWORD dst_unused:UNUSED_PAD src0_sel:WORD_0
	v_add_co_u32_e32 v32, vcc, 0x1000, v4
	s_nop 1
	v_addc_co_u32_e32 v33, vcc, 0, v5, vcc
	global_store_dword v[32:33], v1, off
.LBB24_104:
	s_or_b64 exec, exec, s[2:3]
	v_or_b32_e32 v1, 0x500, v0
	v_cmp_gt_u32_e32 vcc, s20, v1
	s_and_saveexec_b64 s[2:3], vcc
	s_cbranch_execz .LBB24_106
; %bb.105:
	s_waitcnt lgkmcnt(14)
	v_cvt_f32_i32_sdwa v1, sext(v11) dst_sel:DWORD dst_unused:UNUSED_PAD src0_sel:WORD_0
	v_add_co_u32_e32 v32, vcc, 0x1000, v4
	s_nop 1
	v_addc_co_u32_e32 v33, vcc, 0, v5, vcc
	global_store_dword v[32:33], v1, off offset:1024
.LBB24_106:
	s_or_b64 exec, exec, s[2:3]
	v_or_b32_e32 v1, 0x600, v0
	v_cmp_gt_u32_e32 vcc, s20, v1
	s_and_saveexec_b64 s[2:3], vcc
	s_cbranch_execz .LBB24_108
; %bb.107:
	s_waitcnt lgkmcnt(14)
	v_cvt_f32_i32_sdwa v1, sext(v20) dst_sel:DWORD dst_unused:UNUSED_PAD src0_sel:WORD_0
	v_add_co_u32_e32 v32, vcc, 0x1000, v4
	s_nop 1
	v_addc_co_u32_e32 v33, vcc, 0, v5, vcc
	global_store_dword v[32:33], v1, off offset:2048
.LBB24_108:
	s_or_b64 exec, exec, s[2:3]
	v_or_b32_e32 v1, 0x700, v0
	v_cmp_gt_u32_e32 vcc, s20, v1
	s_and_saveexec_b64 s[2:3], vcc
	s_cbranch_execz .LBB24_110
; %bb.109:
	s_waitcnt lgkmcnt(14)
	v_cvt_f32_i32_sdwa v1, sext(v18) dst_sel:DWORD dst_unused:UNUSED_PAD src0_sel:WORD_0
	v_add_co_u32_e32 v32, vcc, 0x1000, v4
	s_nop 1
	v_addc_co_u32_e32 v33, vcc, 0, v5, vcc
	global_store_dword v[32:33], v1, off offset:3072
.LBB24_110:
	s_or_b64 exec, exec, s[2:3]
	v_or_b32_e32 v1, 0x800, v0
	v_cmp_gt_u32_e32 vcc, s20, v1
	s_and_saveexec_b64 s[2:3], vcc
	s_cbranch_execz .LBB24_112
; %bb.111:
	s_waitcnt lgkmcnt(14)
	v_cvt_f32_i32_sdwa v1, sext(v19) dst_sel:DWORD dst_unused:UNUSED_PAD src0_sel:WORD_0
	v_add_co_u32_e32 v32, vcc, 0x2000, v4
	s_nop 1
	v_addc_co_u32_e32 v33, vcc, 0, v5, vcc
	global_store_dword v[32:33], v1, off
.LBB24_112:
	s_or_b64 exec, exec, s[2:3]
	v_or_b32_e32 v1, 0x900, v0
	v_cmp_gt_u32_e32 vcc, s20, v1
	s_and_saveexec_b64 s[2:3], vcc
	s_cbranch_execz .LBB24_114
; %bb.113:
	s_waitcnt lgkmcnt(14)
	v_cvt_f32_i32_sdwa v1, sext(v26) dst_sel:DWORD dst_unused:UNUSED_PAD src0_sel:WORD_0
	v_add_co_u32_e32 v32, vcc, 0x2000, v4
	s_nop 1
	v_addc_co_u32_e32 v33, vcc, 0, v5, vcc
	global_store_dword v[32:33], v1, off offset:1024
.LBB24_114:
	s_or_b64 exec, exec, s[2:3]
	v_or_b32_e32 v1, 0xa00, v0
	v_cmp_gt_u32_e32 vcc, s20, v1
	s_and_saveexec_b64 s[2:3], vcc
	s_cbranch_execz .LBB24_116
; %bb.115:
	s_waitcnt lgkmcnt(13)
	v_cvt_f32_i32_sdwa v1, sext(v23) dst_sel:DWORD dst_unused:UNUSED_PAD src0_sel:WORD_0
	v_add_co_u32_e32 v32, vcc, 0x2000, v4
	s_nop 1
	v_addc_co_u32_e32 v33, vcc, 0, v5, vcc
	global_store_dword v[32:33], v1, off offset:2048
.LBB24_116:
	s_or_b64 exec, exec, s[2:3]
	v_or_b32_e32 v1, 0xb00, v0
	v_cmp_gt_u32_e32 vcc, s20, v1
	s_and_saveexec_b64 s[2:3], vcc
	s_cbranch_execz .LBB24_118
; %bb.117:
	s_waitcnt lgkmcnt(12)
	v_cvt_f32_i32_sdwa v1, sext(v22) dst_sel:DWORD dst_unused:UNUSED_PAD src0_sel:WORD_0
	v_add_co_u32_e32 v32, vcc, 0x2000, v4
	s_nop 1
	v_addc_co_u32_e32 v33, vcc, 0, v5, vcc
	global_store_dword v[32:33], v1, off offset:3072
.LBB24_118:
	;; [unrolled: 52-line block ×5, first 2 shown]
	s_or_b64 exec, exec, s[2:3]
	s_load_dword s0, s[0:1], 0x48
	s_waitcnt lgkmcnt(0)
	s_bfe_u32 s0, s0, 0x10008
	s_cmp_eq_u32 s0, 0
	s_cbranch_scc1 .LBB24_150
; %bb.143:
	s_add_u32 s0, s20, -1
	s_addc_u32 s1, s21, -1
	s_add_u32 s2, 0, 0xaaaa0000
	s_addc_u32 s3, 0, 42
	s_add_i32 s3, s3, 0xaaaaa80
	s_mul_hi_u32 s9, s2, 0xffffffe8
	s_sub_i32 s9, s9, s2
	s_mul_i32 s10, s3, 0xffffffe8
	s_mul_i32 s4, s2, 0xffffffe8
	s_add_i32 s9, s9, s10
	s_mul_hi_u32 s5, s3, s4
	s_mul_i32 s8, s3, s4
	s_mul_i32 s11, s2, s9
	s_mul_hi_u32 s4, s2, s4
	s_mul_hi_u32 s10, s2, s9
	s_add_u32 s4, s4, s11
	s_addc_u32 s10, 0, s10
	s_add_u32 s4, s4, s8
	s_mul_hi_u32 s11, s3, s9
	s_addc_u32 s4, s10, s5
	s_addc_u32 s5, s11, 0
	s_mul_i32 s8, s3, s9
	s_add_u32 s4, s4, s8
	v_mov_b32_e32 v2, s4
	s_addc_u32 s5, 0, s5
	v_add_co_u32_e32 v2, vcc, s2, v2
	s_cmp_lg_u64 vcc, 0
	s_addc_u32 s2, s3, s5
	v_readfirstlane_b32 s5, v2
	s_mul_i32 s4, s0, s2
	s_mul_hi_u32 s8, s0, s5
	s_mul_hi_u32 s3, s0, s2
	s_add_u32 s4, s8, s4
	s_addc_u32 s3, 0, s3
	s_mul_hi_u32 s9, s1, s5
	s_mul_i32 s5, s1, s5
	s_add_u32 s4, s4, s5
	s_mul_hi_u32 s8, s1, s2
	s_addc_u32 s3, s3, s9
	s_addc_u32 s4, s8, 0
	s_mul_i32 s2, s1, s2
	s_add_u32 s2, s3, s2
	s_addc_u32 s3, 0, s4
	s_add_u32 s4, s2, 1
	s_addc_u32 s5, s3, 0
	s_add_u32 s8, s2, 2
	s_mul_i32 s10, s3, 24
	s_mul_hi_u32 s11, s2, 24
	s_addc_u32 s9, s3, 0
	s_add_i32 s11, s11, s10
	s_mul_i32 s10, s2, 24
	v_mov_b32_e32 v2, s10
	v_sub_co_u32_e32 v2, vcc, s0, v2
	s_cmp_lg_u64 vcc, 0
	v_mov_b32_e32 v1, v3
	s_subb_u32 s10, s1, s11
	v_subrev_co_u32_e32 v3, vcc, 24, v2
	s_cmp_lg_u64 vcc, 0
	s_subb_u32 s11, s10, 0
	v_readfirstlane_b32 s12, v3
	s_cmp_gt_u32 s12, 23
	s_cselect_b32 s12, -1, 0
	s_cmp_eq_u32 s11, 0
	s_cselect_b32 s11, s12, -1
	s_cmp_lg_u32 s11, 0
	s_cselect_b32 s4, s8, s4
	v_readfirstlane_b32 s8, v2
	s_cselect_b32 s5, s9, s5
	s_cmp_gt_u32 s8, 23
	s_cselect_b32 s8, -1, 0
	s_cmp_eq_u32 s10, 0
	s_cselect_b32 s8, s8, -1
	s_cmp_lg_u32 s8, 0
	s_cselect_b32 s3, s5, s3
	s_cselect_b32 s2, s4, s2
	v_cmp_eq_u64_e32 vcc, s[2:3], v[0:1]
	s_and_saveexec_b64 s[2:3], vcc
	s_cbranch_execz .LBB24_150
; %bb.144:
	v_mul_hi_u32_u24_e32 v1, 24, v0
	v_mov_b32_e32 v2, s1
	v_sub_co_u32_e32 v0, vcc, s0, v15
	s_mov_b64 s[0:1], 0
	s_nop 0
	v_subb_co_u32_e32 v1, vcc, v2, v1, vcc
	v_cmp_lt_i64_e32 vcc, 11, v[0:1]
	s_mov_b64 s[10:11], 0
	s_mov_b64 s[8:9], 0
	;; [unrolled: 1-line block ×3, first 2 shown]
	s_and_saveexec_b64 s[2:3], vcc
	s_xor_b64 s[2:3], exec, s[2:3]
	s_cbranch_execnz .LBB24_151
; %bb.145:
	s_andn2_saveexec_b64 s[2:3], s[2:3]
	s_cbranch_execnz .LBB24_196
.LBB24_146:
	s_or_b64 exec, exec, s[2:3]
	s_and_saveexec_b64 s[2:3], s[10:11]
	s_cbranch_execnz .LBB24_213
.LBB24_147:
	s_or_b64 exec, exec, s[2:3]
	s_and_saveexec_b64 s[2:3], s[8:9]
	s_cbranch_execnz .LBB24_214
.LBB24_148:
	s_or_b64 exec, exec, s[2:3]
	s_and_saveexec_b64 s[2:3], s[4:5]
	s_xor_b64 s[2:3], exec, s[2:3]
	s_cbranch_execnz .LBB24_215
.LBB24_149:
	s_or_b64 exec, exec, s[2:3]
	s_and_b64 exec, exec, s[0:1]
	s_cbranch_execnz .LBB24_216
.LBB24_150:
	s_endpgm
.LBB24_151:
	v_cmp_lt_i64_e32 vcc, 17, v[0:1]
	s_and_saveexec_b64 s[12:13], vcc
	s_xor_b64 s[12:13], exec, s[12:13]
	s_cbranch_execz .LBB24_173
; %bb.152:
	v_cmp_lt_i64_e32 vcc, 20, v[0:1]
                                        ; implicit-def: $vgpr12
	s_and_saveexec_b64 s[14:15], vcc
	s_xor_b64 s[14:15], exec, s[14:15]
	s_cbranch_execz .LBB24_162
; %bb.153:
	v_cmp_lt_i64_e32 vcc, 21, v[0:1]
	s_mov_b64 s[16:17], 0
                                        ; implicit-def: $vgpr12
	s_and_saveexec_b64 s[4:5], vcc
	s_xor_b64 s[4:5], exec, s[4:5]
	s_cbranch_execz .LBB24_159
; %bb.154:
	v_cmp_lt_i64_e32 vcc, 22, v[0:1]
	s_and_saveexec_b64 s[16:17], vcc
	s_xor_b64 s[16:17], exec, s[16:17]
	s_cbranch_execz .LBB24_156
; %bb.155:
	v_mov_b32_e32 v2, 0
	global_store_short v2, v30, s[6:7]
                                        ; implicit-def: $vgpr29
.LBB24_156:
	s_or_saveexec_b64 s[16:17], s[16:17]
	s_mov_b64 s[18:19], 0
	s_xor_b64 exec, exec, s[16:17]
; %bb.157:
	s_mov_b64 s[18:19], exec
; %bb.158:
	s_or_b64 exec, exec, s[16:17]
	s_and_b64 s[16:17], s[18:19], exec
	v_mov_b32_e32 v12, v29
                                        ; implicit-def: $vgpr13
.LBB24_159:
	s_andn2_saveexec_b64 s[4:5], s[4:5]
; %bb.160:
	s_mov_b64 s[8:9], exec
                                        ; implicit-def: $vgpr12
; %bb.161:
	s_or_b64 exec, exec, s[4:5]
	s_and_b64 s[4:5], s[16:17], exec
	s_and_b64 s[8:9], s[8:9], exec
                                        ; implicit-def: $vgpr27
                                        ; implicit-def: $vgpr14
                                        ; implicit-def: $vgpr24
.LBB24_162:
	s_andn2_saveexec_b64 s[14:15], s[14:15]
	s_cbranch_execz .LBB24_172
; %bb.163:
	v_cmp_lt_i64_e32 vcc, 18, v[0:1]
	s_mov_b64 s[16:17], 0
	s_and_saveexec_b64 s[10:11], vcc
	s_xor_b64 s[10:11], exec, s[10:11]
	s_cbranch_execz .LBB24_169
; %bb.164:
	v_cmp_lt_i64_e32 vcc, 19, v[0:1]
	s_and_saveexec_b64 s[18:19], vcc
	s_xor_b64 s[18:19], exec, s[18:19]
; %bb.165:
	s_mov_b64 s[16:17], exec
                                        ; implicit-def: $vgpr24
; %bb.166:
	s_andn2_saveexec_b64 s[18:19], s[18:19]
	s_cbranch_execz .LBB24_168
; %bb.167:
	v_mov_b32_e32 v2, 0
	global_store_short v2, v24, s[6:7]
                                        ; implicit-def: $vgpr14
.LBB24_168:
	s_or_b64 exec, exec, s[18:19]
	s_and_b64 s[16:17], s[16:17], exec
                                        ; implicit-def: $vgpr27
.LBB24_169:
	s_andn2_saveexec_b64 s[10:11], s[10:11]
	s_cbranch_execz .LBB24_171
; %bb.170:
	v_mov_b32_e32 v2, 0
	global_store_short v2, v27, s[6:7]
                                        ; implicit-def: $vgpr14
.LBB24_171:
	s_or_b64 exec, exec, s[10:11]
	s_and_b64 s[10:11], s[16:17], exec
                                        ; implicit-def: $vgpr12
                                        ; implicit-def: $vgpr13
.LBB24_172:
	s_or_b64 exec, exec, s[14:15]
	s_and_b64 s[4:5], s[4:5], exec
	s_and_b64 s[8:9], s[8:9], exec
	;; [unrolled: 1-line block ×3, first 2 shown]
                                        ; implicit-def: $vgpr21
                                        ; implicit-def: $vgpr16
                                        ; implicit-def: $vgpr17
                                        ; implicit-def: $vgpr25
                                        ; implicit-def: $vgpr28
.LBB24_173:
	s_andn2_saveexec_b64 s[12:13], s[12:13]
	s_cbranch_execz .LBB24_195
; %bb.174:
	v_cmp_lt_i64_e32 vcc, 14, v[0:1]
	s_mov_b64 s[14:15], s[4:5]
	s_and_saveexec_b64 s[16:17], vcc
	s_xor_b64 s[16:17], exec, s[16:17]
	s_cbranch_execz .LBB24_184
; %bb.175:
	v_cmp_lt_i64_e32 vcc, 15, v[0:1]
	s_and_saveexec_b64 s[14:15], vcc
	s_xor_b64 s[14:15], exec, s[14:15]
	s_cbranch_execz .LBB24_181
; %bb.176:
	v_cmp_lt_i64_e32 vcc, 16, v[0:1]
	s_and_saveexec_b64 s[18:19], vcc
	s_xor_b64 s[18:19], exec, s[18:19]
	s_cbranch_execz .LBB24_178
; %bb.177:
	v_mov_b32_e32 v2, 0
	global_store_short v2, v28, s[6:7]
                                        ; implicit-def: $vgpr25
.LBB24_178:
	s_andn2_saveexec_b64 s[18:19], s[18:19]
	s_cbranch_execz .LBB24_180
; %bb.179:
	v_mov_b32_e32 v2, 0
	global_store_short v2, v25, s[6:7]
.LBB24_180:
	s_or_b64 exec, exec, s[18:19]
                                        ; implicit-def: $vgpr12
.LBB24_181:
	s_or_saveexec_b64 s[14:15], s[14:15]
	s_mov_b64 s[18:19], s[4:5]
	s_xor_b64 exec, exec, s[14:15]
; %bb.182:
	s_or_b64 s[18:19], s[4:5], exec
; %bb.183:
	s_or_b64 exec, exec, s[14:15]
	s_andn2_b64 s[14:15], s[4:5], exec
	s_and_b64 s[18:19], s[18:19], exec
	s_or_b64 s[14:15], s[14:15], s[18:19]
                                        ; implicit-def: $vgpr21
                                        ; implicit-def: $vgpr16
                                        ; implicit-def: $vgpr17
.LBB24_184:
	s_or_saveexec_b64 s[16:17], s[16:17]
	s_mov_b64 s[18:19], s[8:9]
                                        ; implicit-def: $vgpr13
	s_xor_b64 exec, exec, s[16:17]
	s_cbranch_execz .LBB24_194
; %bb.185:
	v_cmp_lt_i64_e32 vcc, 12, v[0:1]
	s_mov_b64 s[20:21], s[8:9]
	s_mov_b64 s[22:23], s[14:15]
                                        ; implicit-def: $vgpr12
                                        ; implicit-def: $vgpr13
	s_and_saveexec_b64 s[18:19], vcc
	s_xor_b64 s[18:19], exec, s[18:19]
	s_cbranch_execz .LBB24_191
; %bb.186:
	v_cmp_lt_i64_e32 vcc, 13, v[0:1]
	s_mov_b64 s[20:21], s[14:15]
	s_and_saveexec_b64 s[22:23], vcc
	s_xor_b64 s[22:23], exec, s[22:23]
; %bb.187:
	s_or_b64 s[20:21], s[14:15], exec
                                        ; implicit-def: $vgpr16
; %bb.188:
	s_or_saveexec_b64 s[22:23], s[22:23]
	s_mov_b64 s[24:25], s[8:9]
	s_xor_b64 exec, exec, s[22:23]
; %bb.189:
	s_or_b64 s[24:25], s[8:9], exec
                                        ; implicit-def: $vgpr17
; %bb.190:
	s_or_b64 exec, exec, s[22:23]
	s_andn2_b64 s[22:23], s[14:15], exec
	s_and_b64 s[20:21], s[20:21], exec
	s_or_b64 s[22:23], s[22:23], s[20:21]
	s_andn2_b64 s[20:21], s[8:9], exec
	s_and_b64 s[24:25], s[24:25], exec
	s_or_b64 s[20:21], s[20:21], s[24:25]
	v_mov_b32_e32 v12, v17
	v_mov_b32_e32 v13, v16
                                        ; implicit-def: $vgpr21
.LBB24_191:
	s_andn2_saveexec_b64 s[18:19], s[18:19]
; %bb.192:
	s_or_b64 s[20:21], s[20:21], exec
                                        ; implicit-def: $vgpr12
	v_mov_b32_e32 v13, v21
; %bb.193:
	s_or_b64 exec, exec, s[18:19]
	s_andn2_b64 s[14:15], s[14:15], exec
	s_and_b64 s[18:19], s[22:23], exec
	s_or_b64 s[14:15], s[14:15], s[18:19]
	s_andn2_b64 s[18:19], s[8:9], exec
	s_and_b64 s[20:21], s[20:21], exec
	s_or_b64 s[18:19], s[18:19], s[20:21]
.LBB24_194:
	s_or_b64 exec, exec, s[16:17]
	s_andn2_b64 s[4:5], s[4:5], exec
	s_and_b64 s[14:15], s[14:15], exec
	s_or_b64 s[4:5], s[4:5], s[14:15]
	s_andn2_b64 s[8:9], s[8:9], exec
	s_and_b64 s[14:15], s[18:19], exec
	s_or_b64 s[8:9], s[8:9], s[14:15]
                                        ; implicit-def: $vgpr14
.LBB24_195:
	s_or_b64 exec, exec, s[12:13]
	s_and_b64 s[4:5], s[4:5], exec
	s_and_b64 s[8:9], s[8:9], exec
	;; [unrolled: 1-line block ×3, first 2 shown]
                                        ; implicit-def: $vgpr20
                                        ; implicit-def: $vgpr18
                                        ; implicit-def: $vgpr19
                                        ; implicit-def: $vgpr26
                                        ; implicit-def: $vgpr23
                                        ; implicit-def: $vgpr22
	s_andn2_saveexec_b64 s[2:3], s[2:3]
	s_cbranch_execz .LBB24_146
.LBB24_196:
	v_cmp_lt_i64_e32 vcc, 5, v[0:1]
	s_mov_b64 s[14:15], -1
	s_mov_b64 s[12:13], s[10:11]
	s_mov_b64 s[16:17], s[8:9]
	;; [unrolled: 1-line block ×3, first 2 shown]
                                        ; implicit-def: $vgpr12
                                        ; implicit-def: $vgpr13
                                        ; implicit-def: $vgpr14
	s_and_saveexec_b64 s[0:1], vcc
	s_cbranch_execz .LBB24_212
; %bb.197:
	v_cmp_lt_i64_e32 vcc, 8, v[0:1]
	s_mov_b64 s[12:13], s[10:11]
                                        ; implicit-def: $vgpr14
	s_and_saveexec_b64 s[14:15], vcc
	s_xor_b64 s[14:15], exec, s[14:15]
	s_cbranch_execz .LBB24_207
; %bb.198:
	v_cmp_lt_i64_e32 vcc, 9, v[0:1]
	s_and_saveexec_b64 s[12:13], vcc
	s_xor_b64 s[12:13], exec, s[12:13]
	s_cbranch_execz .LBB24_204
; %bb.199:
	v_cmp_lt_i64_e32 vcc, 10, v[0:1]
	s_and_saveexec_b64 s[16:17], vcc
	s_xor_b64 s[16:17], exec, s[16:17]
; %bb.200:
                                        ; implicit-def: $vgpr23
; %bb.201:
	s_andn2_saveexec_b64 s[16:17], s[16:17]
; %bb.202:
	v_mov_b32_e32 v22, v23
; %bb.203:
	s_or_b64 exec, exec, s[16:17]
                                        ; implicit-def: $vgpr26
.LBB24_204:
	s_andn2_saveexec_b64 s[12:13], s[12:13]
; %bb.205:
	v_mov_b32_e32 v22, v26
; %bb.206:
	s_or_b64 exec, exec, s[12:13]
	s_or_b64 s[12:13], s[10:11], exec
	v_mov_b32_e32 v14, v22
                                        ; implicit-def: $vgpr20
                                        ; implicit-def: $vgpr18
                                        ; implicit-def: $vgpr19
.LBB24_207:
	s_or_saveexec_b64 s[14:15], s[14:15]
	s_mov_b64 s[16:17], s[8:9]
	s_mov_b64 s[20:21], s[4:5]
                                        ; implicit-def: $vgpr12
                                        ; implicit-def: $vgpr13
	s_xor_b64 exec, exec, s[14:15]
	s_cbranch_execz .LBB24_211
; %bb.208:
	v_cmp_lt_i64_e32 vcc, 6, v[0:1]
	s_mov_b64 s[20:21], -1
	s_mov_b64 s[18:19], s[12:13]
	s_mov_b64 s[16:17], s[8:9]
	s_and_saveexec_b64 s[22:23], vcc
; %bb.209:
	v_cmp_lt_i64_e32 vcc, 7, v[0:1]
	s_andn2_b64 s[18:19], s[12:13], exec
	s_and_b64 s[24:25], vcc, exec
	s_xor_b64 s[20:21], exec, -1
	s_or_b64 s[16:17], s[8:9], exec
	s_or_b64 s[18:19], s[18:19], s[24:25]
                                        ; implicit-def: $vgpr20
; %bb.210:
	s_or_b64 exec, exec, s[22:23]
	s_andn2_b64 s[22:23], s[4:5], exec
	s_and_b64 s[20:21], s[20:21], exec
	s_or_b64 s[20:21], s[22:23], s[20:21]
	s_andn2_b64 s[22:23], s[8:9], exec
	s_and_b64 s[16:17], s[16:17], exec
	s_andn2_b64 s[12:13], s[12:13], exec
	s_and_b64 s[18:19], s[18:19], exec
	s_or_b64 s[16:17], s[22:23], s[16:17]
	s_or_b64 s[12:13], s[12:13], s[18:19]
	v_mov_b32_e32 v12, v20
	v_mov_b32_e32 v13, v18
	;; [unrolled: 1-line block ×3, first 2 shown]
.LBB24_211:
	s_or_b64 exec, exec, s[14:15]
	s_andn2_b64 s[18:19], s[4:5], exec
	s_and_b64 s[20:21], s[20:21], exec
	s_or_b64 s[18:19], s[18:19], s[20:21]
	s_andn2_b64 s[20:21], s[8:9], exec
	s_and_b64 s[16:17], s[16:17], exec
	s_or_b64 s[16:17], s[20:21], s[16:17]
	s_andn2_b64 s[20:21], s[10:11], exec
	s_and_b64 s[12:13], s[12:13], exec
	s_xor_b64 s[14:15], exec, -1
	s_or_b64 s[12:13], s[20:21], s[12:13]
.LBB24_212:
	s_or_b64 exec, exec, s[0:1]
	s_and_b64 s[0:1], s[14:15], exec
	s_andn2_b64 s[4:5], s[4:5], exec
	s_and_b64 s[14:15], s[18:19], exec
	s_or_b64 s[4:5], s[4:5], s[14:15]
	s_andn2_b64 s[8:9], s[8:9], exec
	s_and_b64 s[14:15], s[16:17], exec
	s_andn2_b64 s[10:11], s[10:11], exec
	s_and_b64 s[12:13], s[12:13], exec
	s_or_b64 s[8:9], s[8:9], s[14:15]
	s_or_b64 s[10:11], s[10:11], s[12:13]
	s_or_b64 exec, exec, s[2:3]
	s_and_saveexec_b64 s[2:3], s[10:11]
	s_cbranch_execz .LBB24_147
.LBB24_213:
	v_mov_b32_e32 v2, 0
	s_andn2_b64 s[8:9], s[8:9], exec
	global_store_short v2, v14, s[6:7]
                                        ; implicit-def: $vgpr12
                                        ; implicit-def: $vgpr13
	s_or_b64 exec, exec, s[2:3]
	s_and_saveexec_b64 s[2:3], s[8:9]
	s_cbranch_execz .LBB24_148
.LBB24_214:
	v_mov_b32_e32 v2, 0
	global_store_short v2, v13, s[6:7]
                                        ; implicit-def: $vgpr12
	s_or_b64 exec, exec, s[2:3]
	s_and_saveexec_b64 s[2:3], s[4:5]
	s_xor_b64 s[2:3], exec, s[2:3]
	s_cbranch_execz .LBB24_149
.LBB24_215:
	v_mov_b32_e32 v2, 0
	global_store_short v2, v12, s[6:7]
	s_or_b64 exec, exec, s[2:3]
	s_and_b64 exec, exec, s[0:1]
	s_cbranch_execz .LBB24_150
.LBB24_216:
	v_cmp_lt_i64_e32 vcc, 2, v[0:1]
	s_and_saveexec_b64 s[0:1], vcc
	s_xor_b64 s[0:1], exec, s[0:1]
	s_cbranch_execz .LBB24_226
; %bb.217:
	v_cmp_lt_i64_e32 vcc, 3, v[0:1]
	s_and_saveexec_b64 s[2:3], vcc
	s_xor_b64 s[2:3], exec, s[2:3]
	s_cbranch_execz .LBB24_223
; %bb.218:
	;; [unrolled: 5-line block ×3, first 2 shown]
	v_mov_b32_e32 v0, 0
	global_store_short v0, v11, s[6:7]
                                        ; implicit-def: $vgpr8
.LBB24_220:
	s_andn2_saveexec_b64 s[4:5], s[4:5]
	s_cbranch_execz .LBB24_222
; %bb.221:
	v_mov_b32_e32 v0, 0
	global_store_short v0, v8, s[6:7]
.LBB24_222:
	s_or_b64 exec, exec, s[4:5]
                                        ; implicit-def: $vgpr10
.LBB24_223:
	s_andn2_saveexec_b64 s[2:3], s[2:3]
	s_cbranch_execz .LBB24_225
; %bb.224:
	v_mov_b32_e32 v0, 0
	global_store_short v0, v10, s[6:7]
.LBB24_225:
	s_or_b64 exec, exec, s[2:3]
                                        ; implicit-def: $vgpr0_vgpr1
                                        ; implicit-def: $vgpr9
                                        ; implicit-def: $vgpr6
                                        ; implicit-def: $vgpr7
.LBB24_226:
	s_andn2_saveexec_b64 s[0:1], s[0:1]
	s_cbranch_execz .LBB24_150
; %bb.227:
	v_cmp_lt_i64_e32 vcc, 1, v[0:1]
	s_and_saveexec_b64 s[0:1], vcc
	s_xor_b64 s[0:1], exec, s[0:1]
	s_cbranch_execz .LBB24_229
; %bb.228:
	v_mov_b32_e32 v0, 0
	global_store_short v0, v9, s[6:7]
                                        ; implicit-def: $vgpr6
                                        ; implicit-def: $vgpr0_vgpr1
                                        ; implicit-def: $vgpr7
.LBB24_229:
	s_andn2_saveexec_b64 s[0:1], s[0:1]
	s_cbranch_execz .LBB24_150
; %bb.230:
	v_cmp_ne_u64_e32 vcc, 1, v[0:1]
	s_and_saveexec_b64 s[0:1], vcc
	s_xor_b64 s[0:1], exec, s[0:1]
	s_cbranch_execz .LBB24_232
; %bb.231:
	v_mov_b32_e32 v0, 0
	global_store_short v0, v7, s[6:7]
                                        ; implicit-def: $vgpr6
.LBB24_232:
	s_andn2_saveexec_b64 s[0:1], s[0:1]
	s_cbranch_execz .LBB24_150
; %bb.233:
	v_mov_b32_e32 v0, 0
	global_store_short v0, v6, s[6:7]
	s_endpgm
	.section	.rodata,"a",@progbits
	.p2align	6, 0x0
	.amdhsa_kernel _ZN7rocprim6detail20lookback_scan_kernelILNS0_25lookback_scan_determinismE0ELb0ENS0_19wrapped_scan_configINS_14default_configEsEEN6hipcub22TransformInputIteratorIsNS6_6CastOpIsEEPslEEPfNS6_3MaxEssNS0_19lookback_scan_stateIsLb0ELb1EEEEEvT2_T3_mT5_T4_T7_jPT6_SM_bb
		.amdhsa_group_segment_fixed_size 12288
		.amdhsa_private_segment_fixed_size 0
		.amdhsa_kernarg_size 76
		.amdhsa_user_sgpr_count 2
		.amdhsa_user_sgpr_dispatch_ptr 0
		.amdhsa_user_sgpr_queue_ptr 0
		.amdhsa_user_sgpr_kernarg_segment_ptr 1
		.amdhsa_user_sgpr_dispatch_id 0
		.amdhsa_user_sgpr_kernarg_preload_length 0
		.amdhsa_user_sgpr_kernarg_preload_offset 0
		.amdhsa_user_sgpr_private_segment_size 0
		.amdhsa_uses_dynamic_stack 0
		.amdhsa_enable_private_segment 0
		.amdhsa_system_sgpr_workgroup_id_x 1
		.amdhsa_system_sgpr_workgroup_id_y 0
		.amdhsa_system_sgpr_workgroup_id_z 0
		.amdhsa_system_sgpr_workgroup_info 0
		.amdhsa_system_vgpr_workitem_id 0
		.amdhsa_next_free_vgpr 57
		.amdhsa_next_free_sgpr 26
		.amdhsa_accum_offset 60
		.amdhsa_reserve_vcc 1
		.amdhsa_float_round_mode_32 0
		.amdhsa_float_round_mode_16_64 0
		.amdhsa_float_denorm_mode_32 3
		.amdhsa_float_denorm_mode_16_64 3
		.amdhsa_dx10_clamp 1
		.amdhsa_ieee_mode 1
		.amdhsa_fp16_overflow 0
		.amdhsa_tg_split 0
		.amdhsa_exception_fp_ieee_invalid_op 0
		.amdhsa_exception_fp_denorm_src 0
		.amdhsa_exception_fp_ieee_div_zero 0
		.amdhsa_exception_fp_ieee_overflow 0
		.amdhsa_exception_fp_ieee_underflow 0
		.amdhsa_exception_fp_ieee_inexact 0
		.amdhsa_exception_int_div_zero 0
	.end_amdhsa_kernel
	.section	.text._ZN7rocprim6detail20lookback_scan_kernelILNS0_25lookback_scan_determinismE0ELb0ENS0_19wrapped_scan_configINS_14default_configEsEEN6hipcub22TransformInputIteratorIsNS6_6CastOpIsEEPslEEPfNS6_3MaxEssNS0_19lookback_scan_stateIsLb0ELb1EEEEEvT2_T3_mT5_T4_T7_jPT6_SM_bb,"axG",@progbits,_ZN7rocprim6detail20lookback_scan_kernelILNS0_25lookback_scan_determinismE0ELb0ENS0_19wrapped_scan_configINS_14default_configEsEEN6hipcub22TransformInputIteratorIsNS6_6CastOpIsEEPslEEPfNS6_3MaxEssNS0_19lookback_scan_stateIsLb0ELb1EEEEEvT2_T3_mT5_T4_T7_jPT6_SM_bb,comdat
.Lfunc_end24:
	.size	_ZN7rocprim6detail20lookback_scan_kernelILNS0_25lookback_scan_determinismE0ELb0ENS0_19wrapped_scan_configINS_14default_configEsEEN6hipcub22TransformInputIteratorIsNS6_6CastOpIsEEPslEEPfNS6_3MaxEssNS0_19lookback_scan_stateIsLb0ELb1EEEEEvT2_T3_mT5_T4_T7_jPT6_SM_bb, .Lfunc_end24-_ZN7rocprim6detail20lookback_scan_kernelILNS0_25lookback_scan_determinismE0ELb0ENS0_19wrapped_scan_configINS_14default_configEsEEN6hipcub22TransformInputIteratorIsNS6_6CastOpIsEEPslEEPfNS6_3MaxEssNS0_19lookback_scan_stateIsLb0ELb1EEEEEvT2_T3_mT5_T4_T7_jPT6_SM_bb
                                        ; -- End function
	.section	.AMDGPU.csdata,"",@progbits
; Kernel info:
; codeLenInByte = 8904
; NumSgprs: 32
; NumVgprs: 57
; NumAgprs: 0
; TotalNumVgprs: 57
; ScratchSize: 0
; MemoryBound: 0
; FloatMode: 240
; IeeeMode: 1
; LDSByteSize: 12288 bytes/workgroup (compile time only)
; SGPRBlocks: 3
; VGPRBlocks: 7
; NumSGPRsForWavesPerEU: 32
; NumVGPRsForWavesPerEU: 57
; AccumOffset: 60
; Occupancy: 5
; WaveLimiterHint : 1
; COMPUTE_PGM_RSRC2:SCRATCH_EN: 0
; COMPUTE_PGM_RSRC2:USER_SGPR: 2
; COMPUTE_PGM_RSRC2:TRAP_HANDLER: 0
; COMPUTE_PGM_RSRC2:TGID_X_EN: 1
; COMPUTE_PGM_RSRC2:TGID_Y_EN: 0
; COMPUTE_PGM_RSRC2:TGID_Z_EN: 0
; COMPUTE_PGM_RSRC2:TIDIG_COMP_CNT: 0
; COMPUTE_PGM_RSRC3_GFX90A:ACCUM_OFFSET: 14
; COMPUTE_PGM_RSRC3_GFX90A:TG_SPLIT: 0
	.section	.text._ZN7rocprim6detail16transform_kernelINS0_24wrapped_transform_configINS_14default_configEsEEsPsS5_NS_8identityIsEEEEvT1_mT2_T3_,"axG",@progbits,_ZN7rocprim6detail16transform_kernelINS0_24wrapped_transform_configINS_14default_configEsEEsPsS5_NS_8identityIsEEEEvT1_mT2_T3_,comdat
	.protected	_ZN7rocprim6detail16transform_kernelINS0_24wrapped_transform_configINS_14default_configEsEEsPsS5_NS_8identityIsEEEEvT1_mT2_T3_ ; -- Begin function _ZN7rocprim6detail16transform_kernelINS0_24wrapped_transform_configINS_14default_configEsEEsPsS5_NS_8identityIsEEEEvT1_mT2_T3_
	.globl	_ZN7rocprim6detail16transform_kernelINS0_24wrapped_transform_configINS_14default_configEsEEsPsS5_NS_8identityIsEEEEvT1_mT2_T3_
	.p2align	8
	.type	_ZN7rocprim6detail16transform_kernelINS0_24wrapped_transform_configINS_14default_configEsEEsPsS5_NS_8identityIsEEEEvT1_mT2_T3_,@function
_ZN7rocprim6detail16transform_kernelINS0_24wrapped_transform_configINS_14default_configEsEEsPsS5_NS_8identityIsEEEEvT1_mT2_T3_: ; @_ZN7rocprim6detail16transform_kernelINS0_24wrapped_transform_configINS_14default_configEsEEsPsS5_NS_8identityIsEEEEvT1_mT2_T3_
; %bb.0:
	s_load_dword s3, s[0:1], 0x20
	s_load_dwordx4 s[4:7], s[0:1], 0x0
	s_load_dwordx2 s[14:15], s[0:1], 0x10
	s_lshl_b32 s0, s2, 11
	s_mov_b32 s1, 0
	s_waitcnt lgkmcnt(0)
	s_add_i32 s3, s3, -1
	s_lshl_b64 s[16:17], s[0:1], 1
	s_add_u32 s4, s4, s16
	s_addc_u32 s5, s5, s17
	v_mov_b32_e32 v7, 0
	v_lshlrev_b32_e32 v6, 1, v0
	s_cmp_lg_u32 s2, s3
	v_lshl_add_u64 v[8:9], s[4:5], 0, v[6:7]
	s_cbranch_scc0 .LBB25_2
; %bb.1:
	global_load_ushort v2, v[8:9], off
	global_load_ushort v3, v[8:9], off offset:512
	global_load_ushort v4, v[8:9], off offset:1024
	;; [unrolled: 1-line block ×7, first 2 shown]
	s_add_u32 s4, s14, s16
	s_addc_u32 s5, s15, s17
	s_mov_b64 s[18:19], -1
	s_waitcnt vmcnt(7)
	global_store_short v6, v2, s[4:5]
	s_waitcnt vmcnt(7)
	global_store_short v6, v3, s[4:5] offset:512
	s_waitcnt vmcnt(7)
	global_store_short v6, v4, s[4:5] offset:1024
	;; [unrolled: 2-line block ×6, first 2 shown]
	s_cbranch_execz .LBB25_3
	s_branch .LBB25_32
.LBB25_2:
	s_mov_b64 s[18:19], 0
                                        ; implicit-def: $vgpr1
.LBB25_3:
	s_sub_i32 s20, s6, s0
	v_cmp_gt_u32_e32 vcc, s20, v0
                                        ; implicit-def: $vgpr2_vgpr3_vgpr4_vgpr5
	s_and_saveexec_b64 s[0:1], vcc
	s_cbranch_execz .LBB25_5
; %bb.4:
	global_load_ushort v2, v[8:9], off
.LBB25_5:
	s_or_b64 exec, exec, s[0:1]
	s_waitcnt vmcnt(7)
	v_or_b32_e32 v1, 0x100, v0
	v_cmp_gt_u32_e64 s[0:1], s20, v1
	s_and_saveexec_b64 s[2:3], s[0:1]
	s_cbranch_execz .LBB25_7
; %bb.6:
	global_load_ushort v1, v[8:9], off offset:512
	s_mov_b32 s4, 0x5040100
	s_waitcnt vmcnt(0)
	v_perm_b32 v2, v1, v2, s4
.LBB25_7:
	s_or_b64 exec, exec, s[2:3]
	v_or_b32_e32 v1, 0x200, v0
	v_cmp_gt_u32_e64 s[2:3], s20, v1
	s_and_saveexec_b64 s[4:5], s[2:3]
	s_cbranch_execz .LBB25_9
; %bb.8:
	global_load_ushort v1, v[8:9], off offset:1024
	s_mov_b32 s6, 0xffff
	s_waitcnt vmcnt(0)
	v_bfi_b32 v3, s6, v1, v3
.LBB25_9:
	s_or_b64 exec, exec, s[4:5]
	v_or_b32_e32 v1, 0x300, v0
	v_cmp_gt_u32_e64 s[4:5], s20, v1
	s_and_saveexec_b64 s[6:7], s[4:5]
	s_cbranch_execz .LBB25_11
; %bb.10:
	global_load_ushort v1, v[8:9], off offset:1536
	s_mov_b32 s8, 0x5040100
	s_waitcnt vmcnt(0)
	v_perm_b32 v3, v1, v3, s8
.LBB25_11:
	s_or_b64 exec, exec, s[6:7]
	v_or_b32_e32 v1, 0x400, v0
	v_cmp_gt_u32_e64 s[6:7], s20, v1
	s_and_saveexec_b64 s[8:9], s[6:7]
	s_cbranch_execz .LBB25_13
; %bb.12:
	global_load_ushort v1, v[8:9], off offset:2048
	s_mov_b32 s10, 0xffff
	s_waitcnt vmcnt(0)
	v_bfi_b32 v4, s10, v1, v4
.LBB25_13:
	s_or_b64 exec, exec, s[8:9]
	;; [unrolled: 22-line block ×3, first 2 shown]
	v_or_b32_e32 v0, 0x700, v0
	v_cmp_gt_u32_e64 s[12:13], s20, v0
	s_and_saveexec_b64 s[20:21], s[12:13]
	s_cbranch_execz .LBB25_19
; %bb.18:
	global_load_ushort v0, v[8:9], off offset:3584
	s_mov_b32 s22, 0x5040100
	s_waitcnt vmcnt(0)
	v_perm_b32 v5, v0, v5, s22
.LBB25_19:
	s_or_b64 exec, exec, s[20:21]
	s_add_u32 s20, s14, s16
	s_addc_u32 s21, s15, s17
	v_mov_b32_e32 v7, 0
	v_lshl_add_u64 v[0:1], s[20:21], 0, v[6:7]
	s_and_saveexec_b64 s[20:21], vcc
	s_cbranch_execnz .LBB25_35
; %bb.20:
	s_or_b64 exec, exec, s[20:21]
	s_and_saveexec_b64 s[20:21], s[0:1]
	s_cbranch_execnz .LBB25_36
.LBB25_21:
	s_or_b64 exec, exec, s[20:21]
	s_mov_b32 s20, 0xffff
	s_and_saveexec_b64 s[0:1], s[2:3]
	s_cbranch_execz .LBB25_23
.LBB25_22:
	global_store_short v[0:1], v3, off offset:1024
.LBB25_23:
	s_or_b64 exec, exec, s[0:1]
	s_waitcnt vmcnt(0)
	v_bfi_b32 v2, s20, v3, v3
	v_cndmask_b32_e64 v2, v2, v3, s[4:5]
	s_and_saveexec_b64 s[0:1], s[4:5]
	s_cbranch_execz .LBB25_25
; %bb.24:
	global_store_short_d16_hi v[0:1], v2, off offset:1536
.LBB25_25:
	s_or_b64 exec, exec, s[0:1]
	s_mov_b32 s2, 0xffff
	v_cndmask_b32_e64 v2, v4, v4, s[6:7]
	s_and_saveexec_b64 s[0:1], s[6:7]
	s_cbranch_execz .LBB25_27
; %bb.26:
	global_store_short v[0:1], v2, off offset:2048
.LBB25_27:
	s_or_b64 exec, exec, s[0:1]
	v_bfi_b32 v2, s2, v2, v4
	v_cndmask_b32_e64 v2, v2, v4, s[8:9]
	s_and_saveexec_b64 s[0:1], s[8:9]
	s_cbranch_execnz .LBB25_37
; %bb.28:
	s_or_b64 exec, exec, s[0:1]
	s_and_saveexec_b64 s[0:1], s[10:11]
	s_cbranch_execnz .LBB25_38
.LBB25_29:
	s_or_b64 exec, exec, s[0:1]
                                        ; implicit-def: $vgpr1
	s_and_saveexec_b64 s[0:1], s[12:13]
.LBB25_30:
	v_cndmask_b32_e64 v0, v5, v5, s[12:13]
	v_lshrrev_b32_e32 v1, 16, v0
	s_or_b64 s[18:19], s[18:19], exec
.LBB25_31:
	s_or_b64 exec, exec, s[0:1]
.LBB25_32:
	s_and_saveexec_b64 s[0:1], s[18:19]
	s_cbranch_execnz .LBB25_34
; %bb.33:
	s_endpgm
.LBB25_34:
	s_add_u32 s0, s14, s16
	s_addc_u32 s1, s15, s17
	s_waitcnt vmcnt(7)
	global_store_short v6, v1, s[0:1] offset:3584
	s_endpgm
.LBB25_35:
	s_waitcnt vmcnt(0)
	global_store_short v[0:1], v2, off
	s_or_b64 exec, exec, s[20:21]
	s_and_saveexec_b64 s[20:21], s[0:1]
	s_cbranch_execz .LBB25_21
.LBB25_36:
	s_waitcnt vmcnt(0)
	global_store_short_d16_hi v[0:1], v2, off offset:512
	s_or_b64 exec, exec, s[20:21]
	s_mov_b32 s20, 0xffff
	s_and_saveexec_b64 s[0:1], s[2:3]
	s_cbranch_execnz .LBB25_22
	s_branch .LBB25_23
.LBB25_37:
	global_store_short_d16_hi v[0:1], v2, off offset:2560
	s_or_b64 exec, exec, s[0:1]
	s_and_saveexec_b64 s[0:1], s[10:11]
	s_cbranch_execz .LBB25_29
.LBB25_38:
	v_cndmask_b32_e64 v2, v5, v5, s[10:11]
	global_store_short v[0:1], v2, off offset:3072
	s_or_b64 exec, exec, s[0:1]
                                        ; implicit-def: $vgpr1
	s_and_saveexec_b64 s[0:1], s[12:13]
	s_cbranch_execnz .LBB25_30
	s_branch .LBB25_31
	.section	.rodata,"a",@progbits
	.p2align	6, 0x0
	.amdhsa_kernel _ZN7rocprim6detail16transform_kernelINS0_24wrapped_transform_configINS_14default_configEsEEsPsS5_NS_8identityIsEEEEvT1_mT2_T3_
		.amdhsa_group_segment_fixed_size 0
		.amdhsa_private_segment_fixed_size 0
		.amdhsa_kernarg_size 288
		.amdhsa_user_sgpr_count 2
		.amdhsa_user_sgpr_dispatch_ptr 0
		.amdhsa_user_sgpr_queue_ptr 0
		.amdhsa_user_sgpr_kernarg_segment_ptr 1
		.amdhsa_user_sgpr_dispatch_id 0
		.amdhsa_user_sgpr_kernarg_preload_length 0
		.amdhsa_user_sgpr_kernarg_preload_offset 0
		.amdhsa_user_sgpr_private_segment_size 0
		.amdhsa_uses_dynamic_stack 0
		.amdhsa_enable_private_segment 0
		.amdhsa_system_sgpr_workgroup_id_x 1
		.amdhsa_system_sgpr_workgroup_id_y 0
		.amdhsa_system_sgpr_workgroup_id_z 0
		.amdhsa_system_sgpr_workgroup_info 0
		.amdhsa_system_vgpr_workitem_id 0
		.amdhsa_next_free_vgpr 12
		.amdhsa_next_free_sgpr 23
		.amdhsa_accum_offset 12
		.amdhsa_reserve_vcc 1
		.amdhsa_float_round_mode_32 0
		.amdhsa_float_round_mode_16_64 0
		.amdhsa_float_denorm_mode_32 3
		.amdhsa_float_denorm_mode_16_64 3
		.amdhsa_dx10_clamp 1
		.amdhsa_ieee_mode 1
		.amdhsa_fp16_overflow 0
		.amdhsa_tg_split 0
		.amdhsa_exception_fp_ieee_invalid_op 0
		.amdhsa_exception_fp_denorm_src 0
		.amdhsa_exception_fp_ieee_div_zero 0
		.amdhsa_exception_fp_ieee_overflow 0
		.amdhsa_exception_fp_ieee_underflow 0
		.amdhsa_exception_fp_ieee_inexact 0
		.amdhsa_exception_int_div_zero 0
	.end_amdhsa_kernel
	.section	.text._ZN7rocprim6detail16transform_kernelINS0_24wrapped_transform_configINS_14default_configEsEEsPsS5_NS_8identityIsEEEEvT1_mT2_T3_,"axG",@progbits,_ZN7rocprim6detail16transform_kernelINS0_24wrapped_transform_configINS_14default_configEsEEsPsS5_NS_8identityIsEEEEvT1_mT2_T3_,comdat
.Lfunc_end25:
	.size	_ZN7rocprim6detail16transform_kernelINS0_24wrapped_transform_configINS_14default_configEsEEsPsS5_NS_8identityIsEEEEvT1_mT2_T3_, .Lfunc_end25-_ZN7rocprim6detail16transform_kernelINS0_24wrapped_transform_configINS_14default_configEsEEsPsS5_NS_8identityIsEEEEvT1_mT2_T3_
                                        ; -- End function
	.section	.AMDGPU.csdata,"",@progbits
; Kernel info:
; codeLenInByte = 1032
; NumSgprs: 29
; NumVgprs: 12
; NumAgprs: 0
; TotalNumVgprs: 12
; ScratchSize: 0
; MemoryBound: 0
; FloatMode: 240
; IeeeMode: 1
; LDSByteSize: 0 bytes/workgroup (compile time only)
; SGPRBlocks: 3
; VGPRBlocks: 1
; NumSGPRsForWavesPerEU: 29
; NumVGPRsForWavesPerEU: 12
; AccumOffset: 12
; Occupancy: 8
; WaveLimiterHint : 1
; COMPUTE_PGM_RSRC2:SCRATCH_EN: 0
; COMPUTE_PGM_RSRC2:USER_SGPR: 2
; COMPUTE_PGM_RSRC2:TRAP_HANDLER: 0
; COMPUTE_PGM_RSRC2:TGID_X_EN: 1
; COMPUTE_PGM_RSRC2:TGID_Y_EN: 0
; COMPUTE_PGM_RSRC2:TGID_Z_EN: 0
; COMPUTE_PGM_RSRC2:TIDIG_COMP_CNT: 0
; COMPUTE_PGM_RSRC3_GFX90A:ACCUM_OFFSET: 2
; COMPUTE_PGM_RSRC3_GFX90A:TG_SPLIT: 0
	.section	.text._ZN7rocprim6detail18single_scan_kernelILb0ENS0_19wrapped_scan_configINS_14default_configEsEEN6hipcub22TransformInputIteratorIsNS5_6CastOpIsEEPslEEPfNS5_3MaxEssEEvT1_mT4_T2_T3_,"axG",@progbits,_ZN7rocprim6detail18single_scan_kernelILb0ENS0_19wrapped_scan_configINS_14default_configEsEEN6hipcub22TransformInputIteratorIsNS5_6CastOpIsEEPslEEPfNS5_3MaxEssEEvT1_mT4_T2_T3_,comdat
	.protected	_ZN7rocprim6detail18single_scan_kernelILb0ENS0_19wrapped_scan_configINS_14default_configEsEEN6hipcub22TransformInputIteratorIsNS5_6CastOpIsEEPslEEPfNS5_3MaxEssEEvT1_mT4_T2_T3_ ; -- Begin function _ZN7rocprim6detail18single_scan_kernelILb0ENS0_19wrapped_scan_configINS_14default_configEsEEN6hipcub22TransformInputIteratorIsNS5_6CastOpIsEEPslEEPfNS5_3MaxEssEEvT1_mT4_T2_T3_
	.globl	_ZN7rocprim6detail18single_scan_kernelILb0ENS0_19wrapped_scan_configINS_14default_configEsEEN6hipcub22TransformInputIteratorIsNS5_6CastOpIsEEPslEEPfNS5_3MaxEssEEvT1_mT4_T2_T3_
	.p2align	8
	.type	_ZN7rocprim6detail18single_scan_kernelILb0ENS0_19wrapped_scan_configINS_14default_configEsEEN6hipcub22TransformInputIteratorIsNS5_6CastOpIsEEPslEEPfNS5_3MaxEssEEvT1_mT4_T2_T3_,@function
_ZN7rocprim6detail18single_scan_kernelILb0ENS0_19wrapped_scan_configINS_14default_configEsEEN6hipcub22TransformInputIteratorIsNS5_6CastOpIsEEPslEEPfNS5_3MaxEssEEvT1_mT4_T2_T3_: ; @_ZN7rocprim6detail18single_scan_kernelILb0ENS0_19wrapped_scan_configINS_14default_configEsEEN6hipcub22TransformInputIteratorIsNS5_6CastOpIsEEPslEEPfNS5_3MaxEssEEvT1_mT4_T2_T3_
; %bb.0:
	s_load_dwordx2 s[2:3], s[0:1], 0x0
	s_load_dword s33, s[0:1], 0x10
	v_mov_b32_e32 v15, 0
	v_lshlrev_b32_e32 v14, 1, v0
	s_waitcnt lgkmcnt(0)
	global_load_ushort v1, v15, s[2:3]
	v_lshl_add_u64 v[2:3], s[2:3], 0, v[14:15]
	v_cmp_gt_u32_e64 s[50:51], s33, v0
	s_waitcnt vmcnt(0)
	v_mov_b32_e32 v4, v1
	s_and_saveexec_b64 s[2:3], s[50:51]
	s_cbranch_execz .LBB26_2
; %bb.1:
	global_load_ushort v4, v[2:3], off
.LBB26_2:
	s_or_b64 exec, exec, s[2:3]
	v_or_b32_e32 v5, 0x100, v0
	v_cmp_gt_u32_e64 s[2:3], s33, v5
	v_mov_b32_e32 v5, v1
	s_and_saveexec_b64 s[4:5], s[2:3]
	s_cbranch_execz .LBB26_4
; %bb.3:
	global_load_ushort v5, v[2:3], off offset:512
.LBB26_4:
	s_or_b64 exec, exec, s[4:5]
	v_or_b32_e32 v6, 0x200, v0
	v_cmp_gt_u32_e64 s[4:5], s33, v6
	v_mov_b32_e32 v6, v1
	s_and_saveexec_b64 s[6:7], s[4:5]
	s_cbranch_execz .LBB26_6
; %bb.5:
	global_load_ushort v6, v[2:3], off offset:1024
.LBB26_6:
	;; [unrolled: 9-line block ×7, first 2 shown]
	s_or_b64 exec, exec, s[6:7]
	v_or_b32_e32 v12, 0x800, v0
	v_cmp_gt_u32_e64 s[6:7], s33, v12
	v_mov_b32_e32 v12, v1
	s_and_saveexec_b64 s[14:15], s[6:7]
	s_cbranch_execz .LBB26_18
; %bb.17:
	v_add_co_u32_e32 v12, vcc, 0x1000, v2
	s_nop 1
	v_addc_co_u32_e32 v13, vcc, 0, v3, vcc
	global_load_ushort v12, v[12:13], off
.LBB26_18:
	s_or_b64 exec, exec, s[14:15]
	v_or_b32_e32 v13, 0x900, v0
	v_cmp_gt_u32_e64 s[14:15], s33, v13
	v_mov_b32_e32 v13, v1
	s_and_saveexec_b64 s[20:21], s[14:15]
	s_cbranch_execz .LBB26_20
; %bb.19:
	v_add_co_u32_e32 v16, vcc, 0x1000, v2
	s_nop 1
	v_addc_co_u32_e32 v17, vcc, 0, v3, vcc
	global_load_ushort v13, v[16:17], off offset:512
.LBB26_20:
	s_or_b64 exec, exec, s[20:21]
	v_or_b32_e32 v15, 0xa00, v0
	v_cmp_gt_u32_e64 s[20:21], s33, v15
	v_mov_b32_e32 v15, v1
	s_and_saveexec_b64 s[22:23], s[20:21]
	s_cbranch_execz .LBB26_22
; %bb.21:
	v_add_co_u32_e32 v16, vcc, 0x1000, v2
	s_nop 1
	v_addc_co_u32_e32 v17, vcc, 0, v3, vcc
	global_load_ushort v15, v[16:17], off offset:1024
.LBB26_22:
	s_or_b64 exec, exec, s[22:23]
	v_or_b32_e32 v16, 0xb00, v0
	v_cmp_gt_u32_e64 s[22:23], s33, v16
	v_mov_b32_e32 v16, v1
	s_and_saveexec_b64 s[24:25], s[22:23]
	s_cbranch_execz .LBB26_24
; %bb.23:
	v_add_co_u32_e32 v16, vcc, 0x1000, v2
	s_nop 1
	v_addc_co_u32_e32 v17, vcc, 0, v3, vcc
	global_load_ushort v16, v[16:17], off offset:1536
.LBB26_24:
	s_or_b64 exec, exec, s[24:25]
	v_or_b32_e32 v17, 0xc00, v0
	v_cmp_gt_u32_e64 s[24:25], s33, v17
	v_mov_b32_e32 v17, v1
	s_and_saveexec_b64 s[26:27], s[24:25]
	s_cbranch_execz .LBB26_26
; %bb.25:
	v_add_co_u32_e32 v18, vcc, 0x1000, v2
	s_nop 1
	v_addc_co_u32_e32 v19, vcc, 0, v3, vcc
	global_load_ushort v17, v[18:19], off offset:2048
.LBB26_26:
	s_or_b64 exec, exec, s[26:27]
	v_or_b32_e32 v18, 0xd00, v0
	v_cmp_gt_u32_e64 s[26:27], s33, v18
	v_mov_b32_e32 v18, v1
	s_and_saveexec_b64 s[28:29], s[26:27]
	s_cbranch_execz .LBB26_28
; %bb.27:
	v_add_co_u32_e32 v18, vcc, 0x1000, v2
	s_nop 1
	v_addc_co_u32_e32 v19, vcc, 0, v3, vcc
	global_load_ushort v18, v[18:19], off offset:2560
.LBB26_28:
	s_or_b64 exec, exec, s[28:29]
	v_or_b32_e32 v19, 0xe00, v0
	v_cmp_gt_u32_e64 s[28:29], s33, v19
	v_mov_b32_e32 v19, v1
	s_and_saveexec_b64 s[30:31], s[28:29]
	s_cbranch_execz .LBB26_30
; %bb.29:
	v_add_co_u32_e32 v20, vcc, 0x1000, v2
	s_nop 1
	v_addc_co_u32_e32 v21, vcc, 0, v3, vcc
	global_load_ushort v19, v[20:21], off offset:3072
.LBB26_30:
	s_or_b64 exec, exec, s[30:31]
	v_or_b32_e32 v20, 0xf00, v0
	v_cmp_gt_u32_e64 s[30:31], s33, v20
	v_mov_b32_e32 v20, v1
	s_and_saveexec_b64 s[34:35], s[30:31]
	s_cbranch_execz .LBB26_32
; %bb.31:
	v_add_co_u32_e32 v20, vcc, 0x1000, v2
	s_nop 1
	v_addc_co_u32_e32 v21, vcc, 0, v3, vcc
	global_load_ushort v20, v[20:21], off offset:3584
.LBB26_32:
	s_or_b64 exec, exec, s[34:35]
	v_or_b32_e32 v21, 0x1000, v0
	v_cmp_gt_u32_e64 s[34:35], s33, v21
	v_mov_b32_e32 v21, v1
	s_and_saveexec_b64 s[36:37], s[34:35]
	s_cbranch_execz .LBB26_34
; %bb.33:
	v_add_co_u32_e32 v22, vcc, 0x2000, v2
	s_nop 1
	v_addc_co_u32_e32 v23, vcc, 0, v3, vcc
	global_load_ushort v21, v[22:23], off
.LBB26_34:
	s_or_b64 exec, exec, s[36:37]
	v_or_b32_e32 v22, 0x1100, v0
	v_cmp_gt_u32_e64 s[36:37], s33, v22
	v_mov_b32_e32 v22, v1
	s_and_saveexec_b64 s[38:39], s[36:37]
	s_cbranch_execz .LBB26_36
; %bb.35:
	v_add_co_u32_e32 v22, vcc, 0x2000, v2
	s_nop 1
	v_addc_co_u32_e32 v23, vcc, 0, v3, vcc
	global_load_ushort v22, v[22:23], off offset:512
.LBB26_36:
	s_or_b64 exec, exec, s[38:39]
	v_or_b32_e32 v23, 0x1200, v0
	v_cmp_gt_u32_e64 s[38:39], s33, v23
	v_mov_b32_e32 v23, v1
	s_and_saveexec_b64 s[40:41], s[38:39]
	s_cbranch_execz .LBB26_38
; %bb.37:
	v_add_co_u32_e32 v24, vcc, 0x2000, v2
	s_nop 1
	v_addc_co_u32_e32 v25, vcc, 0, v3, vcc
	global_load_ushort v23, v[24:25], off offset:1024
.LBB26_38:
	;; [unrolled: 12-line block ×6, first 2 shown]
	s_or_b64 exec, exec, s[48:49]
	v_or_b32_e32 v28, 0x1700, v0
	v_cmp_gt_u32_e64 s[48:49], s33, v28
	s_and_saveexec_b64 s[52:53], s[48:49]
	s_cbranch_execz .LBB26_48
; %bb.47:
	v_add_co_u32_e32 v2, vcc, 0x2000, v2
	s_nop 1
	v_addc_co_u32_e32 v3, vcc, 0, v3, vcc
	global_load_ushort v1, v[2:3], off offset:3584
.LBB26_48:
	s_or_b64 exec, exec, s[52:53]
	s_waitcnt vmcnt(0)
	ds_write_b16 v14, v4
	ds_write_b16 v14, v5 offset:512
	ds_write_b16 v14, v6 offset:1024
	;; [unrolled: 1-line block ×23, first 2 shown]
	v_mad_u32_u24 v1, v0, 46, v14
	s_waitcnt lgkmcnt(0)
	s_barrier
	ds_read_b128 v[10:13], v1
	ds_read_b128 v[6:9], v1 offset:16
	ds_read_b128 v[2:5], v1 offset:32
	s_waitcnt lgkmcnt(0)
	s_barrier
	v_lshrrev_b32_e32 v25, 16, v11
	v_max_i16_sdwa v26, v10, v10 dst_sel:DWORD dst_unused:UNUSED_PAD src0_sel:DWORD src1_sel:WORD_1
	v_lshrrev_b32_e32 v24, 16, v12
	v_max3_i16 v26, v26, v11, v25
	v_lshrrev_b32_e32 v23, 16, v13
	v_max3_i16 v26, v26, v12, v24
	;; [unrolled: 2-line block ×10, first 2 shown]
	v_max3_i16 v27, v26, v5, v15
	v_mbcnt_lo_u32_b32 v26, -1, 0
	v_mbcnt_hi_u32_b32 v26, -1, v26
	v_and_b32_e32 v29, 0xffff, v27
	v_and_b32_e32 v28, 15, v26
	v_cmp_eq_u32_e32 vcc, 0, v28
	v_mov_b32_dpp v29, v29 row_shr:1 row_mask:0xf bank_mask:0xf
	v_max_i16_e32 v29, v29, v27
	v_cndmask_b32_e32 v27, v29, v27, vcc
	v_and_b32_e32 v29, 0xffff, v27
	v_cmp_lt_u32_e32 vcc, 1, v28
	s_nop 0
	v_mov_b32_dpp v29, v29 row_shr:2 row_mask:0xf bank_mask:0xf
	v_max_i16_e32 v29, v29, v27
	v_cndmask_b32_e32 v27, v27, v29, vcc
	v_and_b32_e32 v29, 0xffff, v27
	v_cmp_lt_u32_e32 vcc, 3, v28
	s_nop 0
	;; [unrolled: 6-line block ×3, first 2 shown]
	v_mov_b32_dpp v29, v29 row_shr:8 row_mask:0xf bank_mask:0xf
	v_max_i16_e32 v29, v29, v27
	v_cndmask_b32_e32 v27, v27, v29, vcc
	v_and_b32_e32 v28, 0xffff, v27
	v_and_b32_e32 v29, 16, v26
	v_cmp_eq_u32_e32 vcc, 0, v29
	v_mov_b32_dpp v28, v28 row_bcast:15 row_mask:0xf bank_mask:0xf
	v_max_i16_e32 v28, v28, v27
	v_cndmask_b32_e32 v27, v28, v27, vcc
	v_and_b32_e32 v28, 0xffff, v27
	v_cmp_lt_u32_e32 vcc, 31, v26
	v_or_b32_e32 v29, 63, v0
	v_mov_b32_dpp v28, v28 row_bcast:31 row_mask:0xf bank_mask:0xf
	v_max_i16_e32 v28, v28, v27
	v_cndmask_b32_e32 v27, v27, v28, vcc
	v_lshrrev_b32_e32 v28, 6, v0
	v_cmp_eq_u32_e32 vcc, v29, v0
	s_and_saveexec_b64 s[52:53], vcc
	s_cbranch_execz .LBB26_50
; %bb.49:
	v_lshlrev_b32_e32 v29, 1, v28
	ds_write_b16 v29, v27
.LBB26_50:
	s_or_b64 exec, exec, s[52:53]
	v_cmp_gt_u32_e32 vcc, 4, v0
	s_waitcnt lgkmcnt(0)
	s_barrier
	s_and_saveexec_b64 s[52:53], vcc
	s_cbranch_execz .LBB26_52
; %bb.51:
	ds_read_u16 v29, v14
	v_and_b32_e32 v30, 3, v26
	v_cmp_eq_u32_e32 vcc, 0, v30
	s_waitcnt lgkmcnt(0)
	v_and_b32_e32 v31, 0xffff, v29
	s_nop 1
	v_mov_b32_dpp v31, v31 row_shr:1 row_mask:0xf bank_mask:0xf
	v_max_i16_e32 v31, v31, v29
	v_cndmask_b32_e32 v29, v31, v29, vcc
	v_and_b32_e32 v31, 0xffff, v29
	v_cmp_lt_u32_e32 vcc, 1, v30
	s_nop 0
	v_mov_b32_dpp v31, v31 row_shr:2 row_mask:0xf bank_mask:0xf
	v_max_i16_e32 v31, v31, v29
	v_cndmask_b32_e32 v29, v29, v31, vcc
	ds_write_b16 v14, v29
.LBB26_52:
	s_or_b64 exec, exec, s[52:53]
	v_cmp_lt_u32_e32 vcc, 63, v0
	s_waitcnt lgkmcnt(0)
	s_barrier
	s_waitcnt lgkmcnt(0)
                                        ; implicit-def: $vgpr29
	s_and_saveexec_b64 s[52:53], vcc
	s_cbranch_execz .LBB26_54
; %bb.53:
	v_lshl_add_u32 v28, v28, 1, -2
	ds_read_u16 v29, v28
	s_waitcnt lgkmcnt(0)
	v_max_i16_e32 v27, v29, v27
.LBB26_54:
	s_or_b64 exec, exec, s[52:53]
	v_add_u32_e32 v28, -1, v26
	v_and_b32_e32 v30, 64, v26
	v_cmp_lt_i32_e32 vcc, v28, v30
	v_and_b32_e32 v27, 0xffff, v27
	s_mov_b32 s33, 0x5040100
	v_cndmask_b32_e32 v28, v28, v26, vcc
	v_lshlrev_b32_e32 v28, 2, v28
	ds_bpermute_b32 v27, v28, v27
	v_cmp_eq_u32_e32 vcc, 0, v26
	s_waitcnt lgkmcnt(0)
	s_barrier
	v_cndmask_b32_e32 v26, v27, v29, vcc
	v_max_i16_e32 v26, v26, v10
	v_cmp_eq_u32_e32 vcc, 0, v0
	s_load_dwordx2 s[0:1], s[0:1], 0x20
	s_nop 0
	v_cndmask_b32_e32 v26, v26, v10, vcc
	v_max_i16_sdwa v10, v26, v10 dst_sel:DWORD dst_unused:UNUSED_PAD src0_sel:DWORD src1_sel:WORD_1
	v_max_i16_e32 v11, v10, v11
	v_max_i16_e32 v25, v11, v25
	;; [unrolled: 1-line block ×21, first 2 shown]
	v_perm_b32 v2, v10, v26, s33
	v_perm_b32 v3, v25, v11, s33
	;; [unrolled: 1-line block ×4, first 2 shown]
	v_max_i16_e32 v15, v30, v15
	ds_write_b128 v1, v[2:5]
	v_perm_b32 v2, v22, v6, s33
	v_perm_b32 v3, v21, v7, s33
	;; [unrolled: 1-line block ×4, first 2 shown]
	ds_write_b128 v1, v[2:5] offset:16
	v_perm_b32 v2, v18, v27, s33
	v_perm_b32 v3, v17, v28, s33
	;; [unrolled: 1-line block ×4, first 2 shown]
	s_movk_i32 s33, 0xffd2
	ds_write_b128 v1, v[2:5] offset:32
	v_mad_i32_i24 v1, v0, s33, v1
	s_waitcnt lgkmcnt(0)
	s_barrier
	ds_read_u16 v24, v1 offset:512
	ds_read_u16 v23, v1 offset:1024
	;; [unrolled: 1-line block ×23, first 2 shown]
	v_lshlrev_b32_e32 v0, 2, v0
	v_mov_b32_e32 v1, 0
	v_lshl_add_u64 v[0:1], s[0:1], 0, v[0:1]
	s_and_saveexec_b64 s[0:1], s[50:51]
	s_cbranch_execnz .LBB26_79
; %bb.55:
	s_or_b64 exec, exec, s[0:1]
	s_and_saveexec_b64 s[0:1], s[2:3]
	s_cbranch_execnz .LBB26_80
.LBB26_56:
	s_or_b64 exec, exec, s[0:1]
	s_and_saveexec_b64 s[0:1], s[4:5]
	s_cbranch_execnz .LBB26_81
.LBB26_57:
	s_or_b64 exec, exec, s[0:1]
	s_and_saveexec_b64 s[0:1], s[10:11]
	s_cbranch_execnz .LBB26_82
.LBB26_58:
	s_or_b64 exec, exec, s[0:1]
	s_and_saveexec_b64 s[0:1], s[18:19]
	s_cbranch_execnz .LBB26_83
.LBB26_59:
	s_or_b64 exec, exec, s[0:1]
	s_and_saveexec_b64 s[0:1], s[16:17]
	s_cbranch_execnz .LBB26_84
.LBB26_60:
	s_or_b64 exec, exec, s[0:1]
	s_and_saveexec_b64 s[0:1], s[12:13]
	s_cbranch_execnz .LBB26_85
.LBB26_61:
	s_or_b64 exec, exec, s[0:1]
	s_and_saveexec_b64 s[0:1], s[8:9]
	s_cbranch_execnz .LBB26_86
.LBB26_62:
	s_or_b64 exec, exec, s[0:1]
	s_and_saveexec_b64 s[0:1], s[6:7]
	s_cbranch_execnz .LBB26_87
.LBB26_63:
	s_or_b64 exec, exec, s[0:1]
	s_and_saveexec_b64 s[0:1], s[14:15]
	s_cbranch_execnz .LBB26_88
.LBB26_64:
	s_or_b64 exec, exec, s[0:1]
	s_and_saveexec_b64 s[0:1], s[20:21]
	s_cbranch_execnz .LBB26_89
.LBB26_65:
	s_or_b64 exec, exec, s[0:1]
	s_and_saveexec_b64 s[0:1], s[22:23]
	s_cbranch_execnz .LBB26_90
.LBB26_66:
	s_or_b64 exec, exec, s[0:1]
	s_and_saveexec_b64 s[0:1], s[24:25]
	s_cbranch_execnz .LBB26_91
.LBB26_67:
	s_or_b64 exec, exec, s[0:1]
	s_and_saveexec_b64 s[0:1], s[26:27]
	s_cbranch_execnz .LBB26_92
.LBB26_68:
	s_or_b64 exec, exec, s[0:1]
	s_and_saveexec_b64 s[0:1], s[28:29]
	s_cbranch_execnz .LBB26_93
.LBB26_69:
	s_or_b64 exec, exec, s[0:1]
	s_and_saveexec_b64 s[0:1], s[30:31]
	s_cbranch_execnz .LBB26_94
.LBB26_70:
	s_or_b64 exec, exec, s[0:1]
	s_and_saveexec_b64 s[0:1], s[34:35]
	s_cbranch_execnz .LBB26_95
.LBB26_71:
	s_or_b64 exec, exec, s[0:1]
	s_and_saveexec_b64 s[0:1], s[36:37]
	s_cbranch_execnz .LBB26_96
.LBB26_72:
	s_or_b64 exec, exec, s[0:1]
	s_and_saveexec_b64 s[0:1], s[38:39]
	s_cbranch_execnz .LBB26_97
.LBB26_73:
	s_or_b64 exec, exec, s[0:1]
	s_and_saveexec_b64 s[0:1], s[40:41]
	s_cbranch_execnz .LBB26_98
.LBB26_74:
	s_or_b64 exec, exec, s[0:1]
	s_and_saveexec_b64 s[0:1], s[42:43]
	s_cbranch_execnz .LBB26_99
.LBB26_75:
	s_or_b64 exec, exec, s[0:1]
	s_and_saveexec_b64 s[0:1], s[44:45]
	s_cbranch_execnz .LBB26_100
.LBB26_76:
	s_or_b64 exec, exec, s[0:1]
	s_and_saveexec_b64 s[0:1], s[46:47]
	s_cbranch_execnz .LBB26_101
.LBB26_77:
	s_or_b64 exec, exec, s[0:1]
	s_and_saveexec_b64 s[0:1], s[48:49]
	s_cbranch_execnz .LBB26_102
.LBB26_78:
	s_endpgm
.LBB26_79:
	ds_read_i16 v14, v14
	s_waitcnt lgkmcnt(0)
	v_cvt_f32_i32_e32 v14, v14
	global_store_dword v[0:1], v14, off
	s_or_b64 exec, exec, s[0:1]
	s_and_saveexec_b64 s[0:1], s[2:3]
	s_cbranch_execz .LBB26_56
.LBB26_80:
	s_waitcnt lgkmcnt(14)
	v_cvt_f32_i32_sdwa v14, sext(v24) dst_sel:DWORD dst_unused:UNUSED_PAD src0_sel:WORD_0
	global_store_dword v[0:1], v14, off offset:1024
	s_or_b64 exec, exec, s[0:1]
	s_and_saveexec_b64 s[0:1], s[4:5]
	s_cbranch_execz .LBB26_57
.LBB26_81:
	s_waitcnt lgkmcnt(14)
	v_cvt_f32_i32_sdwa v14, sext(v23) dst_sel:DWORD dst_unused:UNUSED_PAD src0_sel:WORD_0
	global_store_dword v[0:1], v14, off offset:2048
	s_or_b64 exec, exec, s[0:1]
	s_and_saveexec_b64 s[0:1], s[10:11]
	s_cbranch_execz .LBB26_58
.LBB26_82:
	s_waitcnt lgkmcnt(14)
	v_cvt_f32_i32_sdwa v14, sext(v22) dst_sel:DWORD dst_unused:UNUSED_PAD src0_sel:WORD_0
	global_store_dword v[0:1], v14, off offset:3072
	s_or_b64 exec, exec, s[0:1]
	s_and_saveexec_b64 s[0:1], s[18:19]
	s_cbranch_execz .LBB26_59
.LBB26_83:
	s_waitcnt lgkmcnt(1)
	v_cvt_f32_i32_sdwa v14, sext(v25) dst_sel:DWORD dst_unused:UNUSED_PAD src0_sel:WORD_0
	v_add_co_u32_e32 v22, vcc, 0x1000, v0
	s_nop 1
	v_addc_co_u32_e32 v23, vcc, 0, v1, vcc
	global_store_dword v[22:23], v14, off
	s_or_b64 exec, exec, s[0:1]
	s_and_saveexec_b64 s[0:1], s[16:17]
	s_cbranch_execz .LBB26_60
.LBB26_84:
	s_waitcnt lgkmcnt(14)
	v_cvt_f32_i32_sdwa v14, sext(v21) dst_sel:DWORD dst_unused:UNUSED_PAD src0_sel:WORD_0
	v_add_co_u32_e32 v22, vcc, 0x1000, v0
	s_nop 1
	v_addc_co_u32_e32 v23, vcc, 0, v1, vcc
	global_store_dword v[22:23], v14, off offset:1024
	s_or_b64 exec, exec, s[0:1]
	s_and_saveexec_b64 s[0:1], s[12:13]
	s_cbranch_execz .LBB26_61
.LBB26_85:
	s_waitcnt lgkmcnt(14)
	v_cvt_f32_i32_sdwa v14, sext(v20) dst_sel:DWORD dst_unused:UNUSED_PAD src0_sel:WORD_0
	v_add_co_u32_e32 v20, vcc, 0x1000, v0
	s_nop 1
	v_addc_co_u32_e32 v21, vcc, 0, v1, vcc
	global_store_dword v[20:21], v14, off offset:2048
	s_or_b64 exec, exec, s[0:1]
	s_and_saveexec_b64 s[0:1], s[8:9]
	s_cbranch_execz .LBB26_62
.LBB26_86:
	s_waitcnt lgkmcnt(14)
	v_cvt_f32_i32_sdwa v14, sext(v19) dst_sel:DWORD dst_unused:UNUSED_PAD src0_sel:WORD_0
	v_add_co_u32_e32 v20, vcc, 0x1000, v0
	s_nop 1
	v_addc_co_u32_e32 v21, vcc, 0, v1, vcc
	global_store_dword v[20:21], v14, off offset:3072
	s_or_b64 exec, exec, s[0:1]
	s_and_saveexec_b64 s[0:1], s[6:7]
	s_cbranch_execz .LBB26_63
.LBB26_87:
	s_waitcnt lgkmcnt(14)
	v_cvt_f32_i32_sdwa v14, sext(v18) dst_sel:DWORD dst_unused:UNUSED_PAD src0_sel:WORD_0
	v_add_co_u32_e32 v18, vcc, 0x2000, v0
	s_nop 1
	v_addc_co_u32_e32 v19, vcc, 0, v1, vcc
	global_store_dword v[18:19], v14, off
	s_or_b64 exec, exec, s[0:1]
	s_and_saveexec_b64 s[0:1], s[14:15]
	s_cbranch_execz .LBB26_64
.LBB26_88:
	s_waitcnt lgkmcnt(14)
	v_cvt_f32_i32_sdwa v14, sext(v17) dst_sel:DWORD dst_unused:UNUSED_PAD src0_sel:WORD_0
	v_add_co_u32_e32 v18, vcc, 0x2000, v0
	s_nop 1
	v_addc_co_u32_e32 v19, vcc, 0, v1, vcc
	global_store_dword v[18:19], v14, off offset:1024
	s_or_b64 exec, exec, s[0:1]
	s_and_saveexec_b64 s[0:1], s[20:21]
	s_cbranch_execz .LBB26_65
.LBB26_89:
	s_waitcnt lgkmcnt(14)
	v_cvt_f32_i32_sdwa v14, sext(v16) dst_sel:DWORD dst_unused:UNUSED_PAD src0_sel:WORD_0
	v_add_co_u32_e32 v16, vcc, 0x2000, v0
	s_nop 1
	v_addc_co_u32_e32 v17, vcc, 0, v1, vcc
	global_store_dword v[16:17], v14, off offset:2048
	s_or_b64 exec, exec, s[0:1]
	s_and_saveexec_b64 s[0:1], s[22:23]
	s_cbranch_execz .LBB26_66
.LBB26_90:
	s_waitcnt lgkmcnt(10)
	v_cvt_f32_i32_sdwa v16, sext(v15) dst_sel:DWORD dst_unused:UNUSED_PAD src0_sel:WORD_0
	v_add_co_u32_e32 v14, vcc, 0x2000, v0
	s_nop 1
	v_addc_co_u32_e32 v15, vcc, 0, v1, vcc
	global_store_dword v[14:15], v16, off offset:3072
	s_or_b64 exec, exec, s[0:1]
	s_and_saveexec_b64 s[0:1], s[24:25]
	s_cbranch_execz .LBB26_67
.LBB26_91:
	s_waitcnt lgkmcnt(13)
	v_cvt_f32_i32_sdwa v13, sext(v13) dst_sel:DWORD dst_unused:UNUSED_PAD src0_sel:WORD_0
	v_add_co_u32_e32 v14, vcc, 0x3000, v0
	s_waitcnt lgkmcnt(10)
	s_nop 0
	v_addc_co_u32_e32 v15, vcc, 0, v1, vcc
	global_store_dword v[14:15], v13, off
	s_or_b64 exec, exec, s[0:1]
	s_and_saveexec_b64 s[0:1], s[26:27]
	s_cbranch_execz .LBB26_68
.LBB26_92:
	s_waitcnt lgkmcnt(9)
	v_cvt_f32_i32_sdwa v14, sext(v12) dst_sel:DWORD dst_unused:UNUSED_PAD src0_sel:WORD_0
	v_add_co_u32_e32 v12, vcc, 0x3000, v0
	s_nop 1
	v_addc_co_u32_e32 v13, vcc, 0, v1, vcc
	global_store_dword v[12:13], v14, off offset:1024
	s_or_b64 exec, exec, s[0:1]
	s_and_saveexec_b64 s[0:1], s[28:29]
	s_cbranch_execz .LBB26_69
.LBB26_93:
	s_waitcnt lgkmcnt(8)
	v_cvt_f32_i32_sdwa v11, sext(v11) dst_sel:DWORD dst_unused:UNUSED_PAD src0_sel:WORD_0
	v_add_co_u32_e32 v12, vcc, 0x3000, v0
	s_nop 1
	v_addc_co_u32_e32 v13, vcc, 0, v1, vcc
	global_store_dword v[12:13], v11, off offset:2048
	s_or_b64 exec, exec, s[0:1]
	s_and_saveexec_b64 s[0:1], s[30:31]
	s_cbranch_execz .LBB26_70
.LBB26_94:
	s_waitcnt lgkmcnt(7)
	v_cvt_f32_i32_sdwa v12, sext(v10) dst_sel:DWORD dst_unused:UNUSED_PAD src0_sel:WORD_0
	v_add_co_u32_e32 v10, vcc, 0x3000, v0
	s_nop 1
	v_addc_co_u32_e32 v11, vcc, 0, v1, vcc
	global_store_dword v[10:11], v12, off offset:3072
	s_or_b64 exec, exec, s[0:1]
	s_and_saveexec_b64 s[0:1], s[34:35]
	s_cbranch_execz .LBB26_71
.LBB26_95:
	s_waitcnt lgkmcnt(12)
	v_cvt_f32_i32_sdwa v9, sext(v9) dst_sel:DWORD dst_unused:UNUSED_PAD src0_sel:WORD_0
	s_waitcnt lgkmcnt(7)
	v_add_co_u32_e32 v10, vcc, 0x4000, v0
	s_nop 1
	v_addc_co_u32_e32 v11, vcc, 0, v1, vcc
	global_store_dword v[10:11], v9, off
	s_or_b64 exec, exec, s[0:1]
	s_and_saveexec_b64 s[0:1], s[36:37]
	s_cbranch_execz .LBB26_72
.LBB26_96:
	s_waitcnt lgkmcnt(6)
	v_cvt_f32_i32_sdwa v10, sext(v8) dst_sel:DWORD dst_unused:UNUSED_PAD src0_sel:WORD_0
	v_add_co_u32_e32 v8, vcc, 0x4000, v0
	s_nop 1
	v_addc_co_u32_e32 v9, vcc, 0, v1, vcc
	global_store_dword v[8:9], v10, off offset:1024
	s_or_b64 exec, exec, s[0:1]
	s_and_saveexec_b64 s[0:1], s[38:39]
	s_cbranch_execz .LBB26_73
.LBB26_97:
	s_waitcnt lgkmcnt(5)
	v_cvt_f32_i32_sdwa v7, sext(v7) dst_sel:DWORD dst_unused:UNUSED_PAD src0_sel:WORD_0
	v_add_co_u32_e32 v8, vcc, 0x4000, v0
	s_nop 1
	v_addc_co_u32_e32 v9, vcc, 0, v1, vcc
	global_store_dword v[8:9], v7, off offset:2048
	s_or_b64 exec, exec, s[0:1]
	s_and_saveexec_b64 s[0:1], s[40:41]
	s_cbranch_execz .LBB26_74
.LBB26_98:
	s_waitcnt lgkmcnt(4)
	v_cvt_f32_i32_sdwa v8, sext(v6) dst_sel:DWORD dst_unused:UNUSED_PAD src0_sel:WORD_0
	v_add_co_u32_e32 v6, vcc, 0x4000, v0
	s_nop 1
	v_addc_co_u32_e32 v7, vcc, 0, v1, vcc
	global_store_dword v[6:7], v8, off offset:3072
	s_or_b64 exec, exec, s[0:1]
	s_and_saveexec_b64 s[0:1], s[42:43]
	s_cbranch_execz .LBB26_75
.LBB26_99:
	s_waitcnt lgkmcnt(11)
	v_cvt_f32_i32_sdwa v5, sext(v5) dst_sel:DWORD dst_unused:UNUSED_PAD src0_sel:WORD_0
	s_waitcnt lgkmcnt(4)
	v_add_co_u32_e32 v6, vcc, 0x5000, v0
	s_nop 1
	v_addc_co_u32_e32 v7, vcc, 0, v1, vcc
	global_store_dword v[6:7], v5, off
	s_or_b64 exec, exec, s[0:1]
	s_and_saveexec_b64 s[0:1], s[44:45]
	s_cbranch_execz .LBB26_76
.LBB26_100:
	s_waitcnt lgkmcnt(3)
	v_cvt_f32_i32_sdwa v6, sext(v4) dst_sel:DWORD dst_unused:UNUSED_PAD src0_sel:WORD_0
	v_add_co_u32_e32 v4, vcc, 0x5000, v0
	s_nop 1
	v_addc_co_u32_e32 v5, vcc, 0, v1, vcc
	global_store_dword v[4:5], v6, off offset:1024
	s_or_b64 exec, exec, s[0:1]
	s_and_saveexec_b64 s[0:1], s[46:47]
	s_cbranch_execz .LBB26_77
.LBB26_101:
	s_waitcnt lgkmcnt(2)
	v_cvt_f32_i32_sdwa v3, sext(v3) dst_sel:DWORD dst_unused:UNUSED_PAD src0_sel:WORD_0
	v_add_co_u32_e32 v4, vcc, 0x5000, v0
	s_nop 1
	v_addc_co_u32_e32 v5, vcc, 0, v1, vcc
	global_store_dword v[4:5], v3, off offset:2048
	s_or_b64 exec, exec, s[0:1]
	s_and_saveexec_b64 s[0:1], s[48:49]
	s_cbranch_execz .LBB26_78
.LBB26_102:
	s_waitcnt lgkmcnt(0)
	v_cvt_f32_i32_sdwa v2, sext(v2) dst_sel:DWORD dst_unused:UNUSED_PAD src0_sel:WORD_0
	v_add_co_u32_e32 v0, vcc, 0x5000, v0
	s_nop 1
	v_addc_co_u32_e32 v1, vcc, 0, v1, vcc
	global_store_dword v[0:1], v2, off offset:3072
	s_endpgm
	.section	.rodata,"a",@progbits
	.p2align	6, 0x0
	.amdhsa_kernel _ZN7rocprim6detail18single_scan_kernelILb0ENS0_19wrapped_scan_configINS_14default_configEsEEN6hipcub22TransformInputIteratorIsNS5_6CastOpIsEEPslEEPfNS5_3MaxEssEEvT1_mT4_T2_T3_
		.amdhsa_group_segment_fixed_size 12288
		.amdhsa_private_segment_fixed_size 0
		.amdhsa_kernarg_size 44
		.amdhsa_user_sgpr_count 2
		.amdhsa_user_sgpr_dispatch_ptr 0
		.amdhsa_user_sgpr_queue_ptr 0
		.amdhsa_user_sgpr_kernarg_segment_ptr 1
		.amdhsa_user_sgpr_dispatch_id 0
		.amdhsa_user_sgpr_kernarg_preload_length 0
		.amdhsa_user_sgpr_kernarg_preload_offset 0
		.amdhsa_user_sgpr_private_segment_size 0
		.amdhsa_uses_dynamic_stack 0
		.amdhsa_enable_private_segment 0
		.amdhsa_system_sgpr_workgroup_id_x 1
		.amdhsa_system_sgpr_workgroup_id_y 0
		.amdhsa_system_sgpr_workgroup_id_z 0
		.amdhsa_system_sgpr_workgroup_info 0
		.amdhsa_system_vgpr_workitem_id 0
		.amdhsa_next_free_vgpr 32
		.amdhsa_next_free_sgpr 54
		.amdhsa_accum_offset 32
		.amdhsa_reserve_vcc 1
		.amdhsa_float_round_mode_32 0
		.amdhsa_float_round_mode_16_64 0
		.amdhsa_float_denorm_mode_32 3
		.amdhsa_float_denorm_mode_16_64 3
		.amdhsa_dx10_clamp 1
		.amdhsa_ieee_mode 1
		.amdhsa_fp16_overflow 0
		.amdhsa_tg_split 0
		.amdhsa_exception_fp_ieee_invalid_op 0
		.amdhsa_exception_fp_denorm_src 0
		.amdhsa_exception_fp_ieee_div_zero 0
		.amdhsa_exception_fp_ieee_overflow 0
		.amdhsa_exception_fp_ieee_underflow 0
		.amdhsa_exception_fp_ieee_inexact 0
		.amdhsa_exception_int_div_zero 0
	.end_amdhsa_kernel
	.section	.text._ZN7rocprim6detail18single_scan_kernelILb0ENS0_19wrapped_scan_configINS_14default_configEsEEN6hipcub22TransformInputIteratorIsNS5_6CastOpIsEEPslEEPfNS5_3MaxEssEEvT1_mT4_T2_T3_,"axG",@progbits,_ZN7rocprim6detail18single_scan_kernelILb0ENS0_19wrapped_scan_configINS_14default_configEsEEN6hipcub22TransformInputIteratorIsNS5_6CastOpIsEEPslEEPfNS5_3MaxEssEEvT1_mT4_T2_T3_,comdat
.Lfunc_end26:
	.size	_ZN7rocprim6detail18single_scan_kernelILb0ENS0_19wrapped_scan_configINS_14default_configEsEEN6hipcub22TransformInputIteratorIsNS5_6CastOpIsEEPslEEPfNS5_3MaxEssEEvT1_mT4_T2_T3_, .Lfunc_end26-_ZN7rocprim6detail18single_scan_kernelILb0ENS0_19wrapped_scan_configINS_14default_configEsEEN6hipcub22TransformInputIteratorIsNS5_6CastOpIsEEPslEEPfNS5_3MaxEssEEvT1_mT4_T2_T3_
                                        ; -- End function
	.section	.AMDGPU.csdata,"",@progbits
; Kernel info:
; codeLenInByte = 3944
; NumSgprs: 60
; NumVgprs: 32
; NumAgprs: 0
; TotalNumVgprs: 32
; ScratchSize: 0
; MemoryBound: 0
; FloatMode: 240
; IeeeMode: 1
; LDSByteSize: 12288 bytes/workgroup (compile time only)
; SGPRBlocks: 7
; VGPRBlocks: 3
; NumSGPRsForWavesPerEU: 60
; NumVGPRsForWavesPerEU: 32
; AccumOffset: 32
; Occupancy: 5
; WaveLimiterHint : 0
; COMPUTE_PGM_RSRC2:SCRATCH_EN: 0
; COMPUTE_PGM_RSRC2:USER_SGPR: 2
; COMPUTE_PGM_RSRC2:TRAP_HANDLER: 0
; COMPUTE_PGM_RSRC2:TGID_X_EN: 1
; COMPUTE_PGM_RSRC2:TGID_Y_EN: 0
; COMPUTE_PGM_RSRC2:TGID_Z_EN: 0
; COMPUTE_PGM_RSRC2:TIDIG_COMP_CNT: 0
; COMPUTE_PGM_RSRC3_GFX90A:ACCUM_OFFSET: 7
; COMPUTE_PGM_RSRC3_GFX90A:TG_SPLIT: 0
	.section	.text._ZN7rocprim6detail31init_lookback_scan_state_kernelINS0_19lookback_scan_stateImLb1ELb1EEEEEvT_jjPNS4_10value_typeE,"axG",@progbits,_ZN7rocprim6detail31init_lookback_scan_state_kernelINS0_19lookback_scan_stateImLb1ELb1EEEEEvT_jjPNS4_10value_typeE,comdat
	.protected	_ZN7rocprim6detail31init_lookback_scan_state_kernelINS0_19lookback_scan_stateImLb1ELb1EEEEEvT_jjPNS4_10value_typeE ; -- Begin function _ZN7rocprim6detail31init_lookback_scan_state_kernelINS0_19lookback_scan_stateImLb1ELb1EEEEEvT_jjPNS4_10value_typeE
	.globl	_ZN7rocprim6detail31init_lookback_scan_state_kernelINS0_19lookback_scan_stateImLb1ELb1EEEEEvT_jjPNS4_10value_typeE
	.p2align	8
	.type	_ZN7rocprim6detail31init_lookback_scan_state_kernelINS0_19lookback_scan_stateImLb1ELb1EEEEEvT_jjPNS4_10value_typeE,@function
_ZN7rocprim6detail31init_lookback_scan_state_kernelINS0_19lookback_scan_stateImLb1ELb1EEEEEvT_jjPNS4_10value_typeE: ; @_ZN7rocprim6detail31init_lookback_scan_state_kernelINS0_19lookback_scan_stateImLb1ELb1EEEEEvT_jjPNS4_10value_typeE
; %bb.0:
	s_load_dword s3, s[0:1], 0x24
	s_load_dwordx2 s[8:9], s[0:1], 0x10
	s_load_dwordx4 s[4:7], s[0:1], 0x0
	s_waitcnt lgkmcnt(0)
	s_and_b32 s0, s3, 0xffff
	s_mul_i32 s2, s2, s0
	s_cmp_eq_u64 s[8:9], 0
	v_add_u32_e32 v0, s2, v0
	s_cbranch_scc1 .LBB27_10
; %bb.1:
	s_cmp_lt_u32 s7, s6
	s_cselect_b32 s0, s7, 0
	s_mov_b32 s3, 0
	v_cmp_eq_u32_e32 vcc, s0, v0
	s_and_saveexec_b64 s[0:1], vcc
	s_cbranch_execz .LBB27_9
; %bb.2:
	s_add_i32 s2, s7, 64
	s_lshl_b64 s[2:3], s[2:3], 4
	s_add_u32 s12, s4, s2
	s_addc_u32 s13, s5, s3
	v_mov_b64_e32 v[2:3], s[12:13]
	;;#ASMSTART
	global_load_dwordx4 v[2:5], v[2:3] off sc1	
s_waitcnt vmcnt(0)
	;;#ASMEND
	v_mov_b32_e32 v7, 0
	v_and_b32_e32 v6, 0xff, v4
	s_mov_b64 s[10:11], 0
	v_cmp_eq_u64_e32 vcc, 0, v[6:7]
	s_and_saveexec_b64 s[2:3], vcc
	s_cbranch_execz .LBB27_8
; %bb.3:
	s_mov_b32 s7, 1
	v_mov_b64_e32 v[8:9], s[12:13]
.LBB27_4:                               ; =>This Loop Header: Depth=1
                                        ;     Child Loop BB27_5 Depth 2
	s_max_u32 s12, s7, 1
.LBB27_5:                               ;   Parent Loop BB27_4 Depth=1
                                        ; =>  This Inner Loop Header: Depth=2
	s_add_i32 s12, s12, -1
	s_cmp_eq_u32 s12, 0
	s_sleep 1
	s_cbranch_scc0 .LBB27_5
; %bb.6:                                ;   in Loop: Header=BB27_4 Depth=1
	s_cmp_lt_u32 s7, 32
	s_cselect_b64 s[12:13], -1, 0
	s_cmp_lg_u64 s[12:13], 0
	;;#ASMSTART
	global_load_dwordx4 v[2:5], v[8:9] off sc1	
s_waitcnt vmcnt(0)
	;;#ASMEND
	s_addc_u32 s7, s7, 0
	v_and_b32_e32 v6, 0xff, v4
	v_cmp_ne_u64_e32 vcc, 0, v[6:7]
	s_or_b64 s[10:11], vcc, s[10:11]
	s_andn2_b64 exec, exec, s[10:11]
	s_cbranch_execnz .LBB27_4
; %bb.7:
	s_or_b64 exec, exec, s[10:11]
.LBB27_8:
	s_or_b64 exec, exec, s[2:3]
	v_mov_b32_e32 v1, 0
	global_store_dwordx2 v1, v[2:3], s[8:9]
.LBB27_9:
	s_or_b64 exec, exec, s[0:1]
.LBB27_10:
	v_cmp_gt_u32_e32 vcc, s6, v0
	s_and_saveexec_b64 s[0:1], vcc
	s_cbranch_execnz .LBB27_13
; %bb.11:
	s_or_b64 exec, exec, s[0:1]
	v_cmp_gt_u32_e32 vcc, 64, v0
	s_and_saveexec_b64 s[0:1], vcc
	s_cbranch_execnz .LBB27_14
.LBB27_12:
	s_endpgm
.LBB27_13:
	v_add_u32_e32 v2, 64, v0
	v_mov_b32_e32 v3, 0
	v_lshl_add_u64 v[6:7], v[2:3], 4, s[4:5]
	v_mov_b32_e32 v2, v3
	v_mov_b32_e32 v4, v3
	;; [unrolled: 1-line block ×3, first 2 shown]
	global_store_dwordx4 v[6:7], v[2:5], off
	s_or_b64 exec, exec, s[0:1]
	v_cmp_gt_u32_e32 vcc, 64, v0
	s_and_saveexec_b64 s[0:1], vcc
	s_cbranch_execz .LBB27_12
.LBB27_14:
	v_mov_b32_e32 v1, 0
	v_lshl_add_u64 v[4:5], v[0:1], 4, s[4:5]
	v_mov_b32_e32 v2, 0xff
	v_mov_b32_e32 v0, v1
	;; [unrolled: 1-line block ×3, first 2 shown]
	global_store_dwordx4 v[4:5], v[0:3], off
	s_endpgm
	.section	.rodata,"a",@progbits
	.p2align	6, 0x0
	.amdhsa_kernel _ZN7rocprim6detail31init_lookback_scan_state_kernelINS0_19lookback_scan_stateImLb1ELb1EEEEEvT_jjPNS4_10value_typeE
		.amdhsa_group_segment_fixed_size 0
		.amdhsa_private_segment_fixed_size 0
		.amdhsa_kernarg_size 280
		.amdhsa_user_sgpr_count 2
		.amdhsa_user_sgpr_dispatch_ptr 0
		.amdhsa_user_sgpr_queue_ptr 0
		.amdhsa_user_sgpr_kernarg_segment_ptr 1
		.amdhsa_user_sgpr_dispatch_id 0
		.amdhsa_user_sgpr_kernarg_preload_length 0
		.amdhsa_user_sgpr_kernarg_preload_offset 0
		.amdhsa_user_sgpr_private_segment_size 0
		.amdhsa_uses_dynamic_stack 0
		.amdhsa_enable_private_segment 0
		.amdhsa_system_sgpr_workgroup_id_x 1
		.amdhsa_system_sgpr_workgroup_id_y 0
		.amdhsa_system_sgpr_workgroup_id_z 0
		.amdhsa_system_sgpr_workgroup_info 0
		.amdhsa_system_vgpr_workitem_id 0
		.amdhsa_next_free_vgpr 10
		.amdhsa_next_free_sgpr 14
		.amdhsa_accum_offset 12
		.amdhsa_reserve_vcc 1
		.amdhsa_float_round_mode_32 0
		.amdhsa_float_round_mode_16_64 0
		.amdhsa_float_denorm_mode_32 3
		.amdhsa_float_denorm_mode_16_64 3
		.amdhsa_dx10_clamp 1
		.amdhsa_ieee_mode 1
		.amdhsa_fp16_overflow 0
		.amdhsa_tg_split 0
		.amdhsa_exception_fp_ieee_invalid_op 0
		.amdhsa_exception_fp_denorm_src 0
		.amdhsa_exception_fp_ieee_div_zero 0
		.amdhsa_exception_fp_ieee_overflow 0
		.amdhsa_exception_fp_ieee_underflow 0
		.amdhsa_exception_fp_ieee_inexact 0
		.amdhsa_exception_int_div_zero 0
	.end_amdhsa_kernel
	.section	.text._ZN7rocprim6detail31init_lookback_scan_state_kernelINS0_19lookback_scan_stateImLb1ELb1EEEEEvT_jjPNS4_10value_typeE,"axG",@progbits,_ZN7rocprim6detail31init_lookback_scan_state_kernelINS0_19lookback_scan_stateImLb1ELb1EEEEEvT_jjPNS4_10value_typeE,comdat
.Lfunc_end27:
	.size	_ZN7rocprim6detail31init_lookback_scan_state_kernelINS0_19lookback_scan_stateImLb1ELb1EEEEEvT_jjPNS4_10value_typeE, .Lfunc_end27-_ZN7rocprim6detail31init_lookback_scan_state_kernelINS0_19lookback_scan_stateImLb1ELb1EEEEEvT_jjPNS4_10value_typeE
                                        ; -- End function
	.section	.AMDGPU.csdata,"",@progbits
; Kernel info:
; codeLenInByte = 372
; NumSgprs: 20
; NumVgprs: 10
; NumAgprs: 0
; TotalNumVgprs: 10
; ScratchSize: 0
; MemoryBound: 0
; FloatMode: 240
; IeeeMode: 1
; LDSByteSize: 0 bytes/workgroup (compile time only)
; SGPRBlocks: 2
; VGPRBlocks: 1
; NumSGPRsForWavesPerEU: 20
; NumVGPRsForWavesPerEU: 10
; AccumOffset: 12
; Occupancy: 8
; WaveLimiterHint : 0
; COMPUTE_PGM_RSRC2:SCRATCH_EN: 0
; COMPUTE_PGM_RSRC2:USER_SGPR: 2
; COMPUTE_PGM_RSRC2:TRAP_HANDLER: 0
; COMPUTE_PGM_RSRC2:TGID_X_EN: 1
; COMPUTE_PGM_RSRC2:TGID_Y_EN: 0
; COMPUTE_PGM_RSRC2:TGID_Z_EN: 0
; COMPUTE_PGM_RSRC2:TIDIG_COMP_CNT: 0
; COMPUTE_PGM_RSRC3_GFX90A:ACCUM_OFFSET: 2
; COMPUTE_PGM_RSRC3_GFX90A:TG_SPLIT: 0
	.section	.text._ZN7rocprim6detail31init_lookback_scan_state_kernelINS0_19lookback_scan_stateImLb0ELb1EEEEEvT_jjPNS4_10value_typeE,"axG",@progbits,_ZN7rocprim6detail31init_lookback_scan_state_kernelINS0_19lookback_scan_stateImLb0ELb1EEEEEvT_jjPNS4_10value_typeE,comdat
	.protected	_ZN7rocprim6detail31init_lookback_scan_state_kernelINS0_19lookback_scan_stateImLb0ELb1EEEEEvT_jjPNS4_10value_typeE ; -- Begin function _ZN7rocprim6detail31init_lookback_scan_state_kernelINS0_19lookback_scan_stateImLb0ELb1EEEEEvT_jjPNS4_10value_typeE
	.globl	_ZN7rocprim6detail31init_lookback_scan_state_kernelINS0_19lookback_scan_stateImLb0ELb1EEEEEvT_jjPNS4_10value_typeE
	.p2align	8
	.type	_ZN7rocprim6detail31init_lookback_scan_state_kernelINS0_19lookback_scan_stateImLb0ELb1EEEEEvT_jjPNS4_10value_typeE,@function
_ZN7rocprim6detail31init_lookback_scan_state_kernelINS0_19lookback_scan_stateImLb0ELb1EEEEEvT_jjPNS4_10value_typeE: ; @_ZN7rocprim6detail31init_lookback_scan_state_kernelINS0_19lookback_scan_stateImLb0ELb1EEEEEvT_jjPNS4_10value_typeE
; %bb.0:
	s_load_dword s3, s[0:1], 0x24
	s_load_dwordx2 s[8:9], s[0:1], 0x10
	s_load_dwordx4 s[4:7], s[0:1], 0x0
	s_waitcnt lgkmcnt(0)
	s_and_b32 s0, s3, 0xffff
	s_mul_i32 s2, s2, s0
	s_cmp_eq_u64 s[8:9], 0
	v_add_u32_e32 v0, s2, v0
	s_cbranch_scc1 .LBB28_8
; %bb.1:
	s_cmp_lt_u32 s7, s6
	s_cselect_b32 s0, s7, 0
	s_mov_b32 s3, 0
	v_cmp_eq_u32_e32 vcc, s0, v0
	s_and_saveexec_b64 s[0:1], vcc
	s_cbranch_execz .LBB28_7
; %bb.2:
	s_add_i32 s2, s7, 64
	s_lshl_b64 s[2:3], s[2:3], 4
	s_add_u32 s12, s4, s2
	s_addc_u32 s13, s5, s3
	v_mov_b64_e32 v[2:3], s[12:13]
	;;#ASMSTART
	global_load_dwordx4 v[2:5], v[2:3] off sc1	
s_waitcnt vmcnt(0)
	;;#ASMEND
	v_mov_b32_e32 v7, 0
	v_and_b32_e32 v6, 0xff, v4
	s_mov_b64 s[10:11], 0
	v_cmp_eq_u64_e32 vcc, 0, v[6:7]
	s_and_saveexec_b64 s[2:3], vcc
	s_cbranch_execz .LBB28_6
; %bb.3:
	v_mov_b64_e32 v[8:9], s[12:13]
.LBB28_4:                               ; =>This Inner Loop Header: Depth=1
	;;#ASMSTART
	global_load_dwordx4 v[2:5], v[8:9] off sc1	
s_waitcnt vmcnt(0)
	;;#ASMEND
	s_nop 0
	v_and_b32_e32 v6, 0xff, v4
	v_cmp_ne_u64_e32 vcc, 0, v[6:7]
	s_or_b64 s[10:11], vcc, s[10:11]
	s_andn2_b64 exec, exec, s[10:11]
	s_cbranch_execnz .LBB28_4
; %bb.5:
	s_or_b64 exec, exec, s[10:11]
.LBB28_6:
	s_or_b64 exec, exec, s[2:3]
	v_mov_b32_e32 v1, 0
	global_store_dwordx2 v1, v[2:3], s[8:9]
.LBB28_7:
	s_or_b64 exec, exec, s[0:1]
.LBB28_8:
	v_cmp_gt_u32_e32 vcc, s6, v0
	s_and_saveexec_b64 s[0:1], vcc
	s_cbranch_execnz .LBB28_11
; %bb.9:
	s_or_b64 exec, exec, s[0:1]
	v_cmp_gt_u32_e32 vcc, 64, v0
	s_and_saveexec_b64 s[0:1], vcc
	s_cbranch_execnz .LBB28_12
.LBB28_10:
	s_endpgm
.LBB28_11:
	v_add_u32_e32 v2, 64, v0
	v_mov_b32_e32 v3, 0
	v_lshl_add_u64 v[6:7], v[2:3], 4, s[4:5]
	v_mov_b32_e32 v2, v3
	v_mov_b32_e32 v4, v3
	;; [unrolled: 1-line block ×3, first 2 shown]
	global_store_dwordx4 v[6:7], v[2:5], off
	s_or_b64 exec, exec, s[0:1]
	v_cmp_gt_u32_e32 vcc, 64, v0
	s_and_saveexec_b64 s[0:1], vcc
	s_cbranch_execz .LBB28_10
.LBB28_12:
	v_mov_b32_e32 v1, 0
	v_lshl_add_u64 v[4:5], v[0:1], 4, s[4:5]
	v_mov_b32_e32 v2, 0xff
	v_mov_b32_e32 v0, v1
	;; [unrolled: 1-line block ×3, first 2 shown]
	global_store_dwordx4 v[4:5], v[0:3], off
	s_endpgm
	.section	.rodata,"a",@progbits
	.p2align	6, 0x0
	.amdhsa_kernel _ZN7rocprim6detail31init_lookback_scan_state_kernelINS0_19lookback_scan_stateImLb0ELb1EEEEEvT_jjPNS4_10value_typeE
		.amdhsa_group_segment_fixed_size 0
		.amdhsa_private_segment_fixed_size 0
		.amdhsa_kernarg_size 280
		.amdhsa_user_sgpr_count 2
		.amdhsa_user_sgpr_dispatch_ptr 0
		.amdhsa_user_sgpr_queue_ptr 0
		.amdhsa_user_sgpr_kernarg_segment_ptr 1
		.amdhsa_user_sgpr_dispatch_id 0
		.amdhsa_user_sgpr_kernarg_preload_length 0
		.amdhsa_user_sgpr_kernarg_preload_offset 0
		.amdhsa_user_sgpr_private_segment_size 0
		.amdhsa_uses_dynamic_stack 0
		.amdhsa_enable_private_segment 0
		.amdhsa_system_sgpr_workgroup_id_x 1
		.amdhsa_system_sgpr_workgroup_id_y 0
		.amdhsa_system_sgpr_workgroup_id_z 0
		.amdhsa_system_sgpr_workgroup_info 0
		.amdhsa_system_vgpr_workitem_id 0
		.amdhsa_next_free_vgpr 10
		.amdhsa_next_free_sgpr 14
		.amdhsa_accum_offset 12
		.amdhsa_reserve_vcc 1
		.amdhsa_float_round_mode_32 0
		.amdhsa_float_round_mode_16_64 0
		.amdhsa_float_denorm_mode_32 3
		.amdhsa_float_denorm_mode_16_64 3
		.amdhsa_dx10_clamp 1
		.amdhsa_ieee_mode 1
		.amdhsa_fp16_overflow 0
		.amdhsa_tg_split 0
		.amdhsa_exception_fp_ieee_invalid_op 0
		.amdhsa_exception_fp_denorm_src 0
		.amdhsa_exception_fp_ieee_div_zero 0
		.amdhsa_exception_fp_ieee_overflow 0
		.amdhsa_exception_fp_ieee_underflow 0
		.amdhsa_exception_fp_ieee_inexact 0
		.amdhsa_exception_int_div_zero 0
	.end_amdhsa_kernel
	.section	.text._ZN7rocprim6detail31init_lookback_scan_state_kernelINS0_19lookback_scan_stateImLb0ELb1EEEEEvT_jjPNS4_10value_typeE,"axG",@progbits,_ZN7rocprim6detail31init_lookback_scan_state_kernelINS0_19lookback_scan_stateImLb0ELb1EEEEEvT_jjPNS4_10value_typeE,comdat
.Lfunc_end28:
	.size	_ZN7rocprim6detail31init_lookback_scan_state_kernelINS0_19lookback_scan_stateImLb0ELb1EEEEEvT_jjPNS4_10value_typeE, .Lfunc_end28-_ZN7rocprim6detail31init_lookback_scan_state_kernelINS0_19lookback_scan_stateImLb0ELb1EEEEEvT_jjPNS4_10value_typeE
                                        ; -- End function
	.section	.AMDGPU.csdata,"",@progbits
; Kernel info:
; codeLenInByte = 336
; NumSgprs: 20
; NumVgprs: 10
; NumAgprs: 0
; TotalNumVgprs: 10
; ScratchSize: 0
; MemoryBound: 0
; FloatMode: 240
; IeeeMode: 1
; LDSByteSize: 0 bytes/workgroup (compile time only)
; SGPRBlocks: 2
; VGPRBlocks: 1
; NumSGPRsForWavesPerEU: 20
; NumVGPRsForWavesPerEU: 10
; AccumOffset: 12
; Occupancy: 8
; WaveLimiterHint : 0
; COMPUTE_PGM_RSRC2:SCRATCH_EN: 0
; COMPUTE_PGM_RSRC2:USER_SGPR: 2
; COMPUTE_PGM_RSRC2:TRAP_HANDLER: 0
; COMPUTE_PGM_RSRC2:TGID_X_EN: 1
; COMPUTE_PGM_RSRC2:TGID_Y_EN: 0
; COMPUTE_PGM_RSRC2:TGID_Z_EN: 0
; COMPUTE_PGM_RSRC2:TIDIG_COMP_CNT: 0
; COMPUTE_PGM_RSRC3_GFX90A:ACCUM_OFFSET: 2
; COMPUTE_PGM_RSRC3_GFX90A:TG_SPLIT: 0
	.section	.text._ZN7rocprim6detail20lookback_scan_kernelILNS0_25lookback_scan_determinismE0ELb0ENS0_19wrapped_scan_configINS_14default_configEmEEPmS6_N6hipcub3SumEmmNS0_19lookback_scan_stateImLb1ELb1EEEEEvT2_T3_mT5_T4_T7_jPT6_SH_bb,"axG",@progbits,_ZN7rocprim6detail20lookback_scan_kernelILNS0_25lookback_scan_determinismE0ELb0ENS0_19wrapped_scan_configINS_14default_configEmEEPmS6_N6hipcub3SumEmmNS0_19lookback_scan_stateImLb1ELb1EEEEEvT2_T3_mT5_T4_T7_jPT6_SH_bb,comdat
	.protected	_ZN7rocprim6detail20lookback_scan_kernelILNS0_25lookback_scan_determinismE0ELb0ENS0_19wrapped_scan_configINS_14default_configEmEEPmS6_N6hipcub3SumEmmNS0_19lookback_scan_stateImLb1ELb1EEEEEvT2_T3_mT5_T4_T7_jPT6_SH_bb ; -- Begin function _ZN7rocprim6detail20lookback_scan_kernelILNS0_25lookback_scan_determinismE0ELb0ENS0_19wrapped_scan_configINS_14default_configEmEEPmS6_N6hipcub3SumEmmNS0_19lookback_scan_stateImLb1ELb1EEEEEvT2_T3_mT5_T4_T7_jPT6_SH_bb
	.globl	_ZN7rocprim6detail20lookback_scan_kernelILNS0_25lookback_scan_determinismE0ELb0ENS0_19wrapped_scan_configINS_14default_configEmEEPmS6_N6hipcub3SumEmmNS0_19lookback_scan_stateImLb1ELb1EEEEEvT2_T3_mT5_T4_T7_jPT6_SH_bb
	.p2align	8
	.type	_ZN7rocprim6detail20lookback_scan_kernelILNS0_25lookback_scan_determinismE0ELb0ENS0_19wrapped_scan_configINS_14default_configEmEEPmS6_N6hipcub3SumEmmNS0_19lookback_scan_stateImLb1ELb1EEEEEvT2_T3_mT5_T4_T7_jPT6_SH_bb,@function
_ZN7rocprim6detail20lookback_scan_kernelILNS0_25lookback_scan_determinismE0ELb0ENS0_19wrapped_scan_configINS_14default_configEmEEPmS6_N6hipcub3SumEmmNS0_19lookback_scan_stateImLb1ELb1EEEEEvT2_T3_mT5_T4_T7_jPT6_SH_bb: ; @_ZN7rocprim6detail20lookback_scan_kernelILNS0_25lookback_scan_determinismE0ELb0ENS0_19wrapped_scan_configINS_14default_configEmEEPmS6_N6hipcub3SumEmmNS0_19lookback_scan_stateImLb1ELb1EEEEEvT2_T3_mT5_T4_T7_jPT6_SH_bb
; %bb.0:
	s_endpgm
	.section	.rodata,"a",@progbits
	.p2align	6, 0x0
	.amdhsa_kernel _ZN7rocprim6detail20lookback_scan_kernelILNS0_25lookback_scan_determinismE0ELb0ENS0_19wrapped_scan_configINS_14default_configEmEEPmS6_N6hipcub3SumEmmNS0_19lookback_scan_stateImLb1ELb1EEEEEvT2_T3_mT5_T4_T7_jPT6_SH_bb
		.amdhsa_group_segment_fixed_size 0
		.amdhsa_private_segment_fixed_size 0
		.amdhsa_kernarg_size 76
		.amdhsa_user_sgpr_count 2
		.amdhsa_user_sgpr_dispatch_ptr 0
		.amdhsa_user_sgpr_queue_ptr 0
		.amdhsa_user_sgpr_kernarg_segment_ptr 1
		.amdhsa_user_sgpr_dispatch_id 0
		.amdhsa_user_sgpr_kernarg_preload_length 0
		.amdhsa_user_sgpr_kernarg_preload_offset 0
		.amdhsa_user_sgpr_private_segment_size 0
		.amdhsa_uses_dynamic_stack 0
		.amdhsa_enable_private_segment 0
		.amdhsa_system_sgpr_workgroup_id_x 1
		.amdhsa_system_sgpr_workgroup_id_y 0
		.amdhsa_system_sgpr_workgroup_id_z 0
		.amdhsa_system_sgpr_workgroup_info 0
		.amdhsa_system_vgpr_workitem_id 0
		.amdhsa_next_free_vgpr 1
		.amdhsa_next_free_sgpr 0
		.amdhsa_accum_offset 4
		.amdhsa_reserve_vcc 0
		.amdhsa_float_round_mode_32 0
		.amdhsa_float_round_mode_16_64 0
		.amdhsa_float_denorm_mode_32 3
		.amdhsa_float_denorm_mode_16_64 3
		.amdhsa_dx10_clamp 1
		.amdhsa_ieee_mode 1
		.amdhsa_fp16_overflow 0
		.amdhsa_tg_split 0
		.amdhsa_exception_fp_ieee_invalid_op 0
		.amdhsa_exception_fp_denorm_src 0
		.amdhsa_exception_fp_ieee_div_zero 0
		.amdhsa_exception_fp_ieee_overflow 0
		.amdhsa_exception_fp_ieee_underflow 0
		.amdhsa_exception_fp_ieee_inexact 0
		.amdhsa_exception_int_div_zero 0
	.end_amdhsa_kernel
	.section	.text._ZN7rocprim6detail20lookback_scan_kernelILNS0_25lookback_scan_determinismE0ELb0ENS0_19wrapped_scan_configINS_14default_configEmEEPmS6_N6hipcub3SumEmmNS0_19lookback_scan_stateImLb1ELb1EEEEEvT2_T3_mT5_T4_T7_jPT6_SH_bb,"axG",@progbits,_ZN7rocprim6detail20lookback_scan_kernelILNS0_25lookback_scan_determinismE0ELb0ENS0_19wrapped_scan_configINS_14default_configEmEEPmS6_N6hipcub3SumEmmNS0_19lookback_scan_stateImLb1ELb1EEEEEvT2_T3_mT5_T4_T7_jPT6_SH_bb,comdat
.Lfunc_end29:
	.size	_ZN7rocprim6detail20lookback_scan_kernelILNS0_25lookback_scan_determinismE0ELb0ENS0_19wrapped_scan_configINS_14default_configEmEEPmS6_N6hipcub3SumEmmNS0_19lookback_scan_stateImLb1ELb1EEEEEvT2_T3_mT5_T4_T7_jPT6_SH_bb, .Lfunc_end29-_ZN7rocprim6detail20lookback_scan_kernelILNS0_25lookback_scan_determinismE0ELb0ENS0_19wrapped_scan_configINS_14default_configEmEEPmS6_N6hipcub3SumEmmNS0_19lookback_scan_stateImLb1ELb1EEEEEvT2_T3_mT5_T4_T7_jPT6_SH_bb
                                        ; -- End function
	.section	.AMDGPU.csdata,"",@progbits
; Kernel info:
; codeLenInByte = 4
; NumSgprs: 6
; NumVgprs: 0
; NumAgprs: 0
; TotalNumVgprs: 0
; ScratchSize: 0
; MemoryBound: 0
; FloatMode: 240
; IeeeMode: 1
; LDSByteSize: 0 bytes/workgroup (compile time only)
; SGPRBlocks: 0
; VGPRBlocks: 0
; NumSGPRsForWavesPerEU: 6
; NumVGPRsForWavesPerEU: 1
; AccumOffset: 4
; Occupancy: 8
; WaveLimiterHint : 0
; COMPUTE_PGM_RSRC2:SCRATCH_EN: 0
; COMPUTE_PGM_RSRC2:USER_SGPR: 2
; COMPUTE_PGM_RSRC2:TRAP_HANDLER: 0
; COMPUTE_PGM_RSRC2:TGID_X_EN: 1
; COMPUTE_PGM_RSRC2:TGID_Y_EN: 0
; COMPUTE_PGM_RSRC2:TGID_Z_EN: 0
; COMPUTE_PGM_RSRC2:TIDIG_COMP_CNT: 0
; COMPUTE_PGM_RSRC3_GFX90A:ACCUM_OFFSET: 0
; COMPUTE_PGM_RSRC3_GFX90A:TG_SPLIT: 0
	.section	.text._ZN7rocprim6detail20lookback_scan_kernelILNS0_25lookback_scan_determinismE0ELb0ENS0_19wrapped_scan_configINS_14default_configEmEEPmS6_N6hipcub3SumEmmNS0_19lookback_scan_stateImLb0ELb1EEEEEvT2_T3_mT5_T4_T7_jPT6_SH_bb,"axG",@progbits,_ZN7rocprim6detail20lookback_scan_kernelILNS0_25lookback_scan_determinismE0ELb0ENS0_19wrapped_scan_configINS_14default_configEmEEPmS6_N6hipcub3SumEmmNS0_19lookback_scan_stateImLb0ELb1EEEEEvT2_T3_mT5_T4_T7_jPT6_SH_bb,comdat
	.protected	_ZN7rocprim6detail20lookback_scan_kernelILNS0_25lookback_scan_determinismE0ELb0ENS0_19wrapped_scan_configINS_14default_configEmEEPmS6_N6hipcub3SumEmmNS0_19lookback_scan_stateImLb0ELb1EEEEEvT2_T3_mT5_T4_T7_jPT6_SH_bb ; -- Begin function _ZN7rocprim6detail20lookback_scan_kernelILNS0_25lookback_scan_determinismE0ELb0ENS0_19wrapped_scan_configINS_14default_configEmEEPmS6_N6hipcub3SumEmmNS0_19lookback_scan_stateImLb0ELb1EEEEEvT2_T3_mT5_T4_T7_jPT6_SH_bb
	.globl	_ZN7rocprim6detail20lookback_scan_kernelILNS0_25lookback_scan_determinismE0ELb0ENS0_19wrapped_scan_configINS_14default_configEmEEPmS6_N6hipcub3SumEmmNS0_19lookback_scan_stateImLb0ELb1EEEEEvT2_T3_mT5_T4_T7_jPT6_SH_bb
	.p2align	8
	.type	_ZN7rocprim6detail20lookback_scan_kernelILNS0_25lookback_scan_determinismE0ELb0ENS0_19wrapped_scan_configINS_14default_configEmEEPmS6_N6hipcub3SumEmmNS0_19lookback_scan_stateImLb0ELb1EEEEEvT2_T3_mT5_T4_T7_jPT6_SH_bb,@function
_ZN7rocprim6detail20lookback_scan_kernelILNS0_25lookback_scan_determinismE0ELb0ENS0_19wrapped_scan_configINS_14default_configEmEEPmS6_N6hipcub3SumEmmNS0_19lookback_scan_stateImLb0ELb1EEEEEvT2_T3_mT5_T4_T7_jPT6_SH_bb: ; @_ZN7rocprim6detail20lookback_scan_kernelILNS0_25lookback_scan_determinismE0ELb0ENS0_19wrapped_scan_configINS_14default_configEmEEPmS6_N6hipcub3SumEmmNS0_19lookback_scan_stateImLb0ELb1EEEEEvT2_T3_mT5_T4_T7_jPT6_SH_bb
; %bb.0:
	s_load_dword s3, s[0:1], 0x30
	s_load_dwordx4 s[12:15], s[0:1], 0x0
	s_load_dwordx2 s[4:5], s[0:1], 0x10
	s_mul_i32 s6, s2, 0xf00
	s_mov_b32 s7, 0
	s_waitcnt lgkmcnt(0)
	s_add_i32 s3, s3, -1
	s_mul_i32 s8, s3, 0xf00
	s_sub_u32 s24, s4, s8
	s_subb_u32 s25, s5, 0
	s_cmp_lg_u32 s2, s3
	s_cselect_b64 s[16:17], -1, 0
	s_lshl_b64 s[18:19], s[6:7], 3
	s_add_u32 s6, s12, s18
	s_addc_u32 s7, s13, s19
	s_mov_b64 s[4:5], -1
	s_and_b64 vcc, exec, s[16:17]
	v_lshlrev_b32_e32 v62, 3, v0
	s_cbranch_vccz .LBB30_2
; %bb.1:
	v_mov_b32_e32 v63, 0
	v_lshl_add_u64 v[2:3], s[6:7], 0, v[62:63]
	v_add_co_u32_e32 v8, vcc, 0x1000, v2
	global_load_dwordx2 v[4:5], v62, s[6:7]
	global_load_dwordx2 v[6:7], v62, s[6:7] offset:2048
	v_addc_co_u32_e32 v9, vcc, 0, v3, vcc
	v_add_co_u32_e32 v10, vcc, 0x2000, v2
	s_mov_b64 s[4:5], 0
	s_nop 0
	v_addc_co_u32_e32 v11, vcc, 0, v3, vcc
	global_load_dwordx2 v[12:13], v[8:9], off
	global_load_dwordx2 v[14:15], v[8:9], off offset:2048
	global_load_dwordx2 v[16:17], v[10:11], off
	global_load_dwordx2 v[18:19], v[10:11], off offset:2048
	v_add_co_u32_e32 v8, vcc, 0x3000, v2
	s_nop 1
	v_addc_co_u32_e32 v9, vcc, 0, v3, vcc
	v_add_co_u32_e32 v10, vcc, 0x4000, v2
	s_nop 1
	v_addc_co_u32_e32 v11, vcc, 0, v3, vcc
	global_load_dwordx2 v[20:21], v[8:9], off
	global_load_dwordx2 v[22:23], v[8:9], off offset:2048
	global_load_dwordx2 v[24:25], v[10:11], off
	global_load_dwordx2 v[26:27], v[10:11], off offset:2048
	v_add_co_u32_e32 v8, vcc, 0x5000, v2
	s_nop 1
	v_addc_co_u32_e32 v9, vcc, 0, v3, vcc
	v_add_co_u32_e32 v10, vcc, 0x6000, v2
	s_nop 1
	v_addc_co_u32_e32 v11, vcc, 0, v3, vcc
	global_load_dwordx2 v[28:29], v[8:9], off
	global_load_dwordx2 v[30:31], v[8:9], off offset:2048
	global_load_dwordx2 v[32:33], v[10:11], off
	global_load_dwordx2 v[34:35], v[10:11], off offset:2048
	v_add_co_u32_e32 v2, vcc, 0x7000, v2
	s_nop 1
	v_addc_co_u32_e32 v3, vcc, 0, v3, vcc
	global_load_dwordx2 v[2:3], v[2:3], off
	s_waitcnt vmcnt(13)
	ds_write2st64_b64 v62, v[4:5], v[6:7] offset1:4
	s_waitcnt vmcnt(11)
	ds_write2st64_b64 v62, v[12:13], v[14:15] offset0:8 offset1:12
	s_waitcnt vmcnt(9)
	ds_write2st64_b64 v62, v[16:17], v[18:19] offset0:16 offset1:20
	;; [unrolled: 2-line block ×6, first 2 shown]
	s_waitcnt vmcnt(0)
	ds_write_b64 v62, v[2:3] offset:28672
	s_waitcnt lgkmcnt(0)
	s_barrier
.LBB30_2:
	s_andn2_b64 vcc, exec, s[4:5]
	v_cmp_gt_u32_e64 s[4:5], s24, v0
	s_cbranch_vccnz .LBB30_34
; %bb.3:
	s_load_dwordx2 s[36:37], s[6:7], 0x0
	v_mov_b32_e32 v63, 0
	v_lshl_add_u64 v[34:35], s[6:7], 0, v[62:63]
	s_waitcnt lgkmcnt(0)
	s_mov_b32 s38, s36
	s_mov_b32 s39, s37
	;; [unrolled: 1-line block ×28, first 2 shown]
	v_mov_b64_e32 v[2:3], s[36:37]
	v_mov_b64_e32 v[4:5], s[38:39]
	;; [unrolled: 1-line block ×16, first 2 shown]
	s_and_saveexec_b64 s[6:7], s[4:5]
	s_cbranch_execz .LBB30_5
; %bb.4:
	global_load_dwordx2 v[2:3], v[34:35], off
	v_mov_b32_e32 v4, s36
	v_mov_b32_e32 v5, s37
	;; [unrolled: 1-line block ×28, first 2 shown]
.LBB30_5:
	s_or_b64 exec, exec, s[6:7]
	v_or_b32_e32 v1, 0x100, v0
	v_cmp_gt_u32_e32 vcc, s24, v1
	s_and_saveexec_b64 s[4:5], vcc
	s_cbranch_execz .LBB30_7
; %bb.6:
	global_load_dwordx2 v[4:5], v[34:35], off offset:2048
.LBB30_7:
	s_or_b64 exec, exec, s[4:5]
	v_or_b32_e32 v1, 0x200, v0
	v_cmp_gt_u32_e32 vcc, s24, v1
	s_and_saveexec_b64 s[4:5], vcc
	s_cbranch_execz .LBB30_9
; %bb.8:
	v_add_co_u32_e32 v6, vcc, 0x1000, v34
	s_nop 1
	v_addc_co_u32_e32 v7, vcc, 0, v35, vcc
	global_load_dwordx2 v[6:7], v[6:7], off
.LBB30_9:
	s_or_b64 exec, exec, s[4:5]
	v_or_b32_e32 v1, 0x300, v0
	v_cmp_gt_u32_e32 vcc, s24, v1
	s_and_saveexec_b64 s[4:5], vcc
	s_cbranch_execz .LBB30_11
; %bb.10:
	v_add_co_u32_e32 v8, vcc, 0x1000, v34
	s_nop 1
	v_addc_co_u32_e32 v9, vcc, 0, v35, vcc
	global_load_dwordx2 v[8:9], v[8:9], off offset:2048
.LBB30_11:
	s_or_b64 exec, exec, s[4:5]
	v_or_b32_e32 v1, 0x400, v0
	v_cmp_gt_u32_e32 vcc, s24, v1
	s_and_saveexec_b64 s[4:5], vcc
	s_cbranch_execz .LBB30_13
; %bb.12:
	v_add_co_u32_e32 v10, vcc, 0x2000, v34
	s_nop 1
	v_addc_co_u32_e32 v11, vcc, 0, v35, vcc
	global_load_dwordx2 v[10:11], v[10:11], off
.LBB30_13:
	s_or_b64 exec, exec, s[4:5]
	v_or_b32_e32 v1, 0x500, v0
	v_cmp_gt_u32_e32 vcc, s24, v1
	s_and_saveexec_b64 s[4:5], vcc
	s_cbranch_execz .LBB30_15
; %bb.14:
	v_add_co_u32_e32 v12, vcc, 0x2000, v34
	s_nop 1
	v_addc_co_u32_e32 v13, vcc, 0, v35, vcc
	global_load_dwordx2 v[12:13], v[12:13], off offset:2048
.LBB30_15:
	s_or_b64 exec, exec, s[4:5]
	v_or_b32_e32 v1, 0x600, v0
	v_cmp_gt_u32_e32 vcc, s24, v1
	s_and_saveexec_b64 s[4:5], vcc
	s_cbranch_execz .LBB30_17
; %bb.16:
	v_add_co_u32_e32 v14, vcc, 0x3000, v34
	s_nop 1
	v_addc_co_u32_e32 v15, vcc, 0, v35, vcc
	global_load_dwordx2 v[14:15], v[14:15], off
.LBB30_17:
	s_or_b64 exec, exec, s[4:5]
	v_or_b32_e32 v1, 0x700, v0
	v_cmp_gt_u32_e32 vcc, s24, v1
	s_and_saveexec_b64 s[4:5], vcc
	s_cbranch_execz .LBB30_19
; %bb.18:
	v_add_co_u32_e32 v16, vcc, 0x3000, v34
	s_nop 1
	v_addc_co_u32_e32 v17, vcc, 0, v35, vcc
	global_load_dwordx2 v[16:17], v[16:17], off offset:2048
.LBB30_19:
	s_or_b64 exec, exec, s[4:5]
	v_or_b32_e32 v1, 0x800, v0
	v_cmp_gt_u32_e32 vcc, s24, v1
	s_and_saveexec_b64 s[4:5], vcc
	s_cbranch_execz .LBB30_21
; %bb.20:
	v_add_co_u32_e32 v18, vcc, 0x4000, v34
	s_nop 1
	v_addc_co_u32_e32 v19, vcc, 0, v35, vcc
	global_load_dwordx2 v[18:19], v[18:19], off
.LBB30_21:
	s_or_b64 exec, exec, s[4:5]
	v_or_b32_e32 v1, 0x900, v0
	v_cmp_gt_u32_e32 vcc, s24, v1
	s_and_saveexec_b64 s[4:5], vcc
	s_cbranch_execz .LBB30_23
; %bb.22:
	v_add_co_u32_e32 v20, vcc, 0x4000, v34
	s_nop 1
	v_addc_co_u32_e32 v21, vcc, 0, v35, vcc
	global_load_dwordx2 v[20:21], v[20:21], off offset:2048
.LBB30_23:
	s_or_b64 exec, exec, s[4:5]
	v_or_b32_e32 v1, 0xa00, v0
	v_cmp_gt_u32_e32 vcc, s24, v1
	s_and_saveexec_b64 s[4:5], vcc
	s_cbranch_execz .LBB30_25
; %bb.24:
	v_add_co_u32_e32 v22, vcc, 0x5000, v34
	s_nop 1
	v_addc_co_u32_e32 v23, vcc, 0, v35, vcc
	global_load_dwordx2 v[22:23], v[22:23], off
.LBB30_25:
	s_or_b64 exec, exec, s[4:5]
	v_or_b32_e32 v1, 0xb00, v0
	v_cmp_gt_u32_e32 vcc, s24, v1
	s_and_saveexec_b64 s[4:5], vcc
	s_cbranch_execz .LBB30_27
; %bb.26:
	v_add_co_u32_e32 v24, vcc, 0x5000, v34
	s_nop 1
	v_addc_co_u32_e32 v25, vcc, 0, v35, vcc
	global_load_dwordx2 v[24:25], v[24:25], off offset:2048
.LBB30_27:
	s_or_b64 exec, exec, s[4:5]
	v_or_b32_e32 v1, 0xc00, v0
	v_cmp_gt_u32_e32 vcc, s24, v1
	s_and_saveexec_b64 s[4:5], vcc
	s_cbranch_execz .LBB30_29
; %bb.28:
	v_add_co_u32_e32 v26, vcc, 0x6000, v34
	s_nop 1
	v_addc_co_u32_e32 v27, vcc, 0, v35, vcc
	global_load_dwordx2 v[26:27], v[26:27], off
.LBB30_29:
	s_or_b64 exec, exec, s[4:5]
	v_or_b32_e32 v1, 0xd00, v0
	v_cmp_gt_u32_e32 vcc, s24, v1
	s_and_saveexec_b64 s[4:5], vcc
	s_cbranch_execz .LBB30_31
; %bb.30:
	v_add_co_u32_e32 v28, vcc, 0x6000, v34
	s_nop 1
	v_addc_co_u32_e32 v29, vcc, 0, v35, vcc
	global_load_dwordx2 v[28:29], v[28:29], off offset:2048
.LBB30_31:
	s_or_b64 exec, exec, s[4:5]
	v_or_b32_e32 v1, 0xe00, v0
	v_cmp_gt_u32_e32 vcc, s24, v1
	s_and_saveexec_b64 s[4:5], vcc
	s_cbranch_execz .LBB30_33
; %bb.32:
	v_add_co_u32_e32 v30, vcc, 0x7000, v34
	s_nop 1
	v_addc_co_u32_e32 v31, vcc, 0, v35, vcc
	global_load_dwordx2 v[30:31], v[30:31], off
.LBB30_33:
	s_or_b64 exec, exec, s[4:5]
	s_waitcnt vmcnt(0)
	ds_write2st64_b64 v62, v[2:3], v[4:5] offset1:4
	ds_write2st64_b64 v62, v[6:7], v[8:9] offset0:8 offset1:12
	ds_write2st64_b64 v62, v[10:11], v[12:13] offset0:16 offset1:20
	ds_write2st64_b64 v62, v[14:15], v[16:17] offset0:24 offset1:28
	ds_write2st64_b64 v62, v[18:19], v[20:21] offset0:32 offset1:36
	ds_write2st64_b64 v62, v[22:23], v[24:25] offset0:40 offset1:44
	ds_write2st64_b64 v62, v[26:27], v[28:29] offset0:48 offset1:52
	ds_write_b64 v62, v[30:31] offset:28672
	s_waitcnt lgkmcnt(0)
	s_barrier
.LBB30_34:
	v_mul_u32_u24_e32 v66, 15, v0
	v_lshlrev_b32_e32 v1, 3, v66
	ds_read2_b64 v[34:37], v1 offset1:1
	ds_read2_b64 v[38:41], v1 offset0:2 offset1:3
	ds_read2_b64 v[42:45], v1 offset0:4 offset1:5
	;; [unrolled: 1-line block ×6, first 2 shown]
	ds_read_b64 v[64:65], v1 offset:112
	s_load_dwordx2 s[20:21], s[0:1], 0x28
	s_cmp_lg_u32 s2, 0
	v_lshrrev_b32_e32 v1, 5, v0
	v_cmp_gt_u32_e32 vcc, 64, v0
	s_waitcnt lgkmcnt(0)
	s_barrier
	s_cbranch_scc0 .LBB30_59
; %bb.35:
	v_lshl_add_u64 v[2:3], v[36:37], 0, v[34:35]
	v_lshl_add_u64 v[2:3], v[2:3], 0, v[38:39]
	;; [unrolled: 1-line block ×14, first 2 shown]
	v_add_lshl_u32 v4, v1, v0, 3
	ds_write_b64 v4, v[2:3]
	s_waitcnt lgkmcnt(0)
	s_barrier
	s_and_saveexec_b64 s[6:7], vcc
	s_cbranch_execz .LBB30_37
; %bb.36:
	v_lshlrev_b32_e32 v4, 2, v0
	v_lshrrev_b32_e32 v5, 3, v0
	v_add_lshl_u32 v20, v5, v4, 3
	ds_read2_b64 v[4:7], v20 offset1:1
	ds_read2_b64 v[8:11], v20 offset0:2 offset1:3
	v_mbcnt_lo_u32_b32 v13, -1, 0
	v_mov_b32_e32 v12, 0
	v_mbcnt_hi_u32_b32 v21, -1, v13
	s_waitcnt lgkmcnt(1)
	v_lshl_add_u64 v[14:15], v[6:7], 0, v[4:5]
	s_waitcnt lgkmcnt(0)
	v_lshl_add_u64 v[14:15], v[14:15], 0, v[8:9]
	v_lshl_add_u64 v[14:15], v[14:15], 0, v[10:11]
	v_and_b32_e32 v22, 15, v21
	v_mov_b32_e32 v17, v12
	v_mov_b32_dpp v16, v14 row_shr:1 row_mask:0xf bank_mask:0xf
	v_mov_b32_dpp v13, v15 row_shr:1 row_mask:0xf bank_mask:0xf
	v_lshl_add_u64 v[16:17], v[14:15], 0, v[16:17]
	v_cmp_eq_u32_e64 s[4:5], 0, v22
	v_lshl_add_u64 v[18:19], v[12:13], 0, v[16:17]
	v_mov_b32_e32 v17, v12
	v_cndmask_b32_e64 v23, v16, v14, s[4:5]
	v_cndmask_b32_e64 v15, v19, v15, s[4:5]
	v_cndmask_b32_e64 v14, v18, v14, s[4:5]
	v_mov_b32_dpp v16, v23 row_shr:2 row_mask:0xf bank_mask:0xf
	v_mov_b32_dpp v13, v15 row_shr:2 row_mask:0xf bank_mask:0xf
	v_lshl_add_u64 v[16:17], v[14:15], 0, v[16:17]
	v_cmp_lt_u32_e64 s[4:5], 1, v22
	v_lshl_add_u64 v[18:19], v[16:17], 0, v[12:13]
	v_mov_b32_e32 v17, v12
	v_cndmask_b32_e64 v23, v23, v16, s[4:5]
	v_cndmask_b32_e64 v15, v15, v19, s[4:5]
	v_cndmask_b32_e64 v14, v14, v18, s[4:5]
	v_mov_b32_dpp v16, v23 row_shr:4 row_mask:0xf bank_mask:0xf
	v_mov_b32_dpp v13, v15 row_shr:4 row_mask:0xf bank_mask:0xf
	v_lshl_add_u64 v[16:17], v[14:15], 0, v[16:17]
	v_cmp_lt_u32_e64 s[4:5], 3, v22
	;; [unrolled: 9-line block ×3, first 2 shown]
	v_lshl_add_u64 v[18:19], v[16:17], 0, v[12:13]
	v_mov_b32_e32 v17, v12
	v_cndmask_b32_e64 v22, v23, v16, s[4:5]
	v_cndmask_b32_e64 v15, v15, v19, s[4:5]
	;; [unrolled: 1-line block ×3, first 2 shown]
	v_mov_b32_dpp v16, v22 row_bcast:15 row_mask:0xf bank_mask:0xf
	v_and_b32_e32 v23, 16, v21
	v_mov_b32_dpp v13, v15 row_bcast:15 row_mask:0xf bank_mask:0xf
	v_lshl_add_u64 v[16:17], v[14:15], 0, v[16:17]
	v_cmp_eq_u32_e64 s[4:5], 0, v23
	v_lshl_add_u64 v[18:19], v[16:17], 0, v[12:13]
	v_mov_b32_e32 v17, v12
	v_cndmask_b32_e64 v13, v16, v22, s[4:5]
	v_cndmask_b32_e64 v15, v19, v15, s[4:5]
	;; [unrolled: 1-line block ×3, first 2 shown]
	v_mov_b32_dpp v16, v13 row_bcast:31 row_mask:0xf bank_mask:0xf
	v_mov_b32_dpp v18, v15 row_bcast:31 row_mask:0xf bank_mask:0xf
	v_lshl_add_u64 v[16:17], v[14:15], 0, v[16:17]
	v_add_u32_e32 v14, v18, v17
	v_cmp_lt_u32_e64 s[4:5], 31, v21
	s_nop 1
	v_cndmask_b32_e64 v13, v13, v16, s[4:5]
	v_cndmask_b32_e64 v15, v15, v14, s[4:5]
	v_add_u32_e32 v14, -1, v21
	v_and_b32_e32 v16, 64, v21
	v_cmp_lt_i32_e64 s[4:5], v14, v16
	s_nop 1
	v_cndmask_b32_e64 v14, v14, v21, s[4:5]
	v_lshlrev_b32_e32 v16, 2, v14
	ds_bpermute_b32 v14, v16, v13
	ds_bpermute_b32 v13, v16, v15
	v_mov_b32_e32 v15, v12
	v_cmp_eq_u32_e64 s[4:5], 0, v0
	s_waitcnt lgkmcnt(1)
	v_lshl_add_u64 v[4:5], v[4:5], 0, v[14:15]
	s_waitcnt lgkmcnt(0)
	v_lshl_add_u64 v[4:5], v[4:5], 0, v[12:13]
	v_cndmask_b32_e64 v3, v5, v3, s[4:5]
	v_cndmask_b32_e64 v2, v4, v2, s[4:5]
	v_lshl_add_u64 v[4:5], v[2:3], 0, v[6:7]
	ds_write2_b64 v20, v[2:3], v[4:5] offset1:1
	v_lshl_add_u64 v[2:3], v[4:5], 0, v[8:9]
	v_lshl_add_u64 v[4:5], v[2:3], 0, v[10:11]
	ds_write2_b64 v20, v[2:3], v[4:5] offset0:2 offset1:3
.LBB30_37:
	s_or_b64 exec, exec, s[6:7]
	v_cmp_eq_u32_e64 s[6:7], 0, v0
	v_cmp_ne_u32_e64 s[4:5], 0, v0
	v_mov_b64_e32 v[10:11], 0
	s_waitcnt lgkmcnt(0)
	s_barrier
	s_and_saveexec_b64 s[8:9], s[4:5]
	s_cbranch_execz .LBB30_39
; %bb.38:
	v_add_u32_e32 v2, -1, v0
	v_lshrrev_b32_e32 v3, 5, v2
	v_add_lshl_u32 v2, v3, v2, 3
	ds_read_b64 v[10:11], v2
.LBB30_39:
	s_or_b64 exec, exec, s[8:9]
	s_and_saveexec_b64 s[22:23], vcc
	s_cbranch_execz .LBB30_58
; %bb.40:
	v_mov_b32_e32 v5, 0
	ds_read_b64 v[2:3], v5 offset:2096
	v_mbcnt_lo_u32_b32 v4, -1, 0
	v_mbcnt_hi_u32_b32 v16, -1, v4
	s_mov_b32 s11, 0
	v_cmp_eq_u32_e64 s[4:5], 0, v16
	s_and_saveexec_b64 s[8:9], s[4:5]
	s_cbranch_execz .LBB30_42
; %bb.41:
	s_add_i32 s10, s2, 64
	s_lshl_b64 s[10:11], s[10:11], 4
	s_add_u32 s10, s20, s10
	s_addc_u32 s11, s21, s11
	v_mov_b32_e32 v4, 1
	v_mov_b64_e32 v[6:7], s[10:11]
	s_waitcnt lgkmcnt(0)
	;;#ASMSTART
	global_store_dwordx4 v[6:7], v[2:5] off sc1	
s_waitcnt vmcnt(0)
	;;#ASMEND
.LBB30_42:
	s_or_b64 exec, exec, s[8:9]
	v_xad_u32 v12, v16, -1, s2
	v_add_u32_e32 v4, 64, v12
	v_lshl_add_u64 v[14:15], v[4:5], 4, s[20:21]
	;;#ASMSTART
	global_load_dwordx4 v[6:9], v[14:15] off sc1	
s_waitcnt vmcnt(0)
	;;#ASMEND
	s_nop 0
	v_cmp_eq_u16_sdwa s[10:11], v8, v5 src0_sel:BYTE_0 src1_sel:DWORD
	s_and_saveexec_b64 s[8:9], s[10:11]
	s_cbranch_execz .LBB30_46
; %bb.43:
	s_mov_b64 s[10:11], 0
	v_mov_b32_e32 v4, 0
.LBB30_44:                              ; =>This Inner Loop Header: Depth=1
	;;#ASMSTART
	global_load_dwordx4 v[6:9], v[14:15] off sc1	
s_waitcnt vmcnt(0)
	;;#ASMEND
	s_nop 0
	v_cmp_ne_u16_sdwa s[12:13], v8, v4 src0_sel:BYTE_0 src1_sel:DWORD
	s_or_b64 s[10:11], s[12:13], s[10:11]
	s_andn2_b64 exec, exec, s[10:11]
	s_cbranch_execnz .LBB30_44
; %bb.45:
	s_or_b64 exec, exec, s[10:11]
.LBB30_46:
	s_or_b64 exec, exec, s[8:9]
	v_and_b32_e32 v17, 63, v16
	v_mov_b32_e32 v18, 2
	v_cmp_ne_u32_e32 vcc, 63, v17
	v_cmp_eq_u16_sdwa s[8:9], v8, v18 src0_sel:BYTE_0 src1_sel:DWORD
	v_lshlrev_b64 v[4:5], v16, -1
	v_addc_co_u32_e32 v14, vcc, 0, v16, vcc
	v_and_b32_e32 v9, s9, v5
	v_lshlrev_b32_e32 v19, 2, v14
	v_or_b32_e32 v9, 0x80000000, v9
	ds_bpermute_b32 v14, v19, v6
	v_and_b32_e32 v13, s8, v4
	v_ffbl_b32_e32 v9, v9
	ds_bpermute_b32 v23, v19, v7
	v_add_u32_e32 v9, 32, v9
	v_ffbl_b32_e32 v13, v13
	v_min_u32_e32 v9, v13, v9
	v_mov_b32_e32 v13, 0
	v_add_u32_e32 v20, 1, v16
	v_mov_b32_e32 v15, v13
	v_mov_b32_e32 v22, v13
	s_waitcnt lgkmcnt(1)
	v_lshl_add_u64 v[14:15], v[6:7], 0, v[14:15]
	v_cmp_le_u32_e32 vcc, v20, v9
	v_cmp_gt_u32_e64 s[8:9], 62, v17
	s_waitcnt lgkmcnt(0)
	v_lshl_add_u64 v[22:23], v[22:23], 0, v[14:15]
	v_cndmask_b32_e32 v26, v6, v14, vcc
	v_cndmask_b32_e64 v14, 0, 1, s[8:9]
	v_lshlrev_b32_e32 v14, 1, v14
	v_cndmask_b32_e32 v15, v7, v23, vcc
	v_add_lshl_u32 v21, v14, v16, 2
	ds_bpermute_b32 v24, v21, v26
	ds_bpermute_b32 v25, v21, v15
	v_cmp_gt_u32_e64 s[10:11], 60, v17
	v_cndmask_b32_e32 v14, v6, v22, vcc
	v_add_u32_e32 v22, 2, v16
	v_cndmask_b32_e64 v23, 0, 1, s[10:11]
	s_waitcnt lgkmcnt(0)
	v_lshl_add_u64 v[24:25], v[24:25], 0, v[14:15]
	v_cmp_le_u32_e64 s[8:9], v22, v9
	v_lshlrev_b32_e32 v23, 2, v23
	v_add_lshl_u32 v23, v23, v16, 2
	v_cndmask_b32_e64 v28, v26, v24, s[8:9]
	v_cndmask_b32_e64 v15, v15, v25, s[8:9]
	ds_bpermute_b32 v26, v23, v28
	ds_bpermute_b32 v27, v23, v15
	v_cmp_gt_u32_e64 s[12:13], 56, v17
	v_cndmask_b32_e64 v14, v14, v24, s[8:9]
	v_add_u32_e32 v24, 4, v16
	v_cndmask_b32_e64 v25, 0, 1, s[12:13]
	s_waitcnt lgkmcnt(0)
	v_lshl_add_u64 v[26:27], v[26:27], 0, v[14:15]
	v_cmp_le_u32_e64 s[10:11], v24, v9
	v_lshlrev_b32_e32 v25, 3, v25
	v_add_lshl_u32 v25, v25, v16, 2
	v_cndmask_b32_e64 v30, v28, v26, s[10:11]
	v_cndmask_b32_e64 v15, v15, v27, s[10:11]
	ds_bpermute_b32 v28, v25, v30
	ds_bpermute_b32 v29, v25, v15
	s_or_b64 s[12:13], vcc, s[8:9]
	v_cmp_gt_u32_e64 s[8:9], 48, v17
	v_cndmask_b32_e64 v14, v14, v26, s[10:11]
	v_add_u32_e32 v26, 8, v16
	v_cndmask_b32_e64 v27, 0, 1, s[8:9]
	s_waitcnt lgkmcnt(0)
	v_lshl_add_u64 v[28:29], v[28:29], 0, v[14:15]
	v_cmp_le_u32_e32 vcc, v26, v9
	v_lshlrev_b32_e32 v27, 4, v27
	v_add_lshl_u32 v27, v27, v16, 2
	v_cndmask_b32_e32 v63, v30, v28, vcc
	v_cndmask_b32_e32 v15, v15, v29, vcc
	ds_bpermute_b32 v30, v27, v63
	ds_bpermute_b32 v31, v27, v15
	s_or_b64 s[8:9], s[10:11], s[12:13]
	v_cndmask_b32_e32 v14, v14, v28, vcc
	v_add_u32_e32 v28, 16, v16
	s_or_b64 s[8:9], vcc, s[8:9]
	v_cmp_le_u32_e32 vcc, v28, v9
	s_or_b64 s[10:11], vcc, s[8:9]
	v_cmp_gt_u32_e64 s[8:9], 32, v17
	s_waitcnt lgkmcnt(0)
	v_lshl_add_u64 v[32:33], v[30:31], 0, v[14:15]
	v_cndmask_b32_e32 v30, v63, v32, vcc
	v_cndmask_b32_e64 v17, 0, 1, s[8:9]
	v_lshlrev_b32_e32 v17, 5, v17
	v_add_lshl_u32 v29, v17, v16, 2
	v_cndmask_b32_e32 v15, v15, v33, vcc
	ds_bpermute_b32 v17, v29, v15
	ds_bpermute_b32 v31, v29, v30
	v_add_u32_e32 v30, 32, v16
	v_cndmask_b32_e32 v14, v14, v32, vcc
	v_cmp_le_u32_e32 vcc, v30, v9
	s_waitcnt lgkmcnt(1)
	s_nop 0
	v_cndmask_b32_e32 v17, 0, v17, vcc
	s_waitcnt lgkmcnt(0)
	v_cndmask_b32_e32 v16, 0, v31, vcc
	v_lshl_add_u64 v[14:15], v[16:17], 0, v[14:15]
	s_or_b64 vcc, vcc, s[10:11]
	v_cndmask_b32_e32 v7, v7, v15, vcc
	v_cndmask_b32_e32 v6, v6, v14, vcc
	s_branch .LBB30_48
.LBB30_47:                              ;   in Loop: Header=BB30_48 Depth=1
	s_or_b64 exec, exec, s[8:9]
	v_cmp_eq_u16_sdwa s[8:9], v8, v18 src0_sel:BYTE_0 src1_sel:DWORD
	v_subrev_u32_e32 v9, 64, v12
	ds_bpermute_b32 v17, v19, v7
	v_and_b32_e32 v12, s9, v5
	v_or_b32_e32 v12, 0x80000000, v12
	v_ffbl_b32_e32 v12, v12
	v_add_u32_e32 v31, 32, v12
	ds_bpermute_b32 v12, v19, v6
	v_and_b32_e32 v16, s8, v4
	v_ffbl_b32_e32 v16, v16
	v_min_u32_e32 v31, v16, v31
	v_mov_b32_e32 v16, v13
	s_waitcnt lgkmcnt(0)
	v_lshl_add_u64 v[32:33], v[6:7], 0, v[12:13]
	v_lshl_add_u64 v[16:17], v[16:17], 0, v[32:33]
	v_cmp_le_u32_e32 vcc, v20, v31
	v_cmp_le_u32_e64 s[8:9], v22, v31
	v_cmp_le_u32_e64 s[10:11], v24, v31
	v_cndmask_b32_e32 v12, v6, v32, vcc
	v_cndmask_b32_e32 v17, v7, v17, vcc
	ds_bpermute_b32 v32, v21, v12
	ds_bpermute_b32 v33, v21, v17
	v_cndmask_b32_e32 v16, v6, v16, vcc
	v_cmp_le_u32_e64 s[12:13], v26, v31
	s_waitcnt lgkmcnt(0)
	v_lshl_add_u64 v[32:33], v[32:33], 0, v[16:17]
	v_cndmask_b32_e64 v12, v12, v32, s[8:9]
	v_cndmask_b32_e64 v17, v17, v33, s[8:9]
	ds_bpermute_b32 v68, v23, v12
	ds_bpermute_b32 v69, v23, v17
	v_cndmask_b32_e64 v16, v16, v32, s[8:9]
	s_or_b64 s[8:9], vcc, s[8:9]
	v_cmp_le_u32_e32 vcc, v28, v31
	s_or_b64 s[8:9], s[10:11], s[8:9]
	s_waitcnt lgkmcnt(0)
	v_lshl_add_u64 v[32:33], v[68:69], 0, v[16:17]
	v_cndmask_b32_e64 v12, v12, v32, s[10:11]
	v_cndmask_b32_e64 v17, v17, v33, s[10:11]
	ds_bpermute_b32 v68, v25, v12
	ds_bpermute_b32 v69, v25, v17
	v_cndmask_b32_e64 v16, v16, v32, s[10:11]
	s_or_b64 s[8:9], s[12:13], s[8:9]
	s_or_b64 s[8:9], vcc, s[8:9]
	s_waitcnt lgkmcnt(0)
	v_lshl_add_u64 v[32:33], v[68:69], 0, v[16:17]
	v_cndmask_b32_e64 v12, v12, v32, s[12:13]
	v_cndmask_b32_e64 v17, v17, v33, s[12:13]
	ds_bpermute_b32 v68, v27, v12
	ds_bpermute_b32 v69, v27, v17
	v_cndmask_b32_e64 v16, v16, v32, s[12:13]
	s_waitcnt lgkmcnt(0)
	v_lshl_add_u64 v[32:33], v[68:69], 0, v[16:17]
	v_cndmask_b32_e32 v12, v12, v32, vcc
	v_cndmask_b32_e32 v17, v17, v33, vcc
	ds_bpermute_b32 v33, v29, v17
	ds_bpermute_b32 v12, v29, v12
	v_cndmask_b32_e32 v16, v16, v32, vcc
	v_cmp_le_u32_e32 vcc, v30, v31
	s_waitcnt lgkmcnt(1)
	s_nop 0
	v_cndmask_b32_e32 v33, 0, v33, vcc
	s_waitcnt lgkmcnt(0)
	v_cndmask_b32_e32 v32, 0, v12, vcc
	v_lshl_add_u64 v[16:17], v[32:33], 0, v[16:17]
	s_or_b64 vcc, vcc, s[8:9]
	v_cndmask_b32_e32 v7, v7, v17, vcc
	v_cndmask_b32_e32 v6, v6, v16, vcc
	v_lshl_add_u64 v[6:7], v[6:7], 0, v[14:15]
	v_mov_b32_e32 v12, v9
.LBB30_48:                              ; =>This Loop Header: Depth=1
                                        ;     Child Loop BB30_51 Depth 2
	v_cmp_ne_u16_sdwa s[8:9], v8, v18 src0_sel:BYTE_0 src1_sel:DWORD
	v_mov_b64_e32 v[14:15], v[6:7]
	s_nop 0
	v_cndmask_b32_e64 v8, 0, 1, s[8:9]
	;;#ASMSTART
	;;#ASMEND
	s_nop 0
	v_cmp_ne_u32_e32 vcc, 0, v8
	s_cmp_lg_u64 vcc, exec
	s_cbranch_scc1 .LBB30_53
; %bb.49:                               ;   in Loop: Header=BB30_48 Depth=1
	v_lshl_add_u64 v[16:17], v[12:13], 4, s[20:21]
	;;#ASMSTART
	global_load_dwordx4 v[6:9], v[16:17] off sc1	
s_waitcnt vmcnt(0)
	;;#ASMEND
	s_nop 0
	v_cmp_eq_u16_sdwa s[10:11], v8, v13 src0_sel:BYTE_0 src1_sel:DWORD
	s_and_saveexec_b64 s[8:9], s[10:11]
	s_cbranch_execz .LBB30_47
; %bb.50:                               ;   in Loop: Header=BB30_48 Depth=1
	s_mov_b64 s[10:11], 0
.LBB30_51:                              ;   Parent Loop BB30_48 Depth=1
                                        ; =>  This Inner Loop Header: Depth=2
	;;#ASMSTART
	global_load_dwordx4 v[6:9], v[16:17] off sc1	
s_waitcnt vmcnt(0)
	;;#ASMEND
	s_nop 0
	v_cmp_ne_u16_sdwa s[12:13], v8, v13 src0_sel:BYTE_0 src1_sel:DWORD
	s_or_b64 s[10:11], s[12:13], s[10:11]
	s_andn2_b64 exec, exec, s[10:11]
	s_cbranch_execnz .LBB30_51
; %bb.52:                               ;   in Loop: Header=BB30_48 Depth=1
	s_or_b64 exec, exec, s[10:11]
	s_branch .LBB30_47
.LBB30_53:                              ;   in Loop: Header=BB30_48 Depth=1
                                        ; implicit-def: $vgpr6_vgpr7
                                        ; implicit-def: $vgpr8
	s_cbranch_execz .LBB30_48
; %bb.54:
	s_and_saveexec_b64 s[8:9], s[4:5]
	s_cbranch_execz .LBB30_56
; %bb.55:
	s_add_i32 s2, s2, 64
	s_mov_b32 s3, 0
	s_lshl_b64 s[2:3], s[2:3], 4
	s_add_u32 s2, s20, s2
	s_addc_u32 s3, s21, s3
	v_lshl_add_u64 v[2:3], v[14:15], 0, v[2:3]
	v_mov_b32_e32 v4, 2
	v_mov_b32_e32 v5, 0
	v_mov_b64_e32 v[6:7], s[2:3]
	;;#ASMSTART
	global_store_dwordx4 v[6:7], v[2:5] off sc1	
s_waitcnt vmcnt(0)
	;;#ASMEND
.LBB30_56:
	s_or_b64 exec, exec, s[8:9]
	s_and_b64 exec, exec, s[6:7]
	s_cbranch_execz .LBB30_58
; %bb.57:
	v_mov_b32_e32 v2, 0
	ds_write_b64 v2, v[14:15]
.LBB30_58:
	s_or_b64 exec, exec, s[22:23]
	v_mov_b32_e32 v2, 0
	s_waitcnt lgkmcnt(0)
	s_barrier
	ds_read_b64 v[2:3], v2
	v_lshl_add_u64 v[4:5], v[10:11], 0, v[34:35]
	s_waitcnt lgkmcnt(0)
	v_lshl_add_u64 v[2:3], v[4:5], 0, v[2:3]
	v_lshl_add_u64 v[4:5], v[2:3], 0, v[36:37]
	;; [unrolled: 1-line block ×15, first 2 shown]
	s_load_dwordx4 s[4:7], s[0:1], 0x38
	s_branch .LBB30_69
.LBB30_59:
                                        ; implicit-def: $vgpr2_vgpr3_vgpr4_vgpr5_vgpr6_vgpr7_vgpr8_vgpr9_vgpr10_vgpr11_vgpr12_vgpr13_vgpr14_vgpr15_vgpr16_vgpr17_vgpr18_vgpr19_vgpr20_vgpr21_vgpr22_vgpr23_vgpr24_vgpr25_vgpr26_vgpr27_vgpr28_vgpr29_vgpr30_vgpr31_vgpr32_vgpr33
	s_load_dwordx4 s[4:7], s[0:1], 0x38
	s_cbranch_execz .LBB30_69
; %bb.60:
	s_load_dword s8, s[0:1], 0x48
	v_cmp_eq_u32_e32 vcc, 0, v0
	v_cmp_ne_u32_e64 s[2:3], 0, v0
	s_waitcnt lgkmcnt(0)
	s_bitcmp1_b32 s8, 0
	s_cselect_b64 s[8:9], -1, 0
	s_and_b64 s[10:11], vcc, s[8:9]
	s_and_saveexec_b64 s[8:9], s[10:11]
	s_cbranch_execz .LBB30_62
; %bb.61:
	s_load_dwordx2 s[4:5], s[4:5], 0x0
	s_waitcnt lgkmcnt(0)
	v_lshl_add_u64 v[34:35], s[4:5], 0, v[34:35]
.LBB30_62:
	s_or_b64 exec, exec, s[8:9]
	v_lshl_add_u64 v[2:3], v[36:37], 0, v[34:35]
	v_lshl_add_u64 v[2:3], v[2:3], 0, v[38:39]
	;; [unrolled: 1-line block ×14, first 2 shown]
	v_add_lshl_u32 v1, v1, v0, 3
	v_cmp_gt_u32_e64 s[4:5], 64, v0
	ds_write_b64 v1, v[2:3]
	s_waitcnt lgkmcnt(0)
	s_barrier
	s_and_saveexec_b64 s[8:9], s[4:5]
	s_cbranch_execz .LBB30_64
; %bb.63:
	v_lshlrev_b32_e32 v1, 2, v0
	v_lshrrev_b32_e32 v4, 3, v0
	v_add_lshl_u32 v1, v4, v1, 3
	ds_read2_b64 v[4:7], v1 offset1:1
	ds_read2_b64 v[8:11], v1 offset0:2 offset1:3
	v_mbcnt_lo_u32_b32 v13, -1, 0
	v_mov_b32_e32 v12, 0
	v_mbcnt_hi_u32_b32 v20, -1, v13
	s_waitcnt lgkmcnt(1)
	v_lshl_add_u64 v[14:15], v[6:7], 0, v[4:5]
	s_waitcnt lgkmcnt(0)
	v_lshl_add_u64 v[14:15], v[14:15], 0, v[8:9]
	v_lshl_add_u64 v[14:15], v[14:15], 0, v[10:11]
	v_and_b32_e32 v21, 15, v20
	v_mov_b32_e32 v17, v12
	v_mov_b32_dpp v16, v14 row_shr:1 row_mask:0xf bank_mask:0xf
	v_mov_b32_dpp v13, v15 row_shr:1 row_mask:0xf bank_mask:0xf
	v_lshl_add_u64 v[16:17], v[14:15], 0, v[16:17]
	v_cmp_eq_u32_e64 s[4:5], 0, v21
	v_lshl_add_u64 v[18:19], v[12:13], 0, v[16:17]
	v_mov_b32_e32 v17, v12
	v_cndmask_b32_e64 v22, v16, v14, s[4:5]
	v_cndmask_b32_e64 v15, v19, v15, s[4:5]
	v_cndmask_b32_e64 v14, v18, v14, s[4:5]
	v_mov_b32_dpp v16, v22 row_shr:2 row_mask:0xf bank_mask:0xf
	v_mov_b32_dpp v13, v15 row_shr:2 row_mask:0xf bank_mask:0xf
	v_lshl_add_u64 v[16:17], v[14:15], 0, v[16:17]
	v_cmp_lt_u32_e64 s[4:5], 1, v21
	v_lshl_add_u64 v[18:19], v[16:17], 0, v[12:13]
	v_mov_b32_e32 v17, v12
	v_cndmask_b32_e64 v22, v22, v16, s[4:5]
	v_cndmask_b32_e64 v15, v15, v19, s[4:5]
	v_cndmask_b32_e64 v14, v14, v18, s[4:5]
	v_mov_b32_dpp v16, v22 row_shr:4 row_mask:0xf bank_mask:0xf
	v_mov_b32_dpp v13, v15 row_shr:4 row_mask:0xf bank_mask:0xf
	v_lshl_add_u64 v[16:17], v[14:15], 0, v[16:17]
	v_cmp_lt_u32_e64 s[4:5], 3, v21
	;; [unrolled: 9-line block ×3, first 2 shown]
	v_lshl_add_u64 v[18:19], v[16:17], 0, v[12:13]
	v_mov_b32_e32 v17, v12
	v_cndmask_b32_e64 v21, v22, v16, s[4:5]
	v_cndmask_b32_e64 v15, v15, v19, s[4:5]
	;; [unrolled: 1-line block ×3, first 2 shown]
	v_mov_b32_dpp v16, v21 row_bcast:15 row_mask:0xf bank_mask:0xf
	v_and_b32_e32 v22, 16, v20
	v_mov_b32_dpp v13, v15 row_bcast:15 row_mask:0xf bank_mask:0xf
	v_lshl_add_u64 v[16:17], v[14:15], 0, v[16:17]
	v_cmp_eq_u32_e64 s[4:5], 0, v22
	v_lshl_add_u64 v[18:19], v[16:17], 0, v[12:13]
	v_mov_b32_e32 v17, v12
	v_cndmask_b32_e64 v13, v16, v21, s[4:5]
	v_cndmask_b32_e64 v15, v19, v15, s[4:5]
	;; [unrolled: 1-line block ×3, first 2 shown]
	v_mov_b32_dpp v16, v13 row_bcast:31 row_mask:0xf bank_mask:0xf
	v_mov_b32_dpp v18, v15 row_bcast:31 row_mask:0xf bank_mask:0xf
	v_lshl_add_u64 v[16:17], v[14:15], 0, v[16:17]
	v_add_u32_e32 v14, v18, v17
	v_cmp_lt_u32_e64 s[4:5], 31, v20
	s_nop 1
	v_cndmask_b32_e64 v13, v13, v16, s[4:5]
	v_cndmask_b32_e64 v15, v15, v14, s[4:5]
	v_add_u32_e32 v14, -1, v20
	v_and_b32_e32 v16, 64, v20
	v_cmp_lt_i32_e64 s[4:5], v14, v16
	s_nop 1
	v_cndmask_b32_e64 v14, v14, v20, s[4:5]
	v_lshlrev_b32_e32 v16, 2, v14
	ds_bpermute_b32 v14, v16, v13
	ds_bpermute_b32 v13, v16, v15
	v_mov_b32_e32 v15, v12
	s_waitcnt lgkmcnt(1)
	v_lshl_add_u64 v[4:5], v[4:5], 0, v[14:15]
	s_waitcnt lgkmcnt(0)
	v_lshl_add_u64 v[4:5], v[4:5], 0, v[12:13]
	v_cndmask_b32_e32 v3, v5, v3, vcc
	v_cndmask_b32_e32 v2, v4, v2, vcc
	v_lshl_add_u64 v[4:5], v[2:3], 0, v[6:7]
	ds_write2_b64 v1, v[2:3], v[4:5] offset1:1
	v_lshl_add_u64 v[2:3], v[4:5], 0, v[8:9]
	v_lshl_add_u64 v[4:5], v[2:3], 0, v[10:11]
	ds_write2_b64 v1, v[2:3], v[4:5] offset0:2 offset1:3
.LBB30_64:
	s_or_b64 exec, exec, s[8:9]
	v_mov_b64_e32 v[2:3], 0
	s_waitcnt lgkmcnt(0)
	s_barrier
	s_and_saveexec_b64 s[4:5], s[2:3]
	s_cbranch_execz .LBB30_66
; %bb.65:
	v_add_u32_e32 v1, -1, v0
	v_lshrrev_b32_e32 v2, 5, v1
	v_add_lshl_u32 v1, v2, v1, 3
	ds_read_b64 v[2:3], v1
.LBB30_66:
	s_or_b64 exec, exec, s[4:5]
	s_waitcnt lgkmcnt(0)
	v_lshl_add_u64 v[2:3], v[2:3], 0, v[34:35]
	v_lshl_add_u64 v[4:5], v[2:3], 0, v[36:37]
	;; [unrolled: 1-line block ×15, first 2 shown]
	s_and_saveexec_b64 s[2:3], vcc
	s_cbranch_execz .LBB30_68
; %bb.67:
	s_add_u32 s4, s20, 0x400
	v_mov_b32_e32 v35, 0
	s_addc_u32 s5, s21, 0
	ds_read_b64 v[32:33], v35 offset:2096
	v_mov_b32_e32 v34, 2
	v_mov_b64_e32 v[36:37], s[4:5]
	s_waitcnt lgkmcnt(0)
	;;#ASMSTART
	global_store_dwordx4 v[36:37], v[32:35] off sc1	
s_waitcnt vmcnt(0)
	;;#ASMEND
.LBB30_68:
	s_or_b64 exec, exec, s[2:3]
.LBB30_69:
	s_add_u32 s2, s14, s18
	s_addc_u32 s3, s15, s19
	s_waitcnt lgkmcnt(0)
	s_mov_b64 s[4:5], -1
	s_and_b64 vcc, exec, s[16:17]
	s_barrier
	s_cbranch_vccz .LBB30_71
; %bb.70:
	v_mul_u32_u24_e32 v1, 0x78, v0
	s_movk_i32 s4, 0x78
	ds_write2_b64 v1, v[2:3], v[4:5] offset1:1
	ds_write2_b64 v1, v[6:7], v[8:9] offset0:2 offset1:3
	ds_write2_b64 v1, v[10:11], v[12:13] offset0:4 offset1:5
	;; [unrolled: 1-line block ×6, first 2 shown]
	ds_write_b64 v1, v[30:31] offset:112
	v_mul_i32_i24_e32 v1, 0xffffff90, v0
	v_mad_u32_u24 v1, v0, s4, v1
	v_mov_b32_e32 v63, 0
	s_waitcnt lgkmcnt(0)
	s_barrier
	ds_read2st64_b64 v[32:35], v1 offset1:4
	ds_read2st64_b64 v[36:39], v1 offset0:8 offset1:12
	ds_read2st64_b64 v[40:43], v1 offset0:16 offset1:20
	ds_read2st64_b64 v[44:47], v1 offset0:24 offset1:28
	ds_read2st64_b64 v[48:51], v1 offset0:32 offset1:36
	ds_read2st64_b64 v[52:55], v1 offset0:40 offset1:44
	ds_read2st64_b64 v[56:59], v1 offset0:48 offset1:52
	ds_read_b64 v[60:61], v1 offset:28672
	v_lshl_add_u64 v[64:65], s[2:3], 0, v[62:63]
	s_movk_i32 s4, 0x1000
	s_waitcnt lgkmcnt(7)
	global_store_dwordx2 v62, v[32:33], s[2:3]
	global_store_dwordx2 v62, v[34:35], s[2:3] offset:2048
	v_add_co_u32_e32 v32, vcc, s4, v64
	s_movk_i32 s4, 0x2000
	s_nop 0
	v_addc_co_u32_e32 v33, vcc, 0, v65, vcc
	v_add_co_u32_e32 v34, vcc, s4, v64
	s_movk_i32 s4, 0x3000
	s_nop 0
	v_addc_co_u32_e32 v35, vcc, 0, v65, vcc
	s_waitcnt lgkmcnt(6)
	global_store_dwordx2 v[34:35], v[36:37], off offset:-4096
	global_store_dwordx2 v[32:33], v[38:39], off offset:2048
	s_waitcnt lgkmcnt(5)
	global_store_dwordx2 v[34:35], v[40:41], off
	global_store_dwordx2 v[34:35], v[42:43], off offset:2048
	v_add_co_u32_e32 v32, vcc, s4, v64
	s_movk_i32 s4, 0x4000
	s_nop 0
	v_addc_co_u32_e32 v33, vcc, 0, v65, vcc
	v_add_co_u32_e32 v34, vcc, s4, v64
	s_movk_i32 s4, 0x5000
	s_nop 0
	v_addc_co_u32_e32 v35, vcc, 0, v65, vcc
	s_waitcnt lgkmcnt(4)
	global_store_dwordx2 v[34:35], v[44:45], off offset:-4096
	global_store_dwordx2 v[32:33], v[46:47], off offset:2048
	s_waitcnt lgkmcnt(3)
	global_store_dwordx2 v[34:35], v[48:49], off
	global_store_dwordx2 v[34:35], v[50:51], off offset:2048
	v_add_co_u32_e32 v32, vcc, s4, v64
	s_mov_b64 s[4:5], 0
	s_nop 0
	v_addc_co_u32_e32 v33, vcc, 0, v65, vcc
	s_waitcnt lgkmcnt(2)
	global_store_dwordx2 v[32:33], v[52:53], off
	global_store_dwordx2 v[32:33], v[54:55], off offset:2048
	v_add_co_u32_e32 v32, vcc, 0x6000, v64
	s_nop 1
	v_addc_co_u32_e32 v33, vcc, 0, v65, vcc
	s_waitcnt lgkmcnt(1)
	global_store_dwordx2 v[32:33], v[56:57], off
	global_store_dwordx2 v[32:33], v[58:59], off offset:2048
	v_add_co_u32_e32 v32, vcc, 0x7000, v64
	s_nop 1
	v_addc_co_u32_e32 v33, vcc, 0, v65, vcc
	s_waitcnt lgkmcnt(0)
	global_store_dwordx2 v[32:33], v[60:61], off
.LBB30_71:
	s_andn2_b64 vcc, exec, s[4:5]
	s_cbranch_vccnz .LBB30_157
; %bb.72:
	v_mul_u32_u24_e32 v1, 0x78, v0
	s_movk_i32 s4, 0x78
	ds_write2_b64 v1, v[2:3], v[4:5] offset1:1
	ds_write2_b64 v1, v[6:7], v[8:9] offset0:2 offset1:3
	ds_write2_b64 v1, v[10:11], v[12:13] offset0:4 offset1:5
	;; [unrolled: 1-line block ×6, first 2 shown]
	ds_write_b64 v1, v[30:31] offset:112
	v_mul_i32_i24_e32 v1, 0xffffff90, v0
	v_mad_u32_u24 v1, v0, s4, v1
	s_waitcnt lgkmcnt(0)
	s_barrier
	ds_read2st64_b64 v[6:9], v1 offset1:4
	ds_read2st64_b64 v[14:17], v1 offset0:8 offset1:12
	ds_read2st64_b64 v[10:13], v1 offset0:16 offset1:20
	;; [unrolled: 1-line block ×6, first 2 shown]
	ds_read_b64 v[30:31], v1 offset:28672
	v_mov_b32_e32 v63, 0
	v_lshl_add_u64 v[32:33], s[2:3], 0, v[62:63]
	v_cmp_gt_u32_e32 vcc, s24, v0
	s_and_saveexec_b64 s[2:3], vcc
	s_cbranch_execz .LBB30_74
; %bb.73:
	s_waitcnt lgkmcnt(7)
	global_store_dwordx2 v[32:33], v[6:7], off
.LBB30_74:
	s_or_b64 exec, exec, s[2:3]
	v_or_b32_e32 v1, 0x100, v0
	v_cmp_gt_u32_e32 vcc, s24, v1
	s_and_saveexec_b64 s[2:3], vcc
	s_cbranch_execz .LBB30_76
; %bb.75:
	s_waitcnt lgkmcnt(7)
	global_store_dwordx2 v[32:33], v[8:9], off offset:2048
.LBB30_76:
	s_or_b64 exec, exec, s[2:3]
	v_or_b32_e32 v1, 0x200, v0
	v_cmp_gt_u32_e32 vcc, s24, v1
	s_and_saveexec_b64 s[2:3], vcc
	s_cbranch_execz .LBB30_78
; %bb.77:
	v_add_co_u32_e32 v34, vcc, 0x1000, v32
	s_nop 1
	v_addc_co_u32_e32 v35, vcc, 0, v33, vcc
	s_waitcnt lgkmcnt(6)
	global_store_dwordx2 v[34:35], v[14:15], off
.LBB30_78:
	s_or_b64 exec, exec, s[2:3]
	v_or_b32_e32 v1, 0x300, v0
	v_cmp_gt_u32_e32 vcc, s24, v1
	s_and_saveexec_b64 s[2:3], vcc
	s_cbranch_execz .LBB30_80
; %bb.79:
	v_add_co_u32_e32 v34, vcc, 0x1000, v32
	s_nop 1
	v_addc_co_u32_e32 v35, vcc, 0, v33, vcc
	s_waitcnt lgkmcnt(6)
	global_store_dwordx2 v[34:35], v[16:17], off offset:2048
.LBB30_80:
	s_or_b64 exec, exec, s[2:3]
	v_or_b32_e32 v1, 0x400, v0
	v_cmp_gt_u32_e32 vcc, s24, v1
	s_and_saveexec_b64 s[2:3], vcc
	s_cbranch_execz .LBB30_82
; %bb.81:
	v_add_co_u32_e32 v34, vcc, 0x2000, v32
	s_nop 1
	v_addc_co_u32_e32 v35, vcc, 0, v33, vcc
	s_waitcnt lgkmcnt(5)
	global_store_dwordx2 v[34:35], v[10:11], off
.LBB30_82:
	s_or_b64 exec, exec, s[2:3]
	v_or_b32_e32 v1, 0x500, v0
	v_cmp_gt_u32_e32 vcc, s24, v1
	s_and_saveexec_b64 s[2:3], vcc
	s_cbranch_execz .LBB30_84
; %bb.83:
	v_add_co_u32_e32 v34, vcc, 0x2000, v32
	s_nop 1
	v_addc_co_u32_e32 v35, vcc, 0, v33, vcc
	s_waitcnt lgkmcnt(5)
	global_store_dwordx2 v[34:35], v[12:13], off offset:2048
.LBB30_84:
	;; [unrolled: 24-line block ×6, first 2 shown]
	s_or_b64 exec, exec, s[2:3]
	v_or_b32_e32 v1, 0xe00, v0
	v_cmp_gt_u32_e32 vcc, s24, v1
	s_and_saveexec_b64 s[2:3], vcc
	s_cbranch_execz .LBB30_102
; %bb.101:
	v_add_co_u32_e32 v32, vcc, 0x7000, v32
	s_nop 1
	v_addc_co_u32_e32 v33, vcc, 0, v33, vcc
	s_waitcnt lgkmcnt(0)
	global_store_dwordx2 v[32:33], v[30:31], off
.LBB30_102:
	s_or_b64 exec, exec, s[2:3]
	s_load_dword s0, s[0:1], 0x48
	s_waitcnt lgkmcnt(0)
	s_bfe_u32 s0, s0, 0x10008
	s_cmp_eq_u32 s0, 0
	s_cbranch_scc1 .LBB30_157
; %bb.103:
	s_add_u32 s0, s24, -1
	s_addc_u32 s1, s25, -1
	s_add_u32 s2, 0, 0x11108400
	s_addc_u32 s3, 0, 49
	s_add_i32 s3, s3, 0x111110e0
	s_mul_hi_u32 s9, s2, -15
	s_sub_i32 s9, s9, s2
	s_mul_i32 s10, s3, -15
	s_mul_i32 s4, s2, -15
	s_add_i32 s9, s9, s10
	s_mul_hi_u32 s5, s3, s4
	s_mul_i32 s8, s3, s4
	s_mul_i32 s11, s2, s9
	s_mul_hi_u32 s4, s2, s4
	s_mul_hi_u32 s10, s2, s9
	s_add_u32 s4, s4, s11
	s_addc_u32 s10, 0, s10
	s_add_u32 s4, s4, s8
	s_mul_hi_u32 s11, s3, s9
	s_addc_u32 s4, s10, s5
	s_addc_u32 s5, s11, 0
	s_mul_i32 s8, s3, s9
	s_add_u32 s4, s4, s8
	v_mov_b32_e32 v32, s4
	s_addc_u32 s5, 0, s5
	v_add_co_u32_e32 v32, vcc, s2, v32
	s_cmp_lg_u64 vcc, 0
	s_addc_u32 s2, s3, s5
	v_readfirstlane_b32 s5, v32
	s_mul_i32 s4, s0, s2
	s_mul_hi_u32 s8, s0, s5
	s_mul_hi_u32 s3, s0, s2
	s_add_u32 s4, s8, s4
	s_addc_u32 s3, 0, s3
	s_mul_hi_u32 s9, s1, s5
	s_mul_i32 s5, s1, s5
	s_add_u32 s4, s4, s5
	s_mul_hi_u32 s8, s1, s2
	s_addc_u32 s3, s3, s9
	s_addc_u32 s4, s8, 0
	s_mul_i32 s2, s1, s2
	s_add_u32 s2, s3, s2
	s_addc_u32 s3, 0, s4
	s_add_u32 s4, s2, 1
	s_addc_u32 s5, s3, 0
	s_add_u32 s8, s2, 2
	s_mul_i32 s10, s3, 15
	s_mul_hi_u32 s11, s2, 15
	s_addc_u32 s9, s3, 0
	s_add_i32 s11, s11, s10
	s_mul_i32 s10, s2, 15
	v_mov_b32_e32 v32, s10
	v_sub_co_u32_e32 v32, vcc, s0, v32
	s_cmp_lg_u64 vcc, 0
	s_subb_u32 s10, s1, s11
	v_subrev_co_u32_e32 v33, vcc, 15, v32
	s_cmp_lg_u64 vcc, 0
	s_subb_u32 s11, s10, 0
	v_readfirstlane_b32 s12, v33
	s_cmp_gt_u32 s12, 14
	s_cselect_b32 s12, -1, 0
	s_cmp_eq_u32 s11, 0
	s_cselect_b32 s11, s12, -1
	s_cmp_lg_u32 s11, 0
	s_cselect_b32 s4, s8, s4
	v_readfirstlane_b32 s8, v32
	s_cselect_b32 s5, s9, s5
	s_cmp_gt_u32 s8, 14
	s_cselect_b32 s8, -1, 0
	s_cmp_eq_u32 s10, 0
	s_cselect_b32 s8, s8, -1
	s_cmp_lg_u32 s8, 0
	v_mov_b32_e32 v1, v63
	s_cselect_b32 s3, s5, s3
	s_cselect_b32 s2, s4, s2
	v_cmp_eq_u64_e32 vcc, s[2:3], v[0:1]
	s_and_saveexec_b64 s[2:3], vcc
	s_cbranch_execz .LBB30_157
; %bb.104:
	v_mul_hi_u32_u24_e32 v1, 15, v0
	v_mov_b32_e32 v32, s1
	v_sub_co_u32_e32 v0, vcc, s0, v66
	s_nop 1
	v_subb_co_u32_e32 v1, vcc, v32, v1, vcc
	v_cmp_lt_i64_e32 vcc, 7, v[0:1]
	s_and_saveexec_b64 s[0:1], vcc
	s_xor_b64 s[0:1], exec, s[0:1]
	s_cbranch_execz .LBB30_130
; %bb.105:
	v_cmp_lt_i64_e32 vcc, 10, v[0:1]
	s_and_saveexec_b64 s[2:3], vcc
	s_xor_b64 s[2:3], exec, s[2:3]
	s_cbranch_execz .LBB30_119
; %bb.106:
	;; [unrolled: 5-line block ×4, first 2 shown]
	v_mov_b32_e32 v0, 0
	global_store_dwordx2 v0, v[30:31], s[6:7]
                                        ; implicit-def: $vgpr22_vgpr23_vgpr24_vgpr25
.LBB30_109:
	s_andn2_saveexec_b64 s[8:9], s[8:9]
	s_cbranch_execz .LBB30_111
; %bb.110:
	v_mov_b32_e32 v0, 0
	global_store_dwordx2 v0, v[24:25], s[6:7]
.LBB30_111:
	s_or_b64 exec, exec, s[8:9]
                                        ; implicit-def: $vgpr2_vgpr3_vgpr4_vgpr5
                                        ; implicit-def: $vgpr0_vgpr1
                                        ; implicit-def: $vgpr22_vgpr23_vgpr24_vgpr25
.LBB30_112:
	s_andn2_saveexec_b64 s[4:5], s[4:5]
	s_cbranch_execz .LBB30_118
; %bb.113:
	v_cmp_lt_i64_e32 vcc, 11, v[0:1]
	s_and_saveexec_b64 s[8:9], vcc
	s_xor_b64 s[8:9], exec, s[8:9]
	s_cbranch_execz .LBB30_115
; %bb.114:
	v_mov_b32_e32 v0, 0
	global_store_dwordx2 v0, v[22:23], s[6:7]
                                        ; implicit-def: $vgpr2_vgpr3_vgpr4_vgpr5
.LBB30_115:
	s_andn2_saveexec_b64 s[8:9], s[8:9]
	s_cbranch_execz .LBB30_117
; %bb.116:
	v_mov_b32_e32 v0, 0
	global_store_dwordx2 v0, v[4:5], s[6:7]
.LBB30_117:
	s_or_b64 exec, exec, s[8:9]
.LBB30_118:
	s_or_b64 exec, exec, s[4:5]
                                        ; implicit-def: $vgpr18_vgpr19_vgpr20_vgpr21
                                        ; implicit-def: $vgpr0_vgpr1
                                        ; implicit-def: $vgpr2_vgpr3_vgpr4_vgpr5
.LBB30_119:
	s_andn2_saveexec_b64 s[2:3], s[2:3]
	s_cbranch_execz .LBB30_129
; %bb.120:
	v_cmp_lt_i64_e32 vcc, 8, v[0:1]
	s_and_saveexec_b64 s[4:5], vcc
	s_xor_b64 s[4:5], exec, s[4:5]
	s_cbranch_execz .LBB30_126
; %bb.121:
	v_cmp_lt_i64_e32 vcc, 9, v[0:1]
	s_and_saveexec_b64 s[8:9], vcc
	s_xor_b64 s[8:9], exec, s[8:9]
	s_cbranch_execz .LBB30_123
; %bb.122:
	v_mov_b32_e32 v0, 0
	global_store_dwordx2 v0, v[2:3], s[6:7]
                                        ; implicit-def: $vgpr18_vgpr19_vgpr20_vgpr21
.LBB30_123:
	s_andn2_saveexec_b64 s[8:9], s[8:9]
	s_cbranch_execz .LBB30_125
; %bb.124:
	v_mov_b32_e32 v0, 0
	global_store_dwordx2 v0, v[20:21], s[6:7]
.LBB30_125:
	s_or_b64 exec, exec, s[8:9]
                                        ; implicit-def: $vgpr18_vgpr19_vgpr20_vgpr21
.LBB30_126:
	s_andn2_saveexec_b64 s[4:5], s[4:5]
	s_cbranch_execz .LBB30_128
; %bb.127:
	v_mov_b32_e32 v0, 0
	global_store_dwordx2 v0, v[18:19], s[6:7]
.LBB30_128:
	s_or_b64 exec, exec, s[4:5]
.LBB30_129:
	s_or_b64 exec, exec, s[2:3]
                                        ; implicit-def: $vgpr0_vgpr1
                                        ; implicit-def: $vgpr6_vgpr7_vgpr8_vgpr9
                                        ; implicit-def: $vgpr10_vgpr11_vgpr12_vgpr13
                                        ; implicit-def: $vgpr14_vgpr15_vgpr16_vgpr17
                                        ; implicit-def: $vgpr26_vgpr27_vgpr28_vgpr29
.LBB30_130:
	s_andn2_saveexec_b64 s[0:1], s[0:1]
	s_cbranch_execz .LBB30_157
; %bb.131:
	v_cmp_lt_i64_e32 vcc, 3, v[0:1]
	s_and_saveexec_b64 s[0:1], vcc
	s_xor_b64 s[0:1], exec, s[0:1]
	s_cbranch_execz .LBB30_145
; %bb.132:
	v_cmp_lt_i64_e32 vcc, 5, v[0:1]
	s_and_saveexec_b64 s[2:3], vcc
	s_xor_b64 s[2:3], exec, s[2:3]
	;; [unrolled: 5-line block ×3, first 2 shown]
	s_cbranch_execz .LBB30_135
; %bb.134:
	v_mov_b32_e32 v0, 0
	global_store_dwordx2 v0, v[28:29], s[6:7]
                                        ; implicit-def: $vgpr26_vgpr27_vgpr28_vgpr29
.LBB30_135:
	s_andn2_saveexec_b64 s[4:5], s[4:5]
	s_cbranch_execz .LBB30_137
; %bb.136:
	v_mov_b32_e32 v0, 0
	global_store_dwordx2 v0, v[26:27], s[6:7]
.LBB30_137:
	s_or_b64 exec, exec, s[4:5]
                                        ; implicit-def: $vgpr10_vgpr11_vgpr12_vgpr13
                                        ; implicit-def: $vgpr0_vgpr1
.LBB30_138:
	s_andn2_saveexec_b64 s[2:3], s[2:3]
	s_cbranch_execz .LBB30_144
; %bb.139:
	v_cmp_lt_i64_e32 vcc, 4, v[0:1]
	s_and_saveexec_b64 s[4:5], vcc
	s_xor_b64 s[4:5], exec, s[4:5]
	s_cbranch_execz .LBB30_141
; %bb.140:
	v_mov_b32_e32 v0, 0
	global_store_dwordx2 v0, v[12:13], s[6:7]
                                        ; implicit-def: $vgpr10_vgpr11_vgpr12_vgpr13
.LBB30_141:
	s_andn2_saveexec_b64 s[4:5], s[4:5]
	s_cbranch_execz .LBB30_143
; %bb.142:
	v_mov_b32_e32 v0, 0
	global_store_dwordx2 v0, v[10:11], s[6:7]
.LBB30_143:
	s_or_b64 exec, exec, s[4:5]
.LBB30_144:
	s_or_b64 exec, exec, s[2:3]
                                        ; implicit-def: $vgpr0_vgpr1
                                        ; implicit-def: $vgpr6_vgpr7_vgpr8_vgpr9
                                        ; implicit-def: $vgpr14_vgpr15_vgpr16_vgpr17
.LBB30_145:
	s_andn2_saveexec_b64 s[0:1], s[0:1]
	s_cbranch_execz .LBB30_157
; %bb.146:
	v_cmp_lt_i64_e32 vcc, 1, v[0:1]
	s_and_saveexec_b64 s[0:1], vcc
	s_xor_b64 s[0:1], exec, s[0:1]
	s_cbranch_execz .LBB30_152
; %bb.147:
	v_cmp_lt_i64_e32 vcc, 2, v[0:1]
	s_and_saveexec_b64 s[2:3], vcc
	s_xor_b64 s[2:3], exec, s[2:3]
	s_cbranch_execz .LBB30_149
; %bb.148:
	v_mov_b32_e32 v0, 0
	global_store_dwordx2 v0, v[16:17], s[6:7]
                                        ; implicit-def: $vgpr14_vgpr15_vgpr16_vgpr17
.LBB30_149:
	s_andn2_saveexec_b64 s[2:3], s[2:3]
	s_cbranch_execz .LBB30_151
; %bb.150:
	v_mov_b32_e32 v0, 0
	global_store_dwordx2 v0, v[14:15], s[6:7]
.LBB30_151:
	s_or_b64 exec, exec, s[2:3]
                                        ; implicit-def: $vgpr6_vgpr7_vgpr8_vgpr9
                                        ; implicit-def: $vgpr0_vgpr1
.LBB30_152:
	s_andn2_saveexec_b64 s[0:1], s[0:1]
	s_cbranch_execz .LBB30_157
; %bb.153:
	v_cmp_ne_u64_e32 vcc, 1, v[0:1]
	s_and_saveexec_b64 s[0:1], vcc
	s_xor_b64 s[0:1], exec, s[0:1]
	s_cbranch_execz .LBB30_155
; %bb.154:
	v_mov_b32_e32 v0, 0
	global_store_dwordx2 v0, v[6:7], s[6:7]
                                        ; implicit-def: $vgpr6_vgpr7_vgpr8_vgpr9
.LBB30_155:
	s_andn2_saveexec_b64 s[0:1], s[0:1]
	s_cbranch_execz .LBB30_157
; %bb.156:
	v_mov_b32_e32 v0, 0
	global_store_dwordx2 v0, v[8:9], s[6:7]
.LBB30_157:
	s_endpgm
	.section	.rodata,"a",@progbits
	.p2align	6, 0x0
	.amdhsa_kernel _ZN7rocprim6detail20lookback_scan_kernelILNS0_25lookback_scan_determinismE0ELb0ENS0_19wrapped_scan_configINS_14default_configEmEEPmS6_N6hipcub3SumEmmNS0_19lookback_scan_stateImLb0ELb1EEEEEvT2_T3_mT5_T4_T7_jPT6_SH_bb
		.amdhsa_group_segment_fixed_size 30720
		.amdhsa_private_segment_fixed_size 0
		.amdhsa_kernarg_size 76
		.amdhsa_user_sgpr_count 2
		.amdhsa_user_sgpr_dispatch_ptr 0
		.amdhsa_user_sgpr_queue_ptr 0
		.amdhsa_user_sgpr_kernarg_segment_ptr 1
		.amdhsa_user_sgpr_dispatch_id 0
		.amdhsa_user_sgpr_kernarg_preload_length 0
		.amdhsa_user_sgpr_kernarg_preload_offset 0
		.amdhsa_user_sgpr_private_segment_size 0
		.amdhsa_uses_dynamic_stack 0
		.amdhsa_enable_private_segment 0
		.amdhsa_system_sgpr_workgroup_id_x 1
		.amdhsa_system_sgpr_workgroup_id_y 0
		.amdhsa_system_sgpr_workgroup_id_z 0
		.amdhsa_system_sgpr_workgroup_info 0
		.amdhsa_system_vgpr_workitem_id 0
		.amdhsa_next_free_vgpr 70
		.amdhsa_next_free_sgpr 68
		.amdhsa_accum_offset 72
		.amdhsa_reserve_vcc 1
		.amdhsa_float_round_mode_32 0
		.amdhsa_float_round_mode_16_64 0
		.amdhsa_float_denorm_mode_32 3
		.amdhsa_float_denorm_mode_16_64 3
		.amdhsa_dx10_clamp 1
		.amdhsa_ieee_mode 1
		.amdhsa_fp16_overflow 0
		.amdhsa_tg_split 0
		.amdhsa_exception_fp_ieee_invalid_op 0
		.amdhsa_exception_fp_denorm_src 0
		.amdhsa_exception_fp_ieee_div_zero 0
		.amdhsa_exception_fp_ieee_overflow 0
		.amdhsa_exception_fp_ieee_underflow 0
		.amdhsa_exception_fp_ieee_inexact 0
		.amdhsa_exception_int_div_zero 0
	.end_amdhsa_kernel
	.section	.text._ZN7rocprim6detail20lookback_scan_kernelILNS0_25lookback_scan_determinismE0ELb0ENS0_19wrapped_scan_configINS_14default_configEmEEPmS6_N6hipcub3SumEmmNS0_19lookback_scan_stateImLb0ELb1EEEEEvT2_T3_mT5_T4_T7_jPT6_SH_bb,"axG",@progbits,_ZN7rocprim6detail20lookback_scan_kernelILNS0_25lookback_scan_determinismE0ELb0ENS0_19wrapped_scan_configINS_14default_configEmEEPmS6_N6hipcub3SumEmmNS0_19lookback_scan_stateImLb0ELb1EEEEEvT2_T3_mT5_T4_T7_jPT6_SH_bb,comdat
.Lfunc_end30:
	.size	_ZN7rocprim6detail20lookback_scan_kernelILNS0_25lookback_scan_determinismE0ELb0ENS0_19wrapped_scan_configINS_14default_configEmEEPmS6_N6hipcub3SumEmmNS0_19lookback_scan_stateImLb0ELb1EEEEEvT2_T3_mT5_T4_T7_jPT6_SH_bb, .Lfunc_end30-_ZN7rocprim6detail20lookback_scan_kernelILNS0_25lookback_scan_determinismE0ELb0ENS0_19wrapped_scan_configINS_14default_configEmEEPmS6_N6hipcub3SumEmmNS0_19lookback_scan_stateImLb0ELb1EEEEEvT2_T3_mT5_T4_T7_jPT6_SH_bb
                                        ; -- End function
	.section	.AMDGPU.csdata,"",@progbits
; Kernel info:
; codeLenInByte = 7500
; NumSgprs: 74
; NumVgprs: 70
; NumAgprs: 0
; TotalNumVgprs: 70
; ScratchSize: 0
; MemoryBound: 1
; FloatMode: 240
; IeeeMode: 1
; LDSByteSize: 30720 bytes/workgroup (compile time only)
; SGPRBlocks: 9
; VGPRBlocks: 8
; NumSGPRsForWavesPerEU: 74
; NumVGPRsForWavesPerEU: 70
; AccumOffset: 72
; Occupancy: 2
; WaveLimiterHint : 1
; COMPUTE_PGM_RSRC2:SCRATCH_EN: 0
; COMPUTE_PGM_RSRC2:USER_SGPR: 2
; COMPUTE_PGM_RSRC2:TRAP_HANDLER: 0
; COMPUTE_PGM_RSRC2:TGID_X_EN: 1
; COMPUTE_PGM_RSRC2:TGID_Y_EN: 0
; COMPUTE_PGM_RSRC2:TGID_Z_EN: 0
; COMPUTE_PGM_RSRC2:TIDIG_COMP_CNT: 0
; COMPUTE_PGM_RSRC3_GFX90A:ACCUM_OFFSET: 17
; COMPUTE_PGM_RSRC3_GFX90A:TG_SPLIT: 0
	.section	.text._ZN7rocprim6detail16transform_kernelINS0_24wrapped_transform_configINS_14default_configEmEEmPmS5_NS_8identityImEEEEvT1_mT2_T3_,"axG",@progbits,_ZN7rocprim6detail16transform_kernelINS0_24wrapped_transform_configINS_14default_configEmEEmPmS5_NS_8identityImEEEEvT1_mT2_T3_,comdat
	.protected	_ZN7rocprim6detail16transform_kernelINS0_24wrapped_transform_configINS_14default_configEmEEmPmS5_NS_8identityImEEEEvT1_mT2_T3_ ; -- Begin function _ZN7rocprim6detail16transform_kernelINS0_24wrapped_transform_configINS_14default_configEmEEmPmS5_NS_8identityImEEEEvT1_mT2_T3_
	.globl	_ZN7rocprim6detail16transform_kernelINS0_24wrapped_transform_configINS_14default_configEmEEmPmS5_NS_8identityImEEEEvT1_mT2_T3_
	.p2align	8
	.type	_ZN7rocprim6detail16transform_kernelINS0_24wrapped_transform_configINS_14default_configEmEEmPmS5_NS_8identityImEEEEvT1_mT2_T3_,@function
_ZN7rocprim6detail16transform_kernelINS0_24wrapped_transform_configINS_14default_configEmEEmPmS5_NS_8identityImEEEEvT1_mT2_T3_: ; @_ZN7rocprim6detail16transform_kernelINS0_24wrapped_transform_configINS_14default_configEmEEmPmS5_NS_8identityImEEEEvT1_mT2_T3_
; %bb.0:
	s_load_dword s3, s[0:1], 0x20
	s_load_dwordx4 s[4:7], s[0:1], 0x0
	s_load_dwordx2 s[8:9], s[0:1], 0x10
	s_lshl_b32 s0, s2, 9
	s_mov_b32 s1, 0
	s_waitcnt lgkmcnt(0)
	s_add_i32 s3, s3, -1
	s_lshl_b64 s[10:11], s[0:1], 3
	s_add_u32 s4, s4, s10
	s_addc_u32 s5, s5, s11
	v_mov_b32_e32 v7, 0
	v_lshlrev_b32_e32 v6, 3, v0
	s_cmp_lg_u32 s2, s3
	v_lshl_add_u64 v[8:9], s[4:5], 0, v[6:7]
	s_cbranch_scc0 .LBB31_2
; %bb.1:
	global_load_dwordx2 v[2:3], v[8:9], off
	global_load_dwordx2 v[4:5], v[8:9], off offset:2048
	s_add_u32 s2, s8, s10
	s_addc_u32 s3, s9, s11
	s_waitcnt vmcnt(1)
	global_store_dwordx2 v6, v[2:3], s[2:3]
	s_mov_b64 s[2:3], -1
	s_cbranch_execz .LBB31_3
	s_branch .LBB31_10
.LBB31_2:
	s_mov_b64 s[2:3], 0
                                        ; implicit-def: $vgpr4_vgpr5
.LBB31_3:
	s_sub_i32 s4, s6, s0
	v_cmp_gt_u32_e32 vcc, s4, v0
                                        ; implicit-def: $vgpr2_vgpr3_vgpr4_vgpr5
	s_and_saveexec_b64 s[0:1], vcc
	s_cbranch_execz .LBB31_5
; %bb.4:
	global_load_dwordx2 v[2:3], v[8:9], off
.LBB31_5:
	s_or_b64 exec, exec, s[0:1]
	v_or_b32_e32 v0, 0x100, v0
	v_cmp_gt_u32_e64 s[0:1], s4, v0
	s_and_saveexec_b64 s[4:5], s[0:1]
	s_cbranch_execnz .LBB31_13
; %bb.6:
	s_or_b64 exec, exec, s[4:5]
	s_and_saveexec_b64 s[4:5], vcc
	s_cbranch_execnz .LBB31_14
.LBB31_7:
	s_or_b64 exec, exec, s[4:5]
	s_and_saveexec_b64 s[4:5], s[0:1]
.LBB31_8:
	s_or_b64 s[2:3], s[2:3], exec
.LBB31_9:
	s_or_b64 exec, exec, s[4:5]
.LBB31_10:
	s_and_saveexec_b64 s[0:1], s[2:3]
	s_cbranch_execnz .LBB31_12
; %bb.11:
	s_endpgm
.LBB31_12:
	s_add_u32 s0, s8, s10
	s_addc_u32 s1, s9, s11
	s_waitcnt vmcnt(0)
	global_store_dwordx2 v6, v[4:5], s[0:1] offset:2048
	s_endpgm
.LBB31_13:
	global_load_dwordx2 v[4:5], v[8:9], off offset:2048
	s_or_b64 exec, exec, s[4:5]
	s_and_saveexec_b64 s[4:5], vcc
	s_cbranch_execz .LBB31_7
.LBB31_14:
	s_add_u32 s6, s8, s10
	s_addc_u32 s7, s9, s11
	s_waitcnt vmcnt(0)
	global_store_dwordx2 v6, v[2:3], s[6:7]
	s_or_b64 exec, exec, s[4:5]
	s_and_saveexec_b64 s[4:5], s[0:1]
	s_cbranch_execnz .LBB31_8
	s_branch .LBB31_9
	.section	.rodata,"a",@progbits
	.p2align	6, 0x0
	.amdhsa_kernel _ZN7rocprim6detail16transform_kernelINS0_24wrapped_transform_configINS_14default_configEmEEmPmS5_NS_8identityImEEEEvT1_mT2_T3_
		.amdhsa_group_segment_fixed_size 0
		.amdhsa_private_segment_fixed_size 0
		.amdhsa_kernarg_size 288
		.amdhsa_user_sgpr_count 2
		.amdhsa_user_sgpr_dispatch_ptr 0
		.amdhsa_user_sgpr_queue_ptr 0
		.amdhsa_user_sgpr_kernarg_segment_ptr 1
		.amdhsa_user_sgpr_dispatch_id 0
		.amdhsa_user_sgpr_kernarg_preload_length 0
		.amdhsa_user_sgpr_kernarg_preload_offset 0
		.amdhsa_user_sgpr_private_segment_size 0
		.amdhsa_uses_dynamic_stack 0
		.amdhsa_enable_private_segment 0
		.amdhsa_system_sgpr_workgroup_id_x 1
		.amdhsa_system_sgpr_workgroup_id_y 0
		.amdhsa_system_sgpr_workgroup_id_z 0
		.amdhsa_system_sgpr_workgroup_info 0
		.amdhsa_system_vgpr_workitem_id 0
		.amdhsa_next_free_vgpr 10
		.amdhsa_next_free_sgpr 12
		.amdhsa_accum_offset 12
		.amdhsa_reserve_vcc 1
		.amdhsa_float_round_mode_32 0
		.amdhsa_float_round_mode_16_64 0
		.amdhsa_float_denorm_mode_32 3
		.amdhsa_float_denorm_mode_16_64 3
		.amdhsa_dx10_clamp 1
		.amdhsa_ieee_mode 1
		.amdhsa_fp16_overflow 0
		.amdhsa_tg_split 0
		.amdhsa_exception_fp_ieee_invalid_op 0
		.amdhsa_exception_fp_denorm_src 0
		.amdhsa_exception_fp_ieee_div_zero 0
		.amdhsa_exception_fp_ieee_overflow 0
		.amdhsa_exception_fp_ieee_underflow 0
		.amdhsa_exception_fp_ieee_inexact 0
		.amdhsa_exception_int_div_zero 0
	.end_amdhsa_kernel
	.section	.text._ZN7rocprim6detail16transform_kernelINS0_24wrapped_transform_configINS_14default_configEmEEmPmS5_NS_8identityImEEEEvT1_mT2_T3_,"axG",@progbits,_ZN7rocprim6detail16transform_kernelINS0_24wrapped_transform_configINS_14default_configEmEEmPmS5_NS_8identityImEEEEvT1_mT2_T3_,comdat
.Lfunc_end31:
	.size	_ZN7rocprim6detail16transform_kernelINS0_24wrapped_transform_configINS_14default_configEmEEmPmS5_NS_8identityImEEEEvT1_mT2_T3_, .Lfunc_end31-_ZN7rocprim6detail16transform_kernelINS0_24wrapped_transform_configINS_14default_configEmEEmPmS5_NS_8identityImEEEEvT1_mT2_T3_
                                        ; -- End function
	.section	.AMDGPU.csdata,"",@progbits
; Kernel info:
; codeLenInByte = 300
; NumSgprs: 18
; NumVgprs: 10
; NumAgprs: 0
; TotalNumVgprs: 10
; ScratchSize: 0
; MemoryBound: 1
; FloatMode: 240
; IeeeMode: 1
; LDSByteSize: 0 bytes/workgroup (compile time only)
; SGPRBlocks: 2
; VGPRBlocks: 1
; NumSGPRsForWavesPerEU: 18
; NumVGPRsForWavesPerEU: 10
; AccumOffset: 12
; Occupancy: 8
; WaveLimiterHint : 1
; COMPUTE_PGM_RSRC2:SCRATCH_EN: 0
; COMPUTE_PGM_RSRC2:USER_SGPR: 2
; COMPUTE_PGM_RSRC2:TRAP_HANDLER: 0
; COMPUTE_PGM_RSRC2:TGID_X_EN: 1
; COMPUTE_PGM_RSRC2:TGID_Y_EN: 0
; COMPUTE_PGM_RSRC2:TGID_Z_EN: 0
; COMPUTE_PGM_RSRC2:TIDIG_COMP_CNT: 0
; COMPUTE_PGM_RSRC3_GFX90A:ACCUM_OFFSET: 2
; COMPUTE_PGM_RSRC3_GFX90A:TG_SPLIT: 0
	.section	.text._ZN7rocprim6detail18single_scan_kernelILb0ENS0_19wrapped_scan_configINS_14default_configEmEEPmS5_N6hipcub3SumEmmEEvT1_mT4_T2_T3_,"axG",@progbits,_ZN7rocprim6detail18single_scan_kernelILb0ENS0_19wrapped_scan_configINS_14default_configEmEEPmS5_N6hipcub3SumEmmEEvT1_mT4_T2_T3_,comdat
	.protected	_ZN7rocprim6detail18single_scan_kernelILb0ENS0_19wrapped_scan_configINS_14default_configEmEEPmS5_N6hipcub3SumEmmEEvT1_mT4_T2_T3_ ; -- Begin function _ZN7rocprim6detail18single_scan_kernelILb0ENS0_19wrapped_scan_configINS_14default_configEmEEPmS5_N6hipcub3SumEmmEEvT1_mT4_T2_T3_
	.globl	_ZN7rocprim6detail18single_scan_kernelILb0ENS0_19wrapped_scan_configINS_14default_configEmEEPmS5_N6hipcub3SumEmmEEvT1_mT4_T2_T3_
	.p2align	8
	.type	_ZN7rocprim6detail18single_scan_kernelILb0ENS0_19wrapped_scan_configINS_14default_configEmEEPmS5_N6hipcub3SumEmmEEvT1_mT4_T2_T3_,@function
_ZN7rocprim6detail18single_scan_kernelILb0ENS0_19wrapped_scan_configINS_14default_configEmEEPmS5_N6hipcub3SumEmmEEvT1_mT4_T2_T3_: ; @_ZN7rocprim6detail18single_scan_kernelILb0ENS0_19wrapped_scan_configINS_14default_configEmEEPmS5_N6hipcub3SumEmmEEvT1_mT4_T2_T3_
; %bb.0:
	s_load_dwordx4 s[28:31], s[0:1], 0x0
	v_mov_b32_e32 v35, 0
	v_lshlrev_b32_e32 v34, 3, v0
	s_waitcnt lgkmcnt(0)
	s_load_dwordx2 s[36:37], s[28:29], 0x0
	v_lshl_add_u64 v[36:37], s[28:29], 0, v[34:35]
	v_cmp_gt_u32_e64 s[2:3], s30, v0
	s_waitcnt lgkmcnt(0)
	s_mov_b32 s38, s36
	s_mov_b32 s39, s37
	;; [unrolled: 1-line block ×28, first 2 shown]
	v_mov_b64_e32 v[2:3], s[36:37]
	v_mov_b64_e32 v[4:5], s[38:39]
	;; [unrolled: 1-line block ×16, first 2 shown]
	s_and_saveexec_b64 s[4:5], s[2:3]
	s_cbranch_execz .LBB32_2
; %bb.1:
	global_load_dwordx2 v[2:3], v[36:37], off
	v_mov_b32_e32 v4, s36
	v_mov_b32_e32 v5, s37
	v_mov_b32_e32 v6, s36
	v_mov_b32_e32 v7, s37
	v_mov_b32_e32 v8, s36
	v_mov_b32_e32 v9, s37
	v_mov_b32_e32 v10, s36
	v_mov_b32_e32 v11, s37
	v_mov_b32_e32 v12, s36
	v_mov_b32_e32 v13, s37
	v_mov_b32_e32 v14, s36
	v_mov_b32_e32 v15, s37
	v_mov_b32_e32 v16, s36
	v_mov_b32_e32 v17, s37
	v_mov_b32_e32 v18, s36
	v_mov_b32_e32 v19, s37
	v_mov_b32_e32 v20, s36
	v_mov_b32_e32 v21, s37
	v_mov_b32_e32 v22, s36
	v_mov_b32_e32 v23, s37
	v_mov_b32_e32 v24, s36
	v_mov_b32_e32 v25, s37
	v_mov_b32_e32 v26, s36
	v_mov_b32_e32 v27, s37
	v_mov_b32_e32 v28, s36
	v_mov_b32_e32 v29, s37
	v_mov_b32_e32 v30, s36
	v_mov_b32_e32 v31, s37
.LBB32_2:
	s_or_b64 exec, exec, s[4:5]
	v_or_b32_e32 v1, 0x100, v0
	v_cmp_gt_u32_e64 s[4:5], s30, v1
	s_and_saveexec_b64 s[6:7], s[4:5]
	s_cbranch_execz .LBB32_4
; %bb.3:
	global_load_dwordx2 v[4:5], v[36:37], off offset:2048
.LBB32_4:
	s_or_b64 exec, exec, s[6:7]
	v_or_b32_e32 v1, 0x200, v0
	v_cmp_gt_u32_e64 s[6:7], s30, v1
	s_and_saveexec_b64 s[8:9], s[6:7]
	s_cbranch_execz .LBB32_6
; %bb.5:
	v_add_co_u32_e32 v6, vcc, 0x1000, v36
	s_nop 1
	v_addc_co_u32_e32 v7, vcc, 0, v37, vcc
	global_load_dwordx2 v[6:7], v[6:7], off
.LBB32_6:
	s_or_b64 exec, exec, s[8:9]
	v_or_b32_e32 v1, 0x300, v0
	v_cmp_gt_u32_e64 s[8:9], s30, v1
	s_and_saveexec_b64 s[10:11], s[8:9]
	s_cbranch_execz .LBB32_8
; %bb.7:
	v_add_co_u32_e32 v8, vcc, 0x1000, v36
	s_nop 1
	v_addc_co_u32_e32 v9, vcc, 0, v37, vcc
	global_load_dwordx2 v[8:9], v[8:9], off offset:2048
.LBB32_8:
	s_or_b64 exec, exec, s[10:11]
	v_or_b32_e32 v1, 0x400, v0
	v_cmp_gt_u32_e64 s[10:11], s30, v1
	s_and_saveexec_b64 s[12:13], s[10:11]
	s_cbranch_execz .LBB32_10
; %bb.9:
	v_add_co_u32_e32 v10, vcc, 0x2000, v36
	s_nop 1
	v_addc_co_u32_e32 v11, vcc, 0, v37, vcc
	global_load_dwordx2 v[10:11], v[10:11], off
.LBB32_10:
	s_or_b64 exec, exec, s[12:13]
	v_or_b32_e32 v1, 0x500, v0
	v_cmp_gt_u32_e64 s[12:13], s30, v1
	s_and_saveexec_b64 s[14:15], s[12:13]
	s_cbranch_execz .LBB32_12
; %bb.11:
	v_add_co_u32_e32 v12, vcc, 0x2000, v36
	s_nop 1
	v_addc_co_u32_e32 v13, vcc, 0, v37, vcc
	global_load_dwordx2 v[12:13], v[12:13], off offset:2048
.LBB32_12:
	;; [unrolled: 22-line block ×6, first 2 shown]
	s_or_b64 exec, exec, s[34:35]
	v_or_b32_e32 v1, 0xe00, v0
	v_cmp_gt_u32_e64 s[30:31], s30, v1
	s_and_saveexec_b64 s[34:35], s[30:31]
	s_cbranch_execz .LBB32_30
; %bb.29:
	v_add_co_u32_e32 v30, vcc, 0x7000, v36
	s_nop 1
	v_addc_co_u32_e32 v31, vcc, 0, v37, vcc
	global_load_dwordx2 v[30:31], v[30:31], off
.LBB32_30:
	s_or_b64 exec, exec, s[34:35]
	s_movk_i32 s33, 0x70
	v_mad_u32_u24 v1, v0, s33, v34
	s_waitcnt vmcnt(0)
	ds_write2st64_b64 v34, v[2:3], v[4:5] offset1:4
	ds_write2st64_b64 v34, v[6:7], v[8:9] offset0:8 offset1:12
	ds_write2st64_b64 v34, v[10:11], v[12:13] offset0:16 offset1:20
	;; [unrolled: 1-line block ×6, first 2 shown]
	ds_write_b64 v34, v[30:31] offset:28672
	s_waitcnt lgkmcnt(0)
	s_barrier
	ds_read2_b64 v[2:5], v1 offset1:1
	ds_read2_b64 v[6:9], v1 offset0:2 offset1:3
	ds_read2_b64 v[10:13], v1 offset0:4 offset1:5
	;; [unrolled: 1-line block ×6, first 2 shown]
	ds_read_b64 v[30:31], v1 offset:112
	s_waitcnt lgkmcnt(7)
	v_lshl_add_u64 v[32:33], v[4:5], 0, v[2:3]
	s_waitcnt lgkmcnt(6)
	v_lshl_add_u64 v[32:33], v[32:33], 0, v[6:7]
	v_lshl_add_u64 v[32:33], v[32:33], 0, v[8:9]
	s_waitcnt lgkmcnt(5)
	v_lshl_add_u64 v[32:33], v[32:33], 0, v[10:11]
	;; [unrolled: 3-line block ×6, first 2 shown]
	v_lshrrev_b32_e32 v1, 2, v0
	v_lshl_add_u64 v[32:33], v[32:33], 0, v[28:29]
	v_and_b32_e32 v1, 56, v1
	s_waitcnt lgkmcnt(0)
	v_lshl_add_u64 v[32:33], v[32:33], 0, v[30:31]
	v_add_u32_e32 v1, v34, v1
	v_cmp_gt_u32_e32 vcc, 64, v0
	s_barrier
	ds_write_b64 v1, v[32:33]
	s_waitcnt lgkmcnt(0)
	s_barrier
	s_and_saveexec_b64 s[34:35], vcc
	s_cbranch_execz .LBB32_32
; %bb.31:
	v_lshlrev_b32_e32 v1, 2, v0
	v_lshrrev_b32_e32 v35, 3, v0
	v_add_lshl_u32 v1, v35, v1, 3
	ds_read2_b64 v[36:39], v1 offset1:1
	ds_read2_b64 v[40:43], v1 offset0:2 offset1:3
	v_mbcnt_lo_u32_b32 v35, -1, 0
	v_mov_b32_e32 v44, 0
	v_mbcnt_hi_u32_b32 v35, -1, v35
	s_waitcnt lgkmcnt(1)
	v_lshl_add_u64 v[46:47], v[38:39], 0, v[36:37]
	s_waitcnt lgkmcnt(0)
	v_lshl_add_u64 v[46:47], v[46:47], 0, v[40:41]
	v_lshl_add_u64 v[46:47], v[46:47], 0, v[42:43]
	v_and_b32_e32 v52, 15, v35
	v_mov_b32_e32 v49, v44
	v_mov_b32_dpp v48, v46 row_shr:1 row_mask:0xf bank_mask:0xf
	v_mov_b32_dpp v45, v47 row_shr:1 row_mask:0xf bank_mask:0xf
	v_lshl_add_u64 v[48:49], v[46:47], 0, v[48:49]
	v_cmp_eq_u32_e32 vcc, 0, v52
	v_lshl_add_u64 v[50:51], v[44:45], 0, v[48:49]
	v_mov_b32_e32 v49, v44
	v_cndmask_b32_e32 v53, v48, v46, vcc
	v_cndmask_b32_e32 v47, v51, v47, vcc
	v_cndmask_b32_e32 v46, v50, v46, vcc
	v_mov_b32_dpp v48, v53 row_shr:2 row_mask:0xf bank_mask:0xf
	v_mov_b32_dpp v45, v47 row_shr:2 row_mask:0xf bank_mask:0xf
	v_lshl_add_u64 v[48:49], v[46:47], 0, v[48:49]
	v_cmp_lt_u32_e32 vcc, 1, v52
	v_lshl_add_u64 v[50:51], v[48:49], 0, v[44:45]
	v_mov_b32_e32 v49, v44
	v_cndmask_b32_e32 v53, v53, v48, vcc
	v_cndmask_b32_e32 v47, v47, v51, vcc
	v_cndmask_b32_e32 v46, v46, v50, vcc
	v_mov_b32_dpp v48, v53 row_shr:4 row_mask:0xf bank_mask:0xf
	v_mov_b32_dpp v45, v47 row_shr:4 row_mask:0xf bank_mask:0xf
	v_lshl_add_u64 v[48:49], v[46:47], 0, v[48:49]
	v_cmp_lt_u32_e32 vcc, 3, v52
	;; [unrolled: 9-line block ×3, first 2 shown]
	v_lshl_add_u64 v[50:51], v[48:49], 0, v[44:45]
	v_mov_b32_e32 v49, v44
	v_cndmask_b32_e32 v52, v53, v48, vcc
	v_cndmask_b32_e32 v47, v47, v51, vcc
	;; [unrolled: 1-line block ×3, first 2 shown]
	v_mov_b32_dpp v48, v52 row_bcast:15 row_mask:0xf bank_mask:0xf
	v_and_b32_e32 v53, 16, v35
	v_mov_b32_dpp v45, v47 row_bcast:15 row_mask:0xf bank_mask:0xf
	v_lshl_add_u64 v[48:49], v[46:47], 0, v[48:49]
	v_cmp_eq_u32_e32 vcc, 0, v53
	v_lshl_add_u64 v[50:51], v[48:49], 0, v[44:45]
	v_mov_b32_e32 v49, v44
	v_cndmask_b32_e32 v45, v48, v52, vcc
	v_cndmask_b32_e32 v47, v51, v47, vcc
	;; [unrolled: 1-line block ×3, first 2 shown]
	v_mov_b32_dpp v48, v45 row_bcast:31 row_mask:0xf bank_mask:0xf
	v_mov_b32_dpp v50, v47 row_bcast:31 row_mask:0xf bank_mask:0xf
	v_lshl_add_u64 v[48:49], v[46:47], 0, v[48:49]
	v_add_u32_e32 v46, v50, v49
	v_cmp_lt_u32_e32 vcc, 31, v35
	s_nop 1
	v_cndmask_b32_e32 v45, v45, v48, vcc
	v_cndmask_b32_e32 v47, v47, v46, vcc
	v_add_u32_e32 v46, -1, v35
	v_and_b32_e32 v48, 64, v35
	v_cmp_lt_i32_e32 vcc, v46, v48
	s_nop 1
	v_cndmask_b32_e32 v35, v46, v35, vcc
	v_lshlrev_b32_e32 v35, 2, v35
	ds_bpermute_b32 v46, v35, v45
	ds_bpermute_b32 v45, v35, v47
	v_mov_b32_e32 v47, v44
	v_cmp_eq_u32_e32 vcc, 0, v0
	s_waitcnt lgkmcnt(1)
	v_lshl_add_u64 v[36:37], v[36:37], 0, v[46:47]
	s_waitcnt lgkmcnt(0)
	v_lshl_add_u64 v[36:37], v[36:37], 0, v[44:45]
	v_cndmask_b32_e32 v33, v37, v33, vcc
	v_cndmask_b32_e32 v32, v36, v32, vcc
	v_lshl_add_u64 v[36:37], v[32:33], 0, v[38:39]
	ds_write2_b64 v1, v[32:33], v[36:37] offset1:1
	v_lshl_add_u64 v[32:33], v[36:37], 0, v[40:41]
	v_lshl_add_u64 v[36:37], v[32:33], 0, v[42:43]
	ds_write2_b64 v1, v[32:33], v[36:37] offset0:2 offset1:3
.LBB32_32:
	s_or_b64 exec, exec, s[34:35]
	v_mul_u32_u24_e32 v1, 0x70, v0
	v_cmp_ne_u32_e32 vcc, 0, v0
	v_mov_b64_e32 v[32:33], 0
	s_waitcnt lgkmcnt(0)
	s_barrier
	s_and_saveexec_b64 s[34:35], vcc
	s_cbranch_execz .LBB32_34
; %bb.33:
	v_add_u32_e32 v0, -1, v0
	v_lshrrev_b32_e32 v32, 5, v0
	v_add_lshl_u32 v0, v32, v0, 3
	ds_read_b64 v[32:33], v0
.LBB32_34:
	s_or_b64 exec, exec, s[34:35]
	s_waitcnt lgkmcnt(0)
	v_lshl_add_u64 v[2:3], v[32:33], 0, v[2:3]
	v_lshl_add_u64 v[4:5], v[2:3], 0, v[4:5]
	;; [unrolled: 1-line block ×14, first 2 shown]
	v_add_u32_e32 v0, v34, v1
	v_lshl_add_u64 v[30:31], v[28:29], 0, v[30:31]
	s_barrier
	ds_write2_b64 v0, v[2:3], v[4:5] offset1:1
	ds_write2_b64 v0, v[6:7], v[8:9] offset0:2 offset1:3
	ds_write2_b64 v0, v[10:11], v[12:13] offset0:4 offset1:5
	;; [unrolled: 1-line block ×6, first 2 shown]
	ds_write_b64 v0, v[30:31] offset:112
	s_waitcnt lgkmcnt(0)
	s_barrier
	ds_read2st64_b64 v[24:27], v34 offset0:4 offset1:8
	ds_read2st64_b64 v[20:23], v34 offset0:12 offset1:16
	;; [unrolled: 1-line block ×7, first 2 shown]
	s_load_dwordx2 s[0:1], s[0:1], 0x18
	v_mov_b32_e32 v35, 0
	s_waitcnt lgkmcnt(0)
	v_lshl_add_u64 v[28:29], s[0:1], 0, v[34:35]
	s_and_saveexec_b64 s[0:1], s[2:3]
	s_cbranch_execnz .LBB32_50
; %bb.35:
	s_or_b64 exec, exec, s[0:1]
	s_and_saveexec_b64 s[0:1], s[4:5]
	s_cbranch_execnz .LBB32_51
.LBB32_36:
	s_or_b64 exec, exec, s[0:1]
	s_and_saveexec_b64 s[0:1], s[6:7]
	s_cbranch_execnz .LBB32_52
.LBB32_37:
	s_or_b64 exec, exec, s[0:1]
	s_and_saveexec_b64 s[0:1], s[8:9]
	s_cbranch_execnz .LBB32_53
.LBB32_38:
	s_or_b64 exec, exec, s[0:1]
	s_and_saveexec_b64 s[0:1], s[10:11]
	s_cbranch_execnz .LBB32_54
.LBB32_39:
	s_or_b64 exec, exec, s[0:1]
	s_and_saveexec_b64 s[0:1], s[12:13]
	s_cbranch_execnz .LBB32_55
.LBB32_40:
	s_or_b64 exec, exec, s[0:1]
	s_and_saveexec_b64 s[0:1], s[14:15]
	s_cbranch_execnz .LBB32_56
.LBB32_41:
	s_or_b64 exec, exec, s[0:1]
	s_and_saveexec_b64 s[0:1], s[16:17]
	s_cbranch_execnz .LBB32_57
.LBB32_42:
	s_or_b64 exec, exec, s[0:1]
	s_and_saveexec_b64 s[0:1], s[18:19]
	s_cbranch_execnz .LBB32_58
.LBB32_43:
	s_or_b64 exec, exec, s[0:1]
	s_and_saveexec_b64 s[0:1], s[20:21]
	s_cbranch_execnz .LBB32_59
.LBB32_44:
	s_or_b64 exec, exec, s[0:1]
	s_and_saveexec_b64 s[0:1], s[22:23]
	s_cbranch_execnz .LBB32_60
.LBB32_45:
	s_or_b64 exec, exec, s[0:1]
	s_and_saveexec_b64 s[0:1], s[24:25]
	s_cbranch_execnz .LBB32_61
.LBB32_46:
	s_or_b64 exec, exec, s[0:1]
	s_and_saveexec_b64 s[0:1], s[26:27]
	s_cbranch_execnz .LBB32_62
.LBB32_47:
	s_or_b64 exec, exec, s[0:1]
	s_and_saveexec_b64 s[0:1], s[28:29]
	s_cbranch_execnz .LBB32_63
.LBB32_48:
	s_or_b64 exec, exec, s[0:1]
	s_and_saveexec_b64 s[0:1], s[30:31]
	s_cbranch_execnz .LBB32_64
.LBB32_49:
	s_endpgm
.LBB32_50:
	ds_read_b64 v[30:31], v34
	s_waitcnt lgkmcnt(0)
	global_store_dwordx2 v[28:29], v[30:31], off
	s_or_b64 exec, exec, s[0:1]
	s_and_saveexec_b64 s[0:1], s[4:5]
	s_cbranch_execz .LBB32_36
.LBB32_51:
	global_store_dwordx2 v[28:29], v[24:25], off offset:2048
	s_or_b64 exec, exec, s[0:1]
	s_and_saveexec_b64 s[0:1], s[6:7]
	s_cbranch_execz .LBB32_37
.LBB32_52:
	v_add_co_u32_e32 v24, vcc, 0x1000, v28
	s_nop 1
	v_addc_co_u32_e32 v25, vcc, 0, v29, vcc
	global_store_dwordx2 v[24:25], v[26:27], off
	s_or_b64 exec, exec, s[0:1]
	s_and_saveexec_b64 s[0:1], s[8:9]
	s_cbranch_execz .LBB32_38
.LBB32_53:
	v_add_co_u32_e32 v24, vcc, 0x1000, v28
	s_nop 1
	v_addc_co_u32_e32 v25, vcc, 0, v29, vcc
	global_store_dwordx2 v[24:25], v[20:21], off offset:2048
	s_or_b64 exec, exec, s[0:1]
	s_and_saveexec_b64 s[0:1], s[10:11]
	s_cbranch_execz .LBB32_39
.LBB32_54:
	v_add_co_u32_e32 v20, vcc, 0x2000, v28
	s_nop 1
	v_addc_co_u32_e32 v21, vcc, 0, v29, vcc
	global_store_dwordx2 v[20:21], v[22:23], off
	s_or_b64 exec, exec, s[0:1]
	s_and_saveexec_b64 s[0:1], s[12:13]
	s_cbranch_execz .LBB32_40
.LBB32_55:
	v_add_co_u32_e32 v20, vcc, 0x2000, v28
	s_nop 1
	v_addc_co_u32_e32 v21, vcc, 0, v29, vcc
	global_store_dwordx2 v[20:21], v[16:17], off offset:2048
	s_or_b64 exec, exec, s[0:1]
	s_and_saveexec_b64 s[0:1], s[14:15]
	s_cbranch_execz .LBB32_41
.LBB32_56:
	v_add_co_u32_e32 v16, vcc, 0x3000, v28
	s_nop 1
	v_addc_co_u32_e32 v17, vcc, 0, v29, vcc
	global_store_dwordx2 v[16:17], v[18:19], off
	s_or_b64 exec, exec, s[0:1]
	s_and_saveexec_b64 s[0:1], s[16:17]
	s_cbranch_execz .LBB32_42
.LBB32_57:
	v_add_co_u32_e32 v16, vcc, 0x3000, v28
	s_nop 1
	v_addc_co_u32_e32 v17, vcc, 0, v29, vcc
	global_store_dwordx2 v[16:17], v[12:13], off offset:2048
	s_or_b64 exec, exec, s[0:1]
	s_and_saveexec_b64 s[0:1], s[18:19]
	s_cbranch_execz .LBB32_43
.LBB32_58:
	v_add_co_u32_e32 v12, vcc, 0x4000, v28
	s_nop 1
	v_addc_co_u32_e32 v13, vcc, 0, v29, vcc
	global_store_dwordx2 v[12:13], v[14:15], off
	s_or_b64 exec, exec, s[0:1]
	s_and_saveexec_b64 s[0:1], s[20:21]
	s_cbranch_execz .LBB32_44
.LBB32_59:
	v_add_co_u32_e32 v12, vcc, 0x4000, v28
	s_nop 1
	v_addc_co_u32_e32 v13, vcc, 0, v29, vcc
	global_store_dwordx2 v[12:13], v[8:9], off offset:2048
	s_or_b64 exec, exec, s[0:1]
	s_and_saveexec_b64 s[0:1], s[22:23]
	s_cbranch_execz .LBB32_45
.LBB32_60:
	v_add_co_u32_e32 v8, vcc, 0x5000, v28
	s_nop 1
	v_addc_co_u32_e32 v9, vcc, 0, v29, vcc
	global_store_dwordx2 v[8:9], v[10:11], off
	s_or_b64 exec, exec, s[0:1]
	s_and_saveexec_b64 s[0:1], s[24:25]
	s_cbranch_execz .LBB32_46
.LBB32_61:
	v_add_co_u32_e32 v8, vcc, 0x5000, v28
	s_nop 1
	v_addc_co_u32_e32 v9, vcc, 0, v29, vcc
	global_store_dwordx2 v[8:9], v[4:5], off offset:2048
	s_or_b64 exec, exec, s[0:1]
	s_and_saveexec_b64 s[0:1], s[26:27]
	s_cbranch_execz .LBB32_47
.LBB32_62:
	v_add_co_u32_e32 v4, vcc, 0x6000, v28
	s_nop 1
	v_addc_co_u32_e32 v5, vcc, 0, v29, vcc
	global_store_dwordx2 v[4:5], v[6:7], off
	s_or_b64 exec, exec, s[0:1]
	s_and_saveexec_b64 s[0:1], s[28:29]
	s_cbranch_execz .LBB32_48
.LBB32_63:
	v_add_co_u32_e32 v4, vcc, 0x6000, v28
	s_nop 1
	v_addc_co_u32_e32 v5, vcc, 0, v29, vcc
	global_store_dwordx2 v[4:5], v[0:1], off offset:2048
	s_or_b64 exec, exec, s[0:1]
	s_and_saveexec_b64 s[0:1], s[30:31]
	s_cbranch_execz .LBB32_49
.LBB32_64:
	v_add_co_u32_e32 v0, vcc, 0x7000, v28
	s_nop 1
	v_addc_co_u32_e32 v1, vcc, 0, v29, vcc
	global_store_dwordx2 v[0:1], v[2:3], off
	s_endpgm
	.section	.rodata,"a",@progbits
	.p2align	6, 0x0
	.amdhsa_kernel _ZN7rocprim6detail18single_scan_kernelILb0ENS0_19wrapped_scan_configINS_14default_configEmEEPmS5_N6hipcub3SumEmmEEvT1_mT4_T2_T3_
		.amdhsa_group_segment_fixed_size 30720
		.amdhsa_private_segment_fixed_size 0
		.amdhsa_kernarg_size 36
		.amdhsa_user_sgpr_count 2
		.amdhsa_user_sgpr_dispatch_ptr 0
		.amdhsa_user_sgpr_queue_ptr 0
		.amdhsa_user_sgpr_kernarg_segment_ptr 1
		.amdhsa_user_sgpr_dispatch_id 0
		.amdhsa_user_sgpr_kernarg_preload_length 0
		.amdhsa_user_sgpr_kernarg_preload_offset 0
		.amdhsa_user_sgpr_private_segment_size 0
		.amdhsa_uses_dynamic_stack 0
		.amdhsa_enable_private_segment 0
		.amdhsa_system_sgpr_workgroup_id_x 1
		.amdhsa_system_sgpr_workgroup_id_y 0
		.amdhsa_system_sgpr_workgroup_id_z 0
		.amdhsa_system_sgpr_workgroup_info 0
		.amdhsa_system_vgpr_workitem_id 0
		.amdhsa_next_free_vgpr 54
		.amdhsa_next_free_sgpr 68
		.amdhsa_accum_offset 56
		.amdhsa_reserve_vcc 1
		.amdhsa_float_round_mode_32 0
		.amdhsa_float_round_mode_16_64 0
		.amdhsa_float_denorm_mode_32 3
		.amdhsa_float_denorm_mode_16_64 3
		.amdhsa_dx10_clamp 1
		.amdhsa_ieee_mode 1
		.amdhsa_fp16_overflow 0
		.amdhsa_tg_split 0
		.amdhsa_exception_fp_ieee_invalid_op 0
		.amdhsa_exception_fp_denorm_src 0
		.amdhsa_exception_fp_ieee_div_zero 0
		.amdhsa_exception_fp_ieee_overflow 0
		.amdhsa_exception_fp_ieee_underflow 0
		.amdhsa_exception_fp_ieee_inexact 0
		.amdhsa_exception_int_div_zero 0
	.end_amdhsa_kernel
	.section	.text._ZN7rocprim6detail18single_scan_kernelILb0ENS0_19wrapped_scan_configINS_14default_configEmEEPmS5_N6hipcub3SumEmmEEvT1_mT4_T2_T3_,"axG",@progbits,_ZN7rocprim6detail18single_scan_kernelILb0ENS0_19wrapped_scan_configINS_14default_configEmEEPmS5_N6hipcub3SumEmmEEvT1_mT4_T2_T3_,comdat
.Lfunc_end32:
	.size	_ZN7rocprim6detail18single_scan_kernelILb0ENS0_19wrapped_scan_configINS_14default_configEmEEPmS5_N6hipcub3SumEmmEEvT1_mT4_T2_T3_, .Lfunc_end32-_ZN7rocprim6detail18single_scan_kernelILb0ENS0_19wrapped_scan_configINS_14default_configEmEEPmS5_N6hipcub3SumEmmEEvT1_mT4_T2_T3_
                                        ; -- End function
	.section	.AMDGPU.csdata,"",@progbits
; Kernel info:
; codeLenInByte = 2968
; NumSgprs: 74
; NumVgprs: 54
; NumAgprs: 0
; TotalNumVgprs: 54
; ScratchSize: 0
; MemoryBound: 1
; FloatMode: 240
; IeeeMode: 1
; LDSByteSize: 30720 bytes/workgroup (compile time only)
; SGPRBlocks: 9
; VGPRBlocks: 6
; NumSGPRsForWavesPerEU: 74
; NumVGPRsForWavesPerEU: 54
; AccumOffset: 56
; Occupancy: 2
; WaveLimiterHint : 0
; COMPUTE_PGM_RSRC2:SCRATCH_EN: 0
; COMPUTE_PGM_RSRC2:USER_SGPR: 2
; COMPUTE_PGM_RSRC2:TRAP_HANDLER: 0
; COMPUTE_PGM_RSRC2:TGID_X_EN: 1
; COMPUTE_PGM_RSRC2:TGID_Y_EN: 0
; COMPUTE_PGM_RSRC2:TGID_Z_EN: 0
; COMPUTE_PGM_RSRC2:TIDIG_COMP_CNT: 0
; COMPUTE_PGM_RSRC3_GFX90A:ACCUM_OFFSET: 13
; COMPUTE_PGM_RSRC3_GFX90A:TG_SPLIT: 0
	.section	.text._ZN7rocprim6detail31init_lookback_scan_state_kernelINS0_19lookback_scan_stateIyLb1ELb1EEEEEvT_jjPNS4_10value_typeE,"axG",@progbits,_ZN7rocprim6detail31init_lookback_scan_state_kernelINS0_19lookback_scan_stateIyLb1ELb1EEEEEvT_jjPNS4_10value_typeE,comdat
	.protected	_ZN7rocprim6detail31init_lookback_scan_state_kernelINS0_19lookback_scan_stateIyLb1ELb1EEEEEvT_jjPNS4_10value_typeE ; -- Begin function _ZN7rocprim6detail31init_lookback_scan_state_kernelINS0_19lookback_scan_stateIyLb1ELb1EEEEEvT_jjPNS4_10value_typeE
	.globl	_ZN7rocprim6detail31init_lookback_scan_state_kernelINS0_19lookback_scan_stateIyLb1ELb1EEEEEvT_jjPNS4_10value_typeE
	.p2align	8
	.type	_ZN7rocprim6detail31init_lookback_scan_state_kernelINS0_19lookback_scan_stateIyLb1ELb1EEEEEvT_jjPNS4_10value_typeE,@function
_ZN7rocprim6detail31init_lookback_scan_state_kernelINS0_19lookback_scan_stateIyLb1ELb1EEEEEvT_jjPNS4_10value_typeE: ; @_ZN7rocprim6detail31init_lookback_scan_state_kernelINS0_19lookback_scan_stateIyLb1ELb1EEEEEvT_jjPNS4_10value_typeE
; %bb.0:
	s_load_dword s3, s[0:1], 0x24
	s_load_dwordx2 s[8:9], s[0:1], 0x10
	s_load_dwordx4 s[4:7], s[0:1], 0x0
	s_waitcnt lgkmcnt(0)
	s_and_b32 s0, s3, 0xffff
	s_mul_i32 s2, s2, s0
	s_cmp_eq_u64 s[8:9], 0
	v_add_u32_e32 v0, s2, v0
	s_cbranch_scc1 .LBB33_10
; %bb.1:
	s_cmp_lt_u32 s7, s6
	s_cselect_b32 s0, s7, 0
	s_mov_b32 s3, 0
	v_cmp_eq_u32_e32 vcc, s0, v0
	s_and_saveexec_b64 s[0:1], vcc
	s_cbranch_execz .LBB33_9
; %bb.2:
	s_add_i32 s2, s7, 64
	s_lshl_b64 s[2:3], s[2:3], 4
	s_add_u32 s12, s4, s2
	s_addc_u32 s13, s5, s3
	v_mov_b64_e32 v[2:3], s[12:13]
	;;#ASMSTART
	global_load_dwordx4 v[2:5], v[2:3] off sc1	
s_waitcnt vmcnt(0)
	;;#ASMEND
	v_mov_b32_e32 v7, 0
	v_and_b32_e32 v6, 0xff, v4
	s_mov_b64 s[10:11], 0
	v_cmp_eq_u64_e32 vcc, 0, v[6:7]
	s_and_saveexec_b64 s[2:3], vcc
	s_cbranch_execz .LBB33_8
; %bb.3:
	s_mov_b32 s7, 1
	v_mov_b64_e32 v[8:9], s[12:13]
.LBB33_4:                               ; =>This Loop Header: Depth=1
                                        ;     Child Loop BB33_5 Depth 2
	s_max_u32 s12, s7, 1
.LBB33_5:                               ;   Parent Loop BB33_4 Depth=1
                                        ; =>  This Inner Loop Header: Depth=2
	s_add_i32 s12, s12, -1
	s_cmp_eq_u32 s12, 0
	s_sleep 1
	s_cbranch_scc0 .LBB33_5
; %bb.6:                                ;   in Loop: Header=BB33_4 Depth=1
	s_cmp_lt_u32 s7, 32
	s_cselect_b64 s[12:13], -1, 0
	s_cmp_lg_u64 s[12:13], 0
	;;#ASMSTART
	global_load_dwordx4 v[2:5], v[8:9] off sc1	
s_waitcnt vmcnt(0)
	;;#ASMEND
	s_addc_u32 s7, s7, 0
	v_and_b32_e32 v6, 0xff, v4
	v_cmp_ne_u64_e32 vcc, 0, v[6:7]
	s_or_b64 s[10:11], vcc, s[10:11]
	s_andn2_b64 exec, exec, s[10:11]
	s_cbranch_execnz .LBB33_4
; %bb.7:
	s_or_b64 exec, exec, s[10:11]
.LBB33_8:
	s_or_b64 exec, exec, s[2:3]
	v_mov_b32_e32 v1, 0
	global_store_dwordx2 v1, v[2:3], s[8:9]
.LBB33_9:
	s_or_b64 exec, exec, s[0:1]
.LBB33_10:
	v_cmp_gt_u32_e32 vcc, s6, v0
	s_and_saveexec_b64 s[0:1], vcc
	s_cbranch_execnz .LBB33_13
; %bb.11:
	s_or_b64 exec, exec, s[0:1]
	v_cmp_gt_u32_e32 vcc, 64, v0
	s_and_saveexec_b64 s[0:1], vcc
	s_cbranch_execnz .LBB33_14
.LBB33_12:
	s_endpgm
.LBB33_13:
	v_add_u32_e32 v2, 64, v0
	v_mov_b32_e32 v3, 0
	v_lshl_add_u64 v[6:7], v[2:3], 4, s[4:5]
	v_mov_b32_e32 v2, v3
	v_mov_b32_e32 v4, v3
	;; [unrolled: 1-line block ×3, first 2 shown]
	global_store_dwordx4 v[6:7], v[2:5], off
	s_or_b64 exec, exec, s[0:1]
	v_cmp_gt_u32_e32 vcc, 64, v0
	s_and_saveexec_b64 s[0:1], vcc
	s_cbranch_execz .LBB33_12
.LBB33_14:
	v_mov_b32_e32 v1, 0
	v_lshl_add_u64 v[4:5], v[0:1], 4, s[4:5]
	v_mov_b32_e32 v2, 0xff
	v_mov_b32_e32 v0, v1
	;; [unrolled: 1-line block ×3, first 2 shown]
	global_store_dwordx4 v[4:5], v[0:3], off
	s_endpgm
	.section	.rodata,"a",@progbits
	.p2align	6, 0x0
	.amdhsa_kernel _ZN7rocprim6detail31init_lookback_scan_state_kernelINS0_19lookback_scan_stateIyLb1ELb1EEEEEvT_jjPNS4_10value_typeE
		.amdhsa_group_segment_fixed_size 0
		.amdhsa_private_segment_fixed_size 0
		.amdhsa_kernarg_size 280
		.amdhsa_user_sgpr_count 2
		.amdhsa_user_sgpr_dispatch_ptr 0
		.amdhsa_user_sgpr_queue_ptr 0
		.amdhsa_user_sgpr_kernarg_segment_ptr 1
		.amdhsa_user_sgpr_dispatch_id 0
		.amdhsa_user_sgpr_kernarg_preload_length 0
		.amdhsa_user_sgpr_kernarg_preload_offset 0
		.amdhsa_user_sgpr_private_segment_size 0
		.amdhsa_uses_dynamic_stack 0
		.amdhsa_enable_private_segment 0
		.amdhsa_system_sgpr_workgroup_id_x 1
		.amdhsa_system_sgpr_workgroup_id_y 0
		.amdhsa_system_sgpr_workgroup_id_z 0
		.amdhsa_system_sgpr_workgroup_info 0
		.amdhsa_system_vgpr_workitem_id 0
		.amdhsa_next_free_vgpr 10
		.amdhsa_next_free_sgpr 14
		.amdhsa_accum_offset 12
		.amdhsa_reserve_vcc 1
		.amdhsa_float_round_mode_32 0
		.amdhsa_float_round_mode_16_64 0
		.amdhsa_float_denorm_mode_32 3
		.amdhsa_float_denorm_mode_16_64 3
		.amdhsa_dx10_clamp 1
		.amdhsa_ieee_mode 1
		.amdhsa_fp16_overflow 0
		.amdhsa_tg_split 0
		.amdhsa_exception_fp_ieee_invalid_op 0
		.amdhsa_exception_fp_denorm_src 0
		.amdhsa_exception_fp_ieee_div_zero 0
		.amdhsa_exception_fp_ieee_overflow 0
		.amdhsa_exception_fp_ieee_underflow 0
		.amdhsa_exception_fp_ieee_inexact 0
		.amdhsa_exception_int_div_zero 0
	.end_amdhsa_kernel
	.section	.text._ZN7rocprim6detail31init_lookback_scan_state_kernelINS0_19lookback_scan_stateIyLb1ELb1EEEEEvT_jjPNS4_10value_typeE,"axG",@progbits,_ZN7rocprim6detail31init_lookback_scan_state_kernelINS0_19lookback_scan_stateIyLb1ELb1EEEEEvT_jjPNS4_10value_typeE,comdat
.Lfunc_end33:
	.size	_ZN7rocprim6detail31init_lookback_scan_state_kernelINS0_19lookback_scan_stateIyLb1ELb1EEEEEvT_jjPNS4_10value_typeE, .Lfunc_end33-_ZN7rocprim6detail31init_lookback_scan_state_kernelINS0_19lookback_scan_stateIyLb1ELb1EEEEEvT_jjPNS4_10value_typeE
                                        ; -- End function
	.section	.AMDGPU.csdata,"",@progbits
; Kernel info:
; codeLenInByte = 372
; NumSgprs: 20
; NumVgprs: 10
; NumAgprs: 0
; TotalNumVgprs: 10
; ScratchSize: 0
; MemoryBound: 0
; FloatMode: 240
; IeeeMode: 1
; LDSByteSize: 0 bytes/workgroup (compile time only)
; SGPRBlocks: 2
; VGPRBlocks: 1
; NumSGPRsForWavesPerEU: 20
; NumVGPRsForWavesPerEU: 10
; AccumOffset: 12
; Occupancy: 8
; WaveLimiterHint : 0
; COMPUTE_PGM_RSRC2:SCRATCH_EN: 0
; COMPUTE_PGM_RSRC2:USER_SGPR: 2
; COMPUTE_PGM_RSRC2:TRAP_HANDLER: 0
; COMPUTE_PGM_RSRC2:TGID_X_EN: 1
; COMPUTE_PGM_RSRC2:TGID_Y_EN: 0
; COMPUTE_PGM_RSRC2:TGID_Z_EN: 0
; COMPUTE_PGM_RSRC2:TIDIG_COMP_CNT: 0
; COMPUTE_PGM_RSRC3_GFX90A:ACCUM_OFFSET: 2
; COMPUTE_PGM_RSRC3_GFX90A:TG_SPLIT: 0
	.section	.text._ZN7rocprim6detail31init_lookback_scan_state_kernelINS0_19lookback_scan_stateIyLb0ELb1EEEEEvT_jjPNS4_10value_typeE,"axG",@progbits,_ZN7rocprim6detail31init_lookback_scan_state_kernelINS0_19lookback_scan_stateIyLb0ELb1EEEEEvT_jjPNS4_10value_typeE,comdat
	.protected	_ZN7rocprim6detail31init_lookback_scan_state_kernelINS0_19lookback_scan_stateIyLb0ELb1EEEEEvT_jjPNS4_10value_typeE ; -- Begin function _ZN7rocprim6detail31init_lookback_scan_state_kernelINS0_19lookback_scan_stateIyLb0ELb1EEEEEvT_jjPNS4_10value_typeE
	.globl	_ZN7rocprim6detail31init_lookback_scan_state_kernelINS0_19lookback_scan_stateIyLb0ELb1EEEEEvT_jjPNS4_10value_typeE
	.p2align	8
	.type	_ZN7rocprim6detail31init_lookback_scan_state_kernelINS0_19lookback_scan_stateIyLb0ELb1EEEEEvT_jjPNS4_10value_typeE,@function
_ZN7rocprim6detail31init_lookback_scan_state_kernelINS0_19lookback_scan_stateIyLb0ELb1EEEEEvT_jjPNS4_10value_typeE: ; @_ZN7rocprim6detail31init_lookback_scan_state_kernelINS0_19lookback_scan_stateIyLb0ELb1EEEEEvT_jjPNS4_10value_typeE
; %bb.0:
	s_load_dword s3, s[0:1], 0x24
	s_load_dwordx2 s[8:9], s[0:1], 0x10
	s_load_dwordx4 s[4:7], s[0:1], 0x0
	s_waitcnt lgkmcnt(0)
	s_and_b32 s0, s3, 0xffff
	s_mul_i32 s2, s2, s0
	s_cmp_eq_u64 s[8:9], 0
	v_add_u32_e32 v0, s2, v0
	s_cbranch_scc1 .LBB34_8
; %bb.1:
	s_cmp_lt_u32 s7, s6
	s_cselect_b32 s0, s7, 0
	s_mov_b32 s3, 0
	v_cmp_eq_u32_e32 vcc, s0, v0
	s_and_saveexec_b64 s[0:1], vcc
	s_cbranch_execz .LBB34_7
; %bb.2:
	s_add_i32 s2, s7, 64
	s_lshl_b64 s[2:3], s[2:3], 4
	s_add_u32 s12, s4, s2
	s_addc_u32 s13, s5, s3
	v_mov_b64_e32 v[2:3], s[12:13]
	;;#ASMSTART
	global_load_dwordx4 v[2:5], v[2:3] off sc1	
s_waitcnt vmcnt(0)
	;;#ASMEND
	v_mov_b32_e32 v7, 0
	v_and_b32_e32 v6, 0xff, v4
	s_mov_b64 s[10:11], 0
	v_cmp_eq_u64_e32 vcc, 0, v[6:7]
	s_and_saveexec_b64 s[2:3], vcc
	s_cbranch_execz .LBB34_6
; %bb.3:
	v_mov_b64_e32 v[8:9], s[12:13]
.LBB34_4:                               ; =>This Inner Loop Header: Depth=1
	;;#ASMSTART
	global_load_dwordx4 v[2:5], v[8:9] off sc1	
s_waitcnt vmcnt(0)
	;;#ASMEND
	s_nop 0
	v_and_b32_e32 v6, 0xff, v4
	v_cmp_ne_u64_e32 vcc, 0, v[6:7]
	s_or_b64 s[10:11], vcc, s[10:11]
	s_andn2_b64 exec, exec, s[10:11]
	s_cbranch_execnz .LBB34_4
; %bb.5:
	s_or_b64 exec, exec, s[10:11]
.LBB34_6:
	s_or_b64 exec, exec, s[2:3]
	v_mov_b32_e32 v1, 0
	global_store_dwordx2 v1, v[2:3], s[8:9]
.LBB34_7:
	s_or_b64 exec, exec, s[0:1]
.LBB34_8:
	v_cmp_gt_u32_e32 vcc, s6, v0
	s_and_saveexec_b64 s[0:1], vcc
	s_cbranch_execnz .LBB34_11
; %bb.9:
	s_or_b64 exec, exec, s[0:1]
	v_cmp_gt_u32_e32 vcc, 64, v0
	s_and_saveexec_b64 s[0:1], vcc
	s_cbranch_execnz .LBB34_12
.LBB34_10:
	s_endpgm
.LBB34_11:
	v_add_u32_e32 v2, 64, v0
	v_mov_b32_e32 v3, 0
	v_lshl_add_u64 v[6:7], v[2:3], 4, s[4:5]
	v_mov_b32_e32 v2, v3
	v_mov_b32_e32 v4, v3
	;; [unrolled: 1-line block ×3, first 2 shown]
	global_store_dwordx4 v[6:7], v[2:5], off
	s_or_b64 exec, exec, s[0:1]
	v_cmp_gt_u32_e32 vcc, 64, v0
	s_and_saveexec_b64 s[0:1], vcc
	s_cbranch_execz .LBB34_10
.LBB34_12:
	v_mov_b32_e32 v1, 0
	v_lshl_add_u64 v[4:5], v[0:1], 4, s[4:5]
	v_mov_b32_e32 v2, 0xff
	v_mov_b32_e32 v0, v1
	;; [unrolled: 1-line block ×3, first 2 shown]
	global_store_dwordx4 v[4:5], v[0:3], off
	s_endpgm
	.section	.rodata,"a",@progbits
	.p2align	6, 0x0
	.amdhsa_kernel _ZN7rocprim6detail31init_lookback_scan_state_kernelINS0_19lookback_scan_stateIyLb0ELb1EEEEEvT_jjPNS4_10value_typeE
		.amdhsa_group_segment_fixed_size 0
		.amdhsa_private_segment_fixed_size 0
		.amdhsa_kernarg_size 280
		.amdhsa_user_sgpr_count 2
		.amdhsa_user_sgpr_dispatch_ptr 0
		.amdhsa_user_sgpr_queue_ptr 0
		.amdhsa_user_sgpr_kernarg_segment_ptr 1
		.amdhsa_user_sgpr_dispatch_id 0
		.amdhsa_user_sgpr_kernarg_preload_length 0
		.amdhsa_user_sgpr_kernarg_preload_offset 0
		.amdhsa_user_sgpr_private_segment_size 0
		.amdhsa_uses_dynamic_stack 0
		.amdhsa_enable_private_segment 0
		.amdhsa_system_sgpr_workgroup_id_x 1
		.amdhsa_system_sgpr_workgroup_id_y 0
		.amdhsa_system_sgpr_workgroup_id_z 0
		.amdhsa_system_sgpr_workgroup_info 0
		.amdhsa_system_vgpr_workitem_id 0
		.amdhsa_next_free_vgpr 10
		.amdhsa_next_free_sgpr 14
		.amdhsa_accum_offset 12
		.amdhsa_reserve_vcc 1
		.amdhsa_float_round_mode_32 0
		.amdhsa_float_round_mode_16_64 0
		.amdhsa_float_denorm_mode_32 3
		.amdhsa_float_denorm_mode_16_64 3
		.amdhsa_dx10_clamp 1
		.amdhsa_ieee_mode 1
		.amdhsa_fp16_overflow 0
		.amdhsa_tg_split 0
		.amdhsa_exception_fp_ieee_invalid_op 0
		.amdhsa_exception_fp_denorm_src 0
		.amdhsa_exception_fp_ieee_div_zero 0
		.amdhsa_exception_fp_ieee_overflow 0
		.amdhsa_exception_fp_ieee_underflow 0
		.amdhsa_exception_fp_ieee_inexact 0
		.amdhsa_exception_int_div_zero 0
	.end_amdhsa_kernel
	.section	.text._ZN7rocprim6detail31init_lookback_scan_state_kernelINS0_19lookback_scan_stateIyLb0ELb1EEEEEvT_jjPNS4_10value_typeE,"axG",@progbits,_ZN7rocprim6detail31init_lookback_scan_state_kernelINS0_19lookback_scan_stateIyLb0ELb1EEEEEvT_jjPNS4_10value_typeE,comdat
.Lfunc_end34:
	.size	_ZN7rocprim6detail31init_lookback_scan_state_kernelINS0_19lookback_scan_stateIyLb0ELb1EEEEEvT_jjPNS4_10value_typeE, .Lfunc_end34-_ZN7rocprim6detail31init_lookback_scan_state_kernelINS0_19lookback_scan_stateIyLb0ELb1EEEEEvT_jjPNS4_10value_typeE
                                        ; -- End function
	.section	.AMDGPU.csdata,"",@progbits
; Kernel info:
; codeLenInByte = 336
; NumSgprs: 20
; NumVgprs: 10
; NumAgprs: 0
; TotalNumVgprs: 10
; ScratchSize: 0
; MemoryBound: 0
; FloatMode: 240
; IeeeMode: 1
; LDSByteSize: 0 bytes/workgroup (compile time only)
; SGPRBlocks: 2
; VGPRBlocks: 1
; NumSGPRsForWavesPerEU: 20
; NumVGPRsForWavesPerEU: 10
; AccumOffset: 12
; Occupancy: 8
; WaveLimiterHint : 0
; COMPUTE_PGM_RSRC2:SCRATCH_EN: 0
; COMPUTE_PGM_RSRC2:USER_SGPR: 2
; COMPUTE_PGM_RSRC2:TRAP_HANDLER: 0
; COMPUTE_PGM_RSRC2:TGID_X_EN: 1
; COMPUTE_PGM_RSRC2:TGID_Y_EN: 0
; COMPUTE_PGM_RSRC2:TGID_Z_EN: 0
; COMPUTE_PGM_RSRC2:TIDIG_COMP_CNT: 0
; COMPUTE_PGM_RSRC3_GFX90A:ACCUM_OFFSET: 2
; COMPUTE_PGM_RSRC3_GFX90A:TG_SPLIT: 0
	.section	.text._ZN7rocprim6detail20lookback_scan_kernelILNS0_25lookback_scan_determinismE0ELb0ENS0_19wrapped_scan_configINS_14default_configEyEEPyS6_N6hipcub3MinEyyNS0_19lookback_scan_stateIyLb1ELb1EEEEEvT2_T3_mT5_T4_T7_jPT6_SH_bb,"axG",@progbits,_ZN7rocprim6detail20lookback_scan_kernelILNS0_25lookback_scan_determinismE0ELb0ENS0_19wrapped_scan_configINS_14default_configEyEEPyS6_N6hipcub3MinEyyNS0_19lookback_scan_stateIyLb1ELb1EEEEEvT2_T3_mT5_T4_T7_jPT6_SH_bb,comdat
	.protected	_ZN7rocprim6detail20lookback_scan_kernelILNS0_25lookback_scan_determinismE0ELb0ENS0_19wrapped_scan_configINS_14default_configEyEEPyS6_N6hipcub3MinEyyNS0_19lookback_scan_stateIyLb1ELb1EEEEEvT2_T3_mT5_T4_T7_jPT6_SH_bb ; -- Begin function _ZN7rocprim6detail20lookback_scan_kernelILNS0_25lookback_scan_determinismE0ELb0ENS0_19wrapped_scan_configINS_14default_configEyEEPyS6_N6hipcub3MinEyyNS0_19lookback_scan_stateIyLb1ELb1EEEEEvT2_T3_mT5_T4_T7_jPT6_SH_bb
	.globl	_ZN7rocprim6detail20lookback_scan_kernelILNS0_25lookback_scan_determinismE0ELb0ENS0_19wrapped_scan_configINS_14default_configEyEEPyS6_N6hipcub3MinEyyNS0_19lookback_scan_stateIyLb1ELb1EEEEEvT2_T3_mT5_T4_T7_jPT6_SH_bb
	.p2align	8
	.type	_ZN7rocprim6detail20lookback_scan_kernelILNS0_25lookback_scan_determinismE0ELb0ENS0_19wrapped_scan_configINS_14default_configEyEEPyS6_N6hipcub3MinEyyNS0_19lookback_scan_stateIyLb1ELb1EEEEEvT2_T3_mT5_T4_T7_jPT6_SH_bb,@function
_ZN7rocprim6detail20lookback_scan_kernelILNS0_25lookback_scan_determinismE0ELb0ENS0_19wrapped_scan_configINS_14default_configEyEEPyS6_N6hipcub3MinEyyNS0_19lookback_scan_stateIyLb1ELb1EEEEEvT2_T3_mT5_T4_T7_jPT6_SH_bb: ; @_ZN7rocprim6detail20lookback_scan_kernelILNS0_25lookback_scan_determinismE0ELb0ENS0_19wrapped_scan_configINS_14default_configEyEEPyS6_N6hipcub3MinEyyNS0_19lookback_scan_stateIyLb1ELb1EEEEEvT2_T3_mT5_T4_T7_jPT6_SH_bb
; %bb.0:
	s_endpgm
	.section	.rodata,"a",@progbits
	.p2align	6, 0x0
	.amdhsa_kernel _ZN7rocprim6detail20lookback_scan_kernelILNS0_25lookback_scan_determinismE0ELb0ENS0_19wrapped_scan_configINS_14default_configEyEEPyS6_N6hipcub3MinEyyNS0_19lookback_scan_stateIyLb1ELb1EEEEEvT2_T3_mT5_T4_T7_jPT6_SH_bb
		.amdhsa_group_segment_fixed_size 0
		.amdhsa_private_segment_fixed_size 0
		.amdhsa_kernarg_size 76
		.amdhsa_user_sgpr_count 2
		.amdhsa_user_sgpr_dispatch_ptr 0
		.amdhsa_user_sgpr_queue_ptr 0
		.amdhsa_user_sgpr_kernarg_segment_ptr 1
		.amdhsa_user_sgpr_dispatch_id 0
		.amdhsa_user_sgpr_kernarg_preload_length 0
		.amdhsa_user_sgpr_kernarg_preload_offset 0
		.amdhsa_user_sgpr_private_segment_size 0
		.amdhsa_uses_dynamic_stack 0
		.amdhsa_enable_private_segment 0
		.amdhsa_system_sgpr_workgroup_id_x 1
		.amdhsa_system_sgpr_workgroup_id_y 0
		.amdhsa_system_sgpr_workgroup_id_z 0
		.amdhsa_system_sgpr_workgroup_info 0
		.amdhsa_system_vgpr_workitem_id 0
		.amdhsa_next_free_vgpr 1
		.amdhsa_next_free_sgpr 0
		.amdhsa_accum_offset 4
		.amdhsa_reserve_vcc 0
		.amdhsa_float_round_mode_32 0
		.amdhsa_float_round_mode_16_64 0
		.amdhsa_float_denorm_mode_32 3
		.amdhsa_float_denorm_mode_16_64 3
		.amdhsa_dx10_clamp 1
		.amdhsa_ieee_mode 1
		.amdhsa_fp16_overflow 0
		.amdhsa_tg_split 0
		.amdhsa_exception_fp_ieee_invalid_op 0
		.amdhsa_exception_fp_denorm_src 0
		.amdhsa_exception_fp_ieee_div_zero 0
		.amdhsa_exception_fp_ieee_overflow 0
		.amdhsa_exception_fp_ieee_underflow 0
		.amdhsa_exception_fp_ieee_inexact 0
		.amdhsa_exception_int_div_zero 0
	.end_amdhsa_kernel
	.section	.text._ZN7rocprim6detail20lookback_scan_kernelILNS0_25lookback_scan_determinismE0ELb0ENS0_19wrapped_scan_configINS_14default_configEyEEPyS6_N6hipcub3MinEyyNS0_19lookback_scan_stateIyLb1ELb1EEEEEvT2_T3_mT5_T4_T7_jPT6_SH_bb,"axG",@progbits,_ZN7rocprim6detail20lookback_scan_kernelILNS0_25lookback_scan_determinismE0ELb0ENS0_19wrapped_scan_configINS_14default_configEyEEPyS6_N6hipcub3MinEyyNS0_19lookback_scan_stateIyLb1ELb1EEEEEvT2_T3_mT5_T4_T7_jPT6_SH_bb,comdat
.Lfunc_end35:
	.size	_ZN7rocprim6detail20lookback_scan_kernelILNS0_25lookback_scan_determinismE0ELb0ENS0_19wrapped_scan_configINS_14default_configEyEEPyS6_N6hipcub3MinEyyNS0_19lookback_scan_stateIyLb1ELb1EEEEEvT2_T3_mT5_T4_T7_jPT6_SH_bb, .Lfunc_end35-_ZN7rocprim6detail20lookback_scan_kernelILNS0_25lookback_scan_determinismE0ELb0ENS0_19wrapped_scan_configINS_14default_configEyEEPyS6_N6hipcub3MinEyyNS0_19lookback_scan_stateIyLb1ELb1EEEEEvT2_T3_mT5_T4_T7_jPT6_SH_bb
                                        ; -- End function
	.section	.AMDGPU.csdata,"",@progbits
; Kernel info:
; codeLenInByte = 4
; NumSgprs: 6
; NumVgprs: 0
; NumAgprs: 0
; TotalNumVgprs: 0
; ScratchSize: 0
; MemoryBound: 0
; FloatMode: 240
; IeeeMode: 1
; LDSByteSize: 0 bytes/workgroup (compile time only)
; SGPRBlocks: 0
; VGPRBlocks: 0
; NumSGPRsForWavesPerEU: 6
; NumVGPRsForWavesPerEU: 1
; AccumOffset: 4
; Occupancy: 8
; WaveLimiterHint : 0
; COMPUTE_PGM_RSRC2:SCRATCH_EN: 0
; COMPUTE_PGM_RSRC2:USER_SGPR: 2
; COMPUTE_PGM_RSRC2:TRAP_HANDLER: 0
; COMPUTE_PGM_RSRC2:TGID_X_EN: 1
; COMPUTE_PGM_RSRC2:TGID_Y_EN: 0
; COMPUTE_PGM_RSRC2:TGID_Z_EN: 0
; COMPUTE_PGM_RSRC2:TIDIG_COMP_CNT: 0
; COMPUTE_PGM_RSRC3_GFX90A:ACCUM_OFFSET: 0
; COMPUTE_PGM_RSRC3_GFX90A:TG_SPLIT: 0
	.section	.text._ZN7rocprim6detail20lookback_scan_kernelILNS0_25lookback_scan_determinismE0ELb0ENS0_19wrapped_scan_configINS_14default_configEyEEPyS6_N6hipcub3MinEyyNS0_19lookback_scan_stateIyLb0ELb1EEEEEvT2_T3_mT5_T4_T7_jPT6_SH_bb,"axG",@progbits,_ZN7rocprim6detail20lookback_scan_kernelILNS0_25lookback_scan_determinismE0ELb0ENS0_19wrapped_scan_configINS_14default_configEyEEPyS6_N6hipcub3MinEyyNS0_19lookback_scan_stateIyLb0ELb1EEEEEvT2_T3_mT5_T4_T7_jPT6_SH_bb,comdat
	.protected	_ZN7rocprim6detail20lookback_scan_kernelILNS0_25lookback_scan_determinismE0ELb0ENS0_19wrapped_scan_configINS_14default_configEyEEPyS6_N6hipcub3MinEyyNS0_19lookback_scan_stateIyLb0ELb1EEEEEvT2_T3_mT5_T4_T7_jPT6_SH_bb ; -- Begin function _ZN7rocprim6detail20lookback_scan_kernelILNS0_25lookback_scan_determinismE0ELb0ENS0_19wrapped_scan_configINS_14default_configEyEEPyS6_N6hipcub3MinEyyNS0_19lookback_scan_stateIyLb0ELb1EEEEEvT2_T3_mT5_T4_T7_jPT6_SH_bb
	.globl	_ZN7rocprim6detail20lookback_scan_kernelILNS0_25lookback_scan_determinismE0ELb0ENS0_19wrapped_scan_configINS_14default_configEyEEPyS6_N6hipcub3MinEyyNS0_19lookback_scan_stateIyLb0ELb1EEEEEvT2_T3_mT5_T4_T7_jPT6_SH_bb
	.p2align	8
	.type	_ZN7rocprim6detail20lookback_scan_kernelILNS0_25lookback_scan_determinismE0ELb0ENS0_19wrapped_scan_configINS_14default_configEyEEPyS6_N6hipcub3MinEyyNS0_19lookback_scan_stateIyLb0ELb1EEEEEvT2_T3_mT5_T4_T7_jPT6_SH_bb,@function
_ZN7rocprim6detail20lookback_scan_kernelILNS0_25lookback_scan_determinismE0ELb0ENS0_19wrapped_scan_configINS_14default_configEyEEPyS6_N6hipcub3MinEyyNS0_19lookback_scan_stateIyLb0ELb1EEEEEvT2_T3_mT5_T4_T7_jPT6_SH_bb: ; @_ZN7rocprim6detail20lookback_scan_kernelILNS0_25lookback_scan_determinismE0ELb0ENS0_19wrapped_scan_configINS_14default_configEyEEPyS6_N6hipcub3MinEyyNS0_19lookback_scan_stateIyLb0ELb1EEEEEvT2_T3_mT5_T4_T7_jPT6_SH_bb
; %bb.0:
	s_load_dword s3, s[0:1], 0x30
	s_load_dwordx4 s[8:11], s[0:1], 0x0
	s_load_dwordx2 s[4:5], s[0:1], 0x10
	s_mul_i32 s6, s2, 0xf00
	s_mov_b32 s7, 0
	s_waitcnt lgkmcnt(0)
	s_add_i32 s3, s3, -1
	s_mul_i32 s12, s3, 0xf00
	s_sub_u32 s22, s4, s12
	s_subb_u32 s23, s5, 0
	s_cmp_lg_u32 s2, s3
	s_cselect_b64 s[12:13], -1, 0
	s_lshl_b64 s[14:15], s[6:7], 3
	s_add_u32 s6, s8, s14
	s_addc_u32 s7, s9, s15
	s_mov_b64 s[4:5], -1
	s_and_b64 vcc, exec, s[12:13]
	v_lshlrev_b32_e32 v62, 3, v0
	s_cbranch_vccz .LBB36_2
; %bb.1:
	v_mov_b32_e32 v63, 0
	v_lshl_add_u64 v[2:3], s[6:7], 0, v[62:63]
	v_add_co_u32_e32 v8, vcc, 0x1000, v2
	global_load_dwordx2 v[4:5], v62, s[6:7]
	global_load_dwordx2 v[6:7], v62, s[6:7] offset:2048
	v_addc_co_u32_e32 v9, vcc, 0, v3, vcc
	v_add_co_u32_e32 v10, vcc, 0x2000, v2
	s_mov_b64 s[4:5], 0
	s_nop 0
	v_addc_co_u32_e32 v11, vcc, 0, v3, vcc
	global_load_dwordx2 v[12:13], v[8:9], off
	global_load_dwordx2 v[14:15], v[8:9], off offset:2048
	global_load_dwordx2 v[16:17], v[10:11], off
	global_load_dwordx2 v[18:19], v[10:11], off offset:2048
	v_add_co_u32_e32 v8, vcc, 0x3000, v2
	s_nop 1
	v_addc_co_u32_e32 v9, vcc, 0, v3, vcc
	v_add_co_u32_e32 v10, vcc, 0x4000, v2
	s_nop 1
	v_addc_co_u32_e32 v11, vcc, 0, v3, vcc
	global_load_dwordx2 v[20:21], v[8:9], off
	global_load_dwordx2 v[22:23], v[8:9], off offset:2048
	global_load_dwordx2 v[24:25], v[10:11], off
	global_load_dwordx2 v[26:27], v[10:11], off offset:2048
	v_add_co_u32_e32 v8, vcc, 0x5000, v2
	s_nop 1
	v_addc_co_u32_e32 v9, vcc, 0, v3, vcc
	v_add_co_u32_e32 v10, vcc, 0x6000, v2
	s_nop 1
	v_addc_co_u32_e32 v11, vcc, 0, v3, vcc
	global_load_dwordx2 v[28:29], v[8:9], off
	global_load_dwordx2 v[30:31], v[8:9], off offset:2048
	global_load_dwordx2 v[32:33], v[10:11], off
	global_load_dwordx2 v[34:35], v[10:11], off offset:2048
	v_add_co_u32_e32 v2, vcc, 0x7000, v2
	s_nop 1
	v_addc_co_u32_e32 v3, vcc, 0, v3, vcc
	global_load_dwordx2 v[2:3], v[2:3], off
	s_waitcnt vmcnt(13)
	ds_write2st64_b64 v62, v[4:5], v[6:7] offset1:4
	s_waitcnt vmcnt(11)
	ds_write2st64_b64 v62, v[12:13], v[14:15] offset0:8 offset1:12
	s_waitcnt vmcnt(9)
	ds_write2st64_b64 v62, v[16:17], v[18:19] offset0:16 offset1:20
	;; [unrolled: 2-line block ×6, first 2 shown]
	s_waitcnt vmcnt(0)
	ds_write_b64 v62, v[2:3] offset:28672
	s_waitcnt lgkmcnt(0)
	s_barrier
.LBB36_2:
	s_andn2_b64 vcc, exec, s[4:5]
	v_cmp_gt_u32_e64 s[4:5], s22, v0
	s_cbranch_vccnz .LBB36_34
; %bb.3:
	s_load_dwordx2 s[36:37], s[6:7], 0x0
	v_mov_b32_e32 v63, 0
	v_lshl_add_u64 v[34:35], s[6:7], 0, v[62:63]
	s_waitcnt lgkmcnt(0)
	s_mov_b32 s38, s36
	s_mov_b32 s39, s37
	;; [unrolled: 1-line block ×28, first 2 shown]
	v_mov_b64_e32 v[2:3], s[36:37]
	v_mov_b64_e32 v[4:5], s[38:39]
	;; [unrolled: 1-line block ×16, first 2 shown]
	s_and_saveexec_b64 s[6:7], s[4:5]
	s_cbranch_execz .LBB36_5
; %bb.4:
	global_load_dwordx2 v[2:3], v[34:35], off
	v_mov_b32_e32 v4, s36
	v_mov_b32_e32 v5, s37
	;; [unrolled: 1-line block ×28, first 2 shown]
.LBB36_5:
	s_or_b64 exec, exec, s[6:7]
	v_or_b32_e32 v1, 0x100, v0
	v_cmp_gt_u32_e32 vcc, s22, v1
	s_and_saveexec_b64 s[4:5], vcc
	s_cbranch_execz .LBB36_7
; %bb.6:
	global_load_dwordx2 v[4:5], v[34:35], off offset:2048
.LBB36_7:
	s_or_b64 exec, exec, s[4:5]
	v_or_b32_e32 v1, 0x200, v0
	v_cmp_gt_u32_e32 vcc, s22, v1
	s_and_saveexec_b64 s[4:5], vcc
	s_cbranch_execz .LBB36_9
; %bb.8:
	v_add_co_u32_e32 v6, vcc, 0x1000, v34
	s_nop 1
	v_addc_co_u32_e32 v7, vcc, 0, v35, vcc
	global_load_dwordx2 v[6:7], v[6:7], off
.LBB36_9:
	s_or_b64 exec, exec, s[4:5]
	v_or_b32_e32 v1, 0x300, v0
	v_cmp_gt_u32_e32 vcc, s22, v1
	s_and_saveexec_b64 s[4:5], vcc
	s_cbranch_execz .LBB36_11
; %bb.10:
	v_add_co_u32_e32 v8, vcc, 0x1000, v34
	s_nop 1
	v_addc_co_u32_e32 v9, vcc, 0, v35, vcc
	global_load_dwordx2 v[8:9], v[8:9], off offset:2048
.LBB36_11:
	s_or_b64 exec, exec, s[4:5]
	v_or_b32_e32 v1, 0x400, v0
	v_cmp_gt_u32_e32 vcc, s22, v1
	s_and_saveexec_b64 s[4:5], vcc
	s_cbranch_execz .LBB36_13
; %bb.12:
	v_add_co_u32_e32 v10, vcc, 0x2000, v34
	s_nop 1
	v_addc_co_u32_e32 v11, vcc, 0, v35, vcc
	global_load_dwordx2 v[10:11], v[10:11], off
.LBB36_13:
	s_or_b64 exec, exec, s[4:5]
	v_or_b32_e32 v1, 0x500, v0
	v_cmp_gt_u32_e32 vcc, s22, v1
	s_and_saveexec_b64 s[4:5], vcc
	s_cbranch_execz .LBB36_15
; %bb.14:
	v_add_co_u32_e32 v12, vcc, 0x2000, v34
	s_nop 1
	v_addc_co_u32_e32 v13, vcc, 0, v35, vcc
	global_load_dwordx2 v[12:13], v[12:13], off offset:2048
.LBB36_15:
	;; [unrolled: 22-line block ×6, first 2 shown]
	s_or_b64 exec, exec, s[4:5]
	v_or_b32_e32 v1, 0xe00, v0
	v_cmp_gt_u32_e32 vcc, s22, v1
	s_and_saveexec_b64 s[4:5], vcc
	s_cbranch_execz .LBB36_33
; %bb.32:
	v_add_co_u32_e32 v30, vcc, 0x7000, v34
	s_nop 1
	v_addc_co_u32_e32 v31, vcc, 0, v35, vcc
	global_load_dwordx2 v[30:31], v[30:31], off
.LBB36_33:
	s_or_b64 exec, exec, s[4:5]
	s_waitcnt vmcnt(0)
	ds_write2st64_b64 v62, v[2:3], v[4:5] offset1:4
	ds_write2st64_b64 v62, v[6:7], v[8:9] offset0:8 offset1:12
	ds_write2st64_b64 v62, v[10:11], v[12:13] offset0:16 offset1:20
	;; [unrolled: 1-line block ×6, first 2 shown]
	ds_write_b64 v62, v[30:31] offset:28672
	s_waitcnt lgkmcnt(0)
	s_barrier
.LBB36_34:
	v_mul_u32_u24_e32 v66, 15, v0
	v_lshlrev_b32_e32 v1, 3, v66
	ds_read2_b64 v[54:57], v1 offset1:1
	ds_read2_b64 v[58:61], v1 offset0:2 offset1:3
	ds_read2_b64 v[50:53], v1 offset0:4 offset1:5
	;; [unrolled: 1-line block ×6, first 2 shown]
	ds_read_b64 v[64:65], v1 offset:112
	s_load_dwordx2 s[16:17], s[0:1], 0x28
	s_cmp_lg_u32 s2, 0
	v_lshrrev_b32_e32 v63, 5, v0
	v_cmp_gt_u32_e32 vcc, 64, v0
	s_waitcnt lgkmcnt(0)
	s_barrier
	s_cbranch_scc0 .LBB36_59
; %bb.35:
	v_cmp_lt_u64_e64 s[4:5], v[54:55], v[56:57]
	s_nop 1
	v_cndmask_b32_e64 v3, v57, v55, s[4:5]
	v_cndmask_b32_e64 v2, v56, v54, s[4:5]
	v_cmp_lt_u64_e64 s[4:5], v[2:3], v[58:59]
	s_nop 1
	v_cndmask_b32_e64 v3, v59, v3, s[4:5]
	v_cndmask_b32_e64 v2, v58, v2, s[4:5]
	;; [unrolled: 4-line block ×14, first 2 shown]
	v_add_lshl_u32 v2, v63, v0, 3
	ds_write_b64 v2, v[10:11]
	s_waitcnt lgkmcnt(0)
	s_barrier
	s_and_saveexec_b64 s[6:7], vcc
	s_cbranch_execz .LBB36_37
; %bb.36:
	v_lshlrev_b32_e32 v2, 2, v0
	v_lshrrev_b32_e32 v3, 3, v0
	v_add_lshl_u32 v16, v3, v2, 3
	ds_read2_b64 v[2:5], v16 offset1:1
	ds_read2_b64 v[6:9], v16 offset0:2 offset1:3
	v_mbcnt_lo_u32_b32 v14, -1, 0
	v_mbcnt_hi_u32_b32 v17, -1, v14
	v_and_b32_e32 v18, 15, v17
	s_waitcnt lgkmcnt(1)
	v_cmp_lt_u64_e64 s[4:5], v[2:3], v[4:5]
	s_nop 1
	v_cndmask_b32_e64 v13, v5, v3, s[4:5]
	v_cndmask_b32_e64 v12, v4, v2, s[4:5]
	s_waitcnt lgkmcnt(0)
	v_cmp_lt_u64_e64 s[4:5], v[12:13], v[6:7]
	s_nop 1
	v_cndmask_b32_e64 v13, v7, v13, s[4:5]
	v_cndmask_b32_e64 v12, v6, v12, s[4:5]
	v_cmp_lt_u64_e64 s[4:5], v[12:13], v[8:9]
	s_nop 1
	v_cndmask_b32_e64 v13, v9, v13, s[4:5]
	v_cndmask_b32_e64 v12, v8, v12, s[4:5]
	s_nop 0
	v_mov_b32_dpp v15, v13 row_shr:1 row_mask:0xf bank_mask:0xf
	v_mov_b32_dpp v14, v12 row_shr:1 row_mask:0xf bank_mask:0xf
	v_cmp_lt_u64_e64 s[4:5], v[14:15], v[12:13]
	s_nop 1
	v_cndmask_b32_e64 v14, v12, v14, s[4:5]
	v_cndmask_b32_e64 v15, v13, v15, s[4:5]
	v_cmp_eq_u32_e64 s[4:5], 0, v18
	s_nop 1
	v_cndmask_b32_e64 v13, v15, v13, s[4:5]
	v_cndmask_b32_e64 v12, v14, v12, s[4:5]
	s_nop 0
	v_mov_b32_dpp v15, v13 row_shr:2 row_mask:0xf bank_mask:0xf
	v_mov_b32_dpp v14, v12 row_shr:2 row_mask:0xf bank_mask:0xf
	v_cmp_lt_u64_e64 s[4:5], v[14:15], v[12:13]
	s_nop 1
	v_cndmask_b32_e64 v14, v12, v14, s[4:5]
	v_cndmask_b32_e64 v15, v13, v15, s[4:5]
	v_cmp_lt_u32_e64 s[4:5], 1, v18
	s_nop 1
	v_cndmask_b32_e64 v13, v13, v15, s[4:5]
	v_cndmask_b32_e64 v12, v12, v14, s[4:5]
	s_nop 0
	v_mov_b32_dpp v15, v13 row_shr:4 row_mask:0xf bank_mask:0xf
	v_mov_b32_dpp v14, v12 row_shr:4 row_mask:0xf bank_mask:0xf
	v_cmp_lt_u64_e64 s[4:5], v[14:15], v[12:13]
	s_nop 1
	v_cndmask_b32_e64 v14, v12, v14, s[4:5]
	v_cndmask_b32_e64 v15, v13, v15, s[4:5]
	v_cmp_lt_u32_e64 s[4:5], 3, v18
	;; [unrolled: 11-line block ×3, first 2 shown]
	v_and_b32_e32 v18, 16, v17
	s_nop 0
	v_cndmask_b32_e64 v13, v13, v15, s[4:5]
	v_cndmask_b32_e64 v12, v12, v14, s[4:5]
	s_nop 0
	v_mov_b32_dpp v15, v13 row_bcast:15 row_mask:0xf bank_mask:0xf
	v_mov_b32_dpp v14, v12 row_bcast:15 row_mask:0xf bank_mask:0xf
	v_cmp_lt_u64_e64 s[4:5], v[14:15], v[12:13]
	s_nop 1
	v_cndmask_b32_e64 v14, v12, v14, s[4:5]
	v_cndmask_b32_e64 v15, v13, v15, s[4:5]
	v_cmp_eq_u32_e64 s[4:5], 0, v18
	s_nop 1
	v_cndmask_b32_e64 v13, v15, v13, s[4:5]
	v_cndmask_b32_e64 v12, v14, v12, s[4:5]
	s_nop 0
	v_mov_b32_dpp v15, v13 row_bcast:31 row_mask:0xf bank_mask:0xf
	v_mov_b32_dpp v14, v12 row_bcast:31 row_mask:0xf bank_mask:0xf
	v_cmp_lt_u64_e64 s[4:5], v[14:15], v[12:13]
	s_nop 1
	v_cndmask_b32_e64 v15, v13, v15, s[4:5]
	v_cndmask_b32_e64 v14, v12, v14, s[4:5]
	v_cmp_lt_u32_e64 s[4:5], 31, v17
	s_nop 1
	v_cndmask_b32_e64 v12, v12, v14, s[4:5]
	v_cndmask_b32_e64 v13, v13, v15, s[4:5]
	v_add_u32_e32 v14, -1, v17
	v_and_b32_e32 v15, 64, v17
	v_cmp_lt_i32_e64 s[4:5], v14, v15
	s_nop 1
	v_cndmask_b32_e64 v14, v14, v17, s[4:5]
	v_lshlrev_b32_e32 v14, 2, v14
	ds_bpermute_b32 v12, v14, v12
	ds_bpermute_b32 v13, v14, v13
	s_waitcnt lgkmcnt(0)
	v_cmp_lt_u64_e64 s[4:5], v[12:13], v[2:3]
	s_nop 1
	v_cndmask_b32_e64 v2, v2, v12, s[4:5]
	v_cndmask_b32_e64 v3, v3, v13, s[4:5]
	v_cmp_eq_u32_e64 s[4:5], 0, v0
	s_nop 1
	v_cndmask_b32_e64 v3, v3, v11, s[4:5]
	v_cndmask_b32_e64 v2, v2, v10, s[4:5]
	v_cmp_lt_u64_e64 s[4:5], v[2:3], v[4:5]
	s_nop 1
	v_cndmask_b32_e64 v5, v5, v3, s[4:5]
	v_cndmask_b32_e64 v4, v4, v2, s[4:5]
	v_cmp_lt_u64_e64 s[4:5], v[4:5], v[6:7]
	ds_write2_b64 v16, v[2:3], v[4:5] offset1:1
	s_nop 0
	v_cndmask_b32_e64 v3, v7, v5, s[4:5]
	v_cndmask_b32_e64 v2, v6, v4, s[4:5]
	v_cmp_lt_u64_e64 s[4:5], v[2:3], v[8:9]
	s_nop 1
	v_cndmask_b32_e64 v5, v9, v3, s[4:5]
	v_cndmask_b32_e64 v4, v8, v2, s[4:5]
	ds_write2_b64 v16, v[2:3], v[4:5] offset0:2 offset1:3
.LBB36_37:
	s_or_b64 exec, exec, s[6:7]
	v_cmp_eq_u32_e64 s[6:7], 0, v0
	v_cmp_ne_u32_e64 s[4:5], 0, v0
	s_waitcnt lgkmcnt(0)
	s_barrier
	s_and_saveexec_b64 s[8:9], s[4:5]
	s_cbranch_execz .LBB36_39
; %bb.38:
	v_add_u32_e32 v2, -1, v0
	v_lshrrev_b32_e32 v3, 5, v2
	v_add_lshl_u32 v2, v3, v2, 3
	ds_read_b64 v[10:11], v2
.LBB36_39:
	s_or_b64 exec, exec, s[8:9]
	s_and_saveexec_b64 s[18:19], vcc
	s_cbranch_execz .LBB36_58
; %bb.40:
	v_mov_b32_e32 v5, 0
	ds_read_b64 v[2:3], v5 offset:2096
	v_mbcnt_lo_u32_b32 v4, -1, 0
	v_mbcnt_hi_u32_b32 v13, -1, v4
	s_mov_b32 s21, 0
	v_cmp_eq_u32_e64 s[4:5], 0, v13
	s_and_saveexec_b64 s[8:9], s[4:5]
	s_cbranch_execz .LBB36_42
; %bb.41:
	s_add_i32 s20, s2, 64
	s_lshl_b64 s[20:21], s[20:21], 4
	s_add_u32 s20, s16, s20
	s_addc_u32 s21, s17, s21
	v_mov_b32_e32 v4, 1
	v_mov_b64_e32 v[6:7], s[20:21]
	s_waitcnt lgkmcnt(0)
	;;#ASMSTART
	global_store_dwordx4 v[6:7], v[2:5] off sc1	
s_waitcnt vmcnt(0)
	;;#ASMEND
.LBB36_42:
	s_or_b64 exec, exec, s[8:9]
	v_xad_u32 v12, v13, -1, s2
	v_add_u32_e32 v4, 64, v12
	v_lshl_add_u64 v[14:15], v[4:5], 4, s[16:17]
	;;#ASMSTART
	global_load_dwordx4 v[6:9], v[14:15] off sc1	
s_waitcnt vmcnt(0)
	;;#ASMEND
	s_nop 0
	v_cmp_eq_u16_sdwa s[20:21], v8, v5 src0_sel:BYTE_0 src1_sel:DWORD
	s_and_saveexec_b64 s[8:9], s[20:21]
	s_cbranch_execz .LBB36_46
; %bb.43:
	s_mov_b64 s[20:21], 0
	v_mov_b32_e32 v4, 0
.LBB36_44:                              ; =>This Inner Loop Header: Depth=1
	;;#ASMSTART
	global_load_dwordx4 v[6:9], v[14:15] off sc1	
s_waitcnt vmcnt(0)
	;;#ASMEND
	s_nop 0
	v_cmp_ne_u16_sdwa s[24:25], v8, v4 src0_sel:BYTE_0 src1_sel:DWORD
	s_or_b64 s[20:21], s[24:25], s[20:21]
	s_andn2_b64 exec, exec, s[20:21]
	s_cbranch_execnz .LBB36_44
; %bb.45:
	s_or_b64 exec, exec, s[20:21]
.LBB36_46:
	s_or_b64 exec, exec, s[8:9]
	v_and_b32_e32 v17, 63, v13
	v_cmp_ne_u32_e32 vcc, 63, v17
	v_mov_b32_e32 v18, 2
	v_cmp_eq_u16_sdwa s[8:9], v8, v18 src0_sel:BYTE_0 src1_sel:DWORD
	v_addc_co_u32_e32 v14, vcc, 0, v13, vcc
	v_lshlrev_b32_e32 v19, 2, v14
	v_lshlrev_b64 v[4:5], v13, -1
	ds_bpermute_b32 v14, v19, v6
	ds_bpermute_b32 v15, v19, v7
	v_and_b32_e32 v9, s9, v5
	v_or_b32_e32 v9, 0x80000000, v9
	v_and_b32_e32 v16, s8, v4
	v_ffbl_b32_e32 v9, v9
	v_add_u32_e32 v9, 32, v9
	v_ffbl_b32_e32 v16, v16
	v_min_u32_e32 v9, v16, v9
	v_add_u32_e32 v20, 1, v13
	s_waitcnt lgkmcnt(0)
	v_cmp_lt_u64_e32 vcc, v[14:15], v[6:7]
	v_add_u32_e32 v22, 2, v13
	v_add_u32_e32 v24, 4, v13
	v_cndmask_b32_e32 v15, v7, v15, vcc
	v_cndmask_b32_e32 v14, v6, v14, vcc
	v_cmp_gt_u32_e32 vcc, v20, v9
	v_add_u32_e32 v26, 8, v13
	v_add_u32_e32 v28, 16, v13
	v_cndmask_b32_e32 v6, v14, v6, vcc
	v_cndmask_b32_e32 v7, v15, v7, vcc
	v_cmp_gt_u32_e32 vcc, 62, v17
	v_cmp_gt_u32_e64 s[8:9], 32, v17
	v_add_u32_e32 v30, 32, v13
	v_cndmask_b32_e64 v14, 0, 1, vcc
	v_lshlrev_b32_e32 v14, 1, v14
	v_add_lshl_u32 v21, v14, v13, 2
	ds_bpermute_b32 v14, v21, v6
	ds_bpermute_b32 v15, v21, v7
	s_waitcnt lgkmcnt(0)
	v_cmp_lt_u64_e32 vcc, v[14:15], v[6:7]
	s_nop 1
	v_cndmask_b32_e32 v15, v7, v15, vcc
	v_cndmask_b32_e32 v14, v6, v14, vcc
	v_cmp_gt_u32_e32 vcc, v22, v9
	s_nop 1
	v_cndmask_b32_e32 v6, v14, v6, vcc
	v_cndmask_b32_e32 v7, v15, v7, vcc
	v_cmp_gt_u32_e32 vcc, 60, v17
	s_nop 1
	v_cndmask_b32_e64 v14, 0, 1, vcc
	v_lshlrev_b32_e32 v14, 2, v14
	v_add_lshl_u32 v23, v14, v13, 2
	ds_bpermute_b32 v14, v23, v6
	ds_bpermute_b32 v15, v23, v7
	s_waitcnt lgkmcnt(0)
	v_cmp_lt_u64_e32 vcc, v[14:15], v[6:7]
	s_nop 1
	v_cndmask_b32_e32 v15, v7, v15, vcc
	v_cndmask_b32_e32 v14, v6, v14, vcc
	v_cmp_gt_u32_e32 vcc, v24, v9
	s_nop 1
	v_cndmask_b32_e32 v6, v14, v6, vcc
	v_cndmask_b32_e32 v7, v15, v7, vcc
	v_cmp_gt_u32_e32 vcc, 56, v17
	s_nop 1
	v_cndmask_b32_e64 v14, 0, 1, vcc
	v_lshlrev_b32_e32 v14, 3, v14
	v_add_lshl_u32 v25, v14, v13, 2
	ds_bpermute_b32 v14, v25, v6
	ds_bpermute_b32 v15, v25, v7
	s_waitcnt lgkmcnt(0)
	v_cmp_lt_u64_e32 vcc, v[14:15], v[6:7]
	s_nop 1
	v_cndmask_b32_e32 v15, v7, v15, vcc
	v_cndmask_b32_e32 v14, v6, v14, vcc
	v_cmp_gt_u32_e32 vcc, v26, v9
	s_nop 1
	v_cndmask_b32_e32 v6, v14, v6, vcc
	v_cndmask_b32_e32 v7, v15, v7, vcc
	v_cmp_gt_u32_e32 vcc, 48, v17
	s_nop 1
	v_cndmask_b32_e64 v14, 0, 1, vcc
	v_lshlrev_b32_e32 v14, 4, v14
	v_add_lshl_u32 v27, v14, v13, 2
	ds_bpermute_b32 v14, v27, v6
	ds_bpermute_b32 v15, v27, v7
	s_waitcnt lgkmcnt(0)
	v_cmp_lt_u64_e32 vcc, v[14:15], v[6:7]
	s_nop 1
	v_cndmask_b32_e32 v15, v7, v15, vcc
	v_cndmask_b32_e32 v14, v6, v14, vcc
	v_cmp_gt_u32_e32 vcc, v28, v9
	s_nop 1
	v_cndmask_b32_e32 v6, v14, v6, vcc
	v_cndmask_b32_e64 v14, 0, 1, s[8:9]
	v_lshlrev_b32_e32 v14, 5, v14
	v_add_lshl_u32 v29, v14, v13, 2
	v_cndmask_b32_e32 v7, v15, v7, vcc
	ds_bpermute_b32 v14, v29, v6
	ds_bpermute_b32 v15, v29, v7
	s_waitcnt lgkmcnt(0)
	v_cmp_lt_u64_e32 vcc, v[14:15], v[6:7]
	s_nop 1
	v_cndmask_b32_e32 v13, v6, v14, vcc
	v_cndmask_b32_e32 v14, v7, v15, vcc
	v_cmp_gt_u32_e32 vcc, v30, v9
	s_nop 1
	v_cndmask_b32_e32 v7, v14, v7, vcc
	v_cndmask_b32_e32 v6, v13, v6, vcc
	v_mov_b32_e32 v13, 0
	s_branch .LBB36_48
.LBB36_47:                              ;   in Loop: Header=BB36_48 Depth=1
	s_or_b64 exec, exec, s[8:9]
	v_cmp_eq_u16_sdwa s[8:9], v8, v18 src0_sel:BYTE_0 src1_sel:DWORD
	ds_bpermute_b32 v16, v19, v6
	ds_bpermute_b32 v17, v19, v7
	v_and_b32_e32 v9, s9, v5
	v_or_b32_e32 v9, 0x80000000, v9
	v_and_b32_e32 v31, s8, v4
	v_ffbl_b32_e32 v9, v9
	v_add_u32_e32 v9, 32, v9
	v_ffbl_b32_e32 v31, v31
	v_min_u32_e32 v9, v31, v9
	s_waitcnt lgkmcnt(0)
	v_cmp_lt_u64_e32 vcc, v[16:17], v[6:7]
	v_subrev_u32_e32 v12, 64, v12
	s_nop 0
	v_cndmask_b32_e32 v17, v7, v17, vcc
	v_cndmask_b32_e32 v16, v6, v16, vcc
	v_cmp_gt_u32_e32 vcc, v20, v9
	s_nop 1
	v_cndmask_b32_e32 v6, v16, v6, vcc
	v_cndmask_b32_e32 v7, v17, v7, vcc
	ds_bpermute_b32 v16, v21, v6
	ds_bpermute_b32 v17, v21, v7
	s_waitcnt lgkmcnt(0)
	v_cmp_lt_u64_e32 vcc, v[16:17], v[6:7]
	s_nop 1
	v_cndmask_b32_e32 v17, v7, v17, vcc
	v_cndmask_b32_e32 v16, v6, v16, vcc
	v_cmp_gt_u32_e32 vcc, v22, v9
	s_nop 1
	v_cndmask_b32_e32 v6, v16, v6, vcc
	v_cndmask_b32_e32 v7, v17, v7, vcc
	ds_bpermute_b32 v16, v23, v6
	ds_bpermute_b32 v17, v23, v7
	s_waitcnt lgkmcnt(0)
	v_cmp_lt_u64_e32 vcc, v[16:17], v[6:7]
	s_nop 1
	v_cndmask_b32_e32 v17, v7, v17, vcc
	v_cndmask_b32_e32 v16, v6, v16, vcc
	v_cmp_gt_u32_e32 vcc, v24, v9
	s_nop 1
	v_cndmask_b32_e32 v6, v16, v6, vcc
	v_cndmask_b32_e32 v7, v17, v7, vcc
	ds_bpermute_b32 v16, v25, v6
	ds_bpermute_b32 v17, v25, v7
	s_waitcnt lgkmcnt(0)
	v_cmp_lt_u64_e32 vcc, v[16:17], v[6:7]
	s_nop 1
	v_cndmask_b32_e32 v17, v7, v17, vcc
	v_cndmask_b32_e32 v16, v6, v16, vcc
	v_cmp_gt_u32_e32 vcc, v26, v9
	s_nop 1
	v_cndmask_b32_e32 v6, v16, v6, vcc
	v_cndmask_b32_e32 v7, v17, v7, vcc
	ds_bpermute_b32 v16, v27, v6
	ds_bpermute_b32 v17, v27, v7
	s_waitcnt lgkmcnt(0)
	v_cmp_lt_u64_e32 vcc, v[16:17], v[6:7]
	s_nop 1
	v_cndmask_b32_e32 v17, v7, v17, vcc
	v_cndmask_b32_e32 v16, v6, v16, vcc
	v_cmp_gt_u32_e32 vcc, v28, v9
	s_nop 1
	v_cndmask_b32_e32 v6, v16, v6, vcc
	v_cndmask_b32_e32 v7, v17, v7, vcc
	ds_bpermute_b32 v16, v29, v6
	ds_bpermute_b32 v17, v29, v7
	s_waitcnt lgkmcnt(0)
	v_cmp_lt_u64_e32 vcc, v[16:17], v[6:7]
	s_nop 1
	v_cndmask_b32_e32 v16, v6, v16, vcc
	v_cndmask_b32_e32 v17, v7, v17, vcc
	v_cmp_gt_u32_e32 vcc, v30, v9
	s_nop 1
	v_cndmask_b32_e32 v7, v17, v7, vcc
	v_cndmask_b32_e32 v6, v16, v6, vcc
	v_cmp_lt_u64_e32 vcc, v[6:7], v[14:15]
	s_nop 1
	v_cndmask_b32_e32 v7, v15, v7, vcc
	v_cndmask_b32_e32 v6, v14, v6, vcc
.LBB36_48:                              ; =>This Loop Header: Depth=1
                                        ;     Child Loop BB36_51 Depth 2
	v_cmp_ne_u16_sdwa s[8:9], v8, v18 src0_sel:BYTE_0 src1_sel:DWORD
	v_mov_b64_e32 v[14:15], v[6:7]
	s_nop 0
	v_cndmask_b32_e64 v8, 0, 1, s[8:9]
	;;#ASMSTART
	;;#ASMEND
	s_nop 0
	v_cmp_ne_u32_e32 vcc, 0, v8
	s_cmp_lg_u64 vcc, exec
	s_cbranch_scc1 .LBB36_53
; %bb.49:                               ;   in Loop: Header=BB36_48 Depth=1
	v_lshl_add_u64 v[16:17], v[12:13], 4, s[16:17]
	;;#ASMSTART
	global_load_dwordx4 v[6:9], v[16:17] off sc1	
s_waitcnt vmcnt(0)
	;;#ASMEND
	s_nop 0
	v_cmp_eq_u16_sdwa s[20:21], v8, v13 src0_sel:BYTE_0 src1_sel:DWORD
	s_and_saveexec_b64 s[8:9], s[20:21]
	s_cbranch_execz .LBB36_47
; %bb.50:                               ;   in Loop: Header=BB36_48 Depth=1
	s_mov_b64 s[20:21], 0
.LBB36_51:                              ;   Parent Loop BB36_48 Depth=1
                                        ; =>  This Inner Loop Header: Depth=2
	;;#ASMSTART
	global_load_dwordx4 v[6:9], v[16:17] off sc1	
s_waitcnt vmcnt(0)
	;;#ASMEND
	s_nop 0
	v_cmp_ne_u16_sdwa s[24:25], v8, v13 src0_sel:BYTE_0 src1_sel:DWORD
	s_or_b64 s[20:21], s[24:25], s[20:21]
	s_andn2_b64 exec, exec, s[20:21]
	s_cbranch_execnz .LBB36_51
; %bb.52:                               ;   in Loop: Header=BB36_48 Depth=1
	s_or_b64 exec, exec, s[20:21]
	s_branch .LBB36_47
.LBB36_53:                              ;   in Loop: Header=BB36_48 Depth=1
                                        ; implicit-def: $vgpr6_vgpr7
                                        ; implicit-def: $vgpr8
	s_cbranch_execz .LBB36_48
; %bb.54:
	s_and_saveexec_b64 s[8:9], s[4:5]
	s_cbranch_execz .LBB36_56
; %bb.55:
	s_add_i32 s2, s2, 64
	s_mov_b32 s3, 0
	s_lshl_b64 s[2:3], s[2:3], 4
	s_add_u32 s2, s16, s2
	v_cmp_lt_u64_e32 vcc, v[14:15], v[2:3]
	s_addc_u32 s3, s17, s3
	v_mov_b32_e32 v4, 2
	v_cndmask_b32_e32 v3, v3, v15, vcc
	v_cndmask_b32_e32 v2, v2, v14, vcc
	v_mov_b32_e32 v5, 0
	v_mov_b64_e32 v[6:7], s[2:3]
	;;#ASMSTART
	global_store_dwordx4 v[6:7], v[2:5] off sc1	
s_waitcnt vmcnt(0)
	;;#ASMEND
.LBB36_56:
	s_or_b64 exec, exec, s[8:9]
	s_and_b64 exec, exec, s[6:7]
	s_cbranch_execz .LBB36_58
; %bb.57:
	v_mov_b32_e32 v2, 0
	ds_write_b64 v2, v[14:15]
.LBB36_58:
	s_or_b64 exec, exec, s[18:19]
	v_mov_b32_e32 v2, 0
	s_waitcnt lgkmcnt(0)
	s_barrier
	ds_read_b64 v[2:3], v2
	v_cmp_lt_u64_e32 vcc, v[10:11], v[54:55]
	s_nop 1
	v_cndmask_b32_e32 v4, v54, v10, vcc
	v_cndmask_b32_e32 v5, v55, v11, vcc
	v_cndmask_b32_e64 v5, v5, v55, s[6:7]
	v_cndmask_b32_e64 v4, v4, v54, s[6:7]
	s_waitcnt lgkmcnt(0)
	v_cmp_lt_u64_e32 vcc, v[2:3], v[4:5]
	s_nop 1
	v_cndmask_b32_e32 v3, v5, v3, vcc
	v_cndmask_b32_e32 v2, v4, v2, vcc
	v_cmp_lt_u64_e32 vcc, v[2:3], v[56:57]
	s_nop 1
	v_cndmask_b32_e32 v5, v57, v3, vcc
	v_cndmask_b32_e32 v4, v56, v2, vcc
	;; [unrolled: 4-line block ×15, first 2 shown]
	s_load_dwordx4 s[4:7], s[0:1], 0x38
	s_branch .LBB36_69
.LBB36_59:
                                        ; implicit-def: $vgpr2_vgpr3_vgpr4_vgpr5_vgpr6_vgpr7_vgpr8_vgpr9_vgpr10_vgpr11_vgpr12_vgpr13_vgpr14_vgpr15_vgpr16_vgpr17_vgpr18_vgpr19_vgpr20_vgpr21_vgpr22_vgpr23_vgpr24_vgpr25_vgpr26_vgpr27_vgpr28_vgpr29_vgpr30_vgpr31_vgpr32_vgpr33
	s_load_dwordx4 s[4:7], s[0:1], 0x38
	s_cbranch_execz .LBB36_69
; %bb.60:
	s_load_dword s8, s[0:1], 0x48
	v_cmp_eq_u32_e32 vcc, 0, v0
	v_cmp_ne_u32_e64 s[2:3], 0, v0
	s_waitcnt lgkmcnt(0)
	s_bitcmp1_b32 s8, 0
	s_cselect_b64 s[8:9], -1, 0
	s_and_b64 s[18:19], vcc, s[8:9]
	s_and_saveexec_b64 s[8:9], s[18:19]
	s_cbranch_execz .LBB36_62
; %bb.61:
	s_load_dwordx2 s[4:5], s[4:5], 0x0
	s_waitcnt lgkmcnt(0)
	v_mov_b32_e32 v2, s5
	v_mov_b32_e32 v3, s4
	v_cmp_lt_u64_e64 s[4:5], s[4:5], v[54:55]
	s_nop 1
	v_cndmask_b32_e64 v55, v55, v2, s[4:5]
	v_cndmask_b32_e64 v54, v54, v3, s[4:5]
.LBB36_62:
	s_or_b64 exec, exec, s[8:9]
	v_cmp_lt_u64_e64 s[4:5], v[54:55], v[56:57]
	v_add_lshl_u32 v4, v63, v0, 3
	s_nop 0
	v_cndmask_b32_e64 v3, v57, v55, s[4:5]
	v_cndmask_b32_e64 v2, v56, v54, s[4:5]
	v_cmp_lt_u64_e64 s[4:5], v[2:3], v[58:59]
	s_nop 1
	v_cndmask_b32_e64 v3, v59, v3, s[4:5]
	v_cndmask_b32_e64 v2, v58, v2, s[4:5]
	v_cmp_lt_u64_e64 s[4:5], v[2:3], v[60:61]
	;; [unrolled: 4-line block ×13, first 2 shown]
	s_nop 1
	v_cndmask_b32_e64 v3, v65, v3, s[4:5]
	v_cndmask_b32_e64 v2, v64, v2, s[4:5]
	v_cmp_gt_u32_e64 s[4:5], 64, v0
	ds_write_b64 v4, v[2:3]
	s_waitcnt lgkmcnt(0)
	s_barrier
	s_and_saveexec_b64 s[8:9], s[4:5]
	s_cbranch_execz .LBB36_64
; %bb.63:
	v_lshlrev_b32_e32 v4, 2, v0
	v_lshrrev_b32_e32 v5, 3, v0
	v_add_lshl_u32 v16, v5, v4, 3
	ds_read2_b64 v[4:7], v16 offset1:1
	ds_read2_b64 v[8:11], v16 offset0:2 offset1:3
	v_mbcnt_lo_u32_b32 v14, -1, 0
	v_mbcnt_hi_u32_b32 v17, -1, v14
	v_and_b32_e32 v18, 15, v17
	s_waitcnt lgkmcnt(1)
	v_cmp_lt_u64_e64 s[4:5], v[4:5], v[6:7]
	s_nop 1
	v_cndmask_b32_e64 v13, v7, v5, s[4:5]
	v_cndmask_b32_e64 v12, v6, v4, s[4:5]
	s_waitcnt lgkmcnt(0)
	v_cmp_lt_u64_e64 s[4:5], v[12:13], v[8:9]
	s_nop 1
	v_cndmask_b32_e64 v13, v9, v13, s[4:5]
	v_cndmask_b32_e64 v12, v8, v12, s[4:5]
	v_cmp_lt_u64_e64 s[4:5], v[12:13], v[10:11]
	s_nop 1
	v_cndmask_b32_e64 v13, v11, v13, s[4:5]
	v_cndmask_b32_e64 v12, v10, v12, s[4:5]
	s_nop 0
	v_mov_b32_dpp v15, v13 row_shr:1 row_mask:0xf bank_mask:0xf
	v_mov_b32_dpp v14, v12 row_shr:1 row_mask:0xf bank_mask:0xf
	v_cmp_lt_u64_e64 s[4:5], v[14:15], v[12:13]
	s_nop 1
	v_cndmask_b32_e64 v14, v12, v14, s[4:5]
	v_cndmask_b32_e64 v15, v13, v15, s[4:5]
	v_cmp_eq_u32_e64 s[4:5], 0, v18
	s_nop 1
	v_cndmask_b32_e64 v13, v15, v13, s[4:5]
	v_cndmask_b32_e64 v12, v14, v12, s[4:5]
	s_nop 0
	v_mov_b32_dpp v15, v13 row_shr:2 row_mask:0xf bank_mask:0xf
	v_mov_b32_dpp v14, v12 row_shr:2 row_mask:0xf bank_mask:0xf
	v_cmp_lt_u64_e64 s[4:5], v[14:15], v[12:13]
	s_nop 1
	v_cndmask_b32_e64 v14, v12, v14, s[4:5]
	v_cndmask_b32_e64 v15, v13, v15, s[4:5]
	v_cmp_lt_u32_e64 s[4:5], 1, v18
	s_nop 1
	v_cndmask_b32_e64 v13, v13, v15, s[4:5]
	v_cndmask_b32_e64 v12, v12, v14, s[4:5]
	s_nop 0
	v_mov_b32_dpp v15, v13 row_shr:4 row_mask:0xf bank_mask:0xf
	v_mov_b32_dpp v14, v12 row_shr:4 row_mask:0xf bank_mask:0xf
	v_cmp_lt_u64_e64 s[4:5], v[14:15], v[12:13]
	s_nop 1
	v_cndmask_b32_e64 v14, v12, v14, s[4:5]
	v_cndmask_b32_e64 v15, v13, v15, s[4:5]
	v_cmp_lt_u32_e64 s[4:5], 3, v18
	;; [unrolled: 11-line block ×3, first 2 shown]
	v_and_b32_e32 v18, 16, v17
	s_nop 0
	v_cndmask_b32_e64 v13, v13, v15, s[4:5]
	v_cndmask_b32_e64 v12, v12, v14, s[4:5]
	s_nop 0
	v_mov_b32_dpp v15, v13 row_bcast:15 row_mask:0xf bank_mask:0xf
	v_mov_b32_dpp v14, v12 row_bcast:15 row_mask:0xf bank_mask:0xf
	v_cmp_lt_u64_e64 s[4:5], v[14:15], v[12:13]
	s_nop 1
	v_cndmask_b32_e64 v14, v12, v14, s[4:5]
	v_cndmask_b32_e64 v15, v13, v15, s[4:5]
	v_cmp_eq_u32_e64 s[4:5], 0, v18
	s_nop 1
	v_cndmask_b32_e64 v13, v15, v13, s[4:5]
	v_cndmask_b32_e64 v12, v14, v12, s[4:5]
	s_nop 0
	v_mov_b32_dpp v15, v13 row_bcast:31 row_mask:0xf bank_mask:0xf
	v_mov_b32_dpp v14, v12 row_bcast:31 row_mask:0xf bank_mask:0xf
	v_cmp_lt_u64_e64 s[4:5], v[14:15], v[12:13]
	s_nop 1
	v_cndmask_b32_e64 v15, v13, v15, s[4:5]
	v_cndmask_b32_e64 v14, v12, v14, s[4:5]
	v_cmp_lt_u32_e64 s[4:5], 31, v17
	s_nop 1
	v_cndmask_b32_e64 v12, v12, v14, s[4:5]
	v_cndmask_b32_e64 v13, v13, v15, s[4:5]
	v_add_u32_e32 v14, -1, v17
	v_and_b32_e32 v15, 64, v17
	v_cmp_lt_i32_e64 s[4:5], v14, v15
	s_nop 1
	v_cndmask_b32_e64 v14, v14, v17, s[4:5]
	v_lshlrev_b32_e32 v14, 2, v14
	ds_bpermute_b32 v12, v14, v12
	ds_bpermute_b32 v13, v14, v13
	s_waitcnt lgkmcnt(0)
	v_cmp_lt_u64_e64 s[4:5], v[12:13], v[4:5]
	s_nop 1
	v_cndmask_b32_e64 v4, v4, v12, s[4:5]
	v_cndmask_b32_e64 v5, v5, v13, s[4:5]
	v_cndmask_b32_e32 v5, v5, v3, vcc
	v_cndmask_b32_e32 v4, v4, v2, vcc
	v_cmp_lt_u64_e64 s[4:5], v[4:5], v[6:7]
	s_nop 1
	v_cndmask_b32_e64 v7, v7, v5, s[4:5]
	v_cndmask_b32_e64 v6, v6, v4, s[4:5]
	v_cmp_lt_u64_e64 s[4:5], v[6:7], v[8:9]
	ds_write2_b64 v16, v[4:5], v[6:7] offset1:1
	s_nop 0
	v_cndmask_b32_e64 v5, v9, v7, s[4:5]
	v_cndmask_b32_e64 v4, v8, v6, s[4:5]
	v_cmp_lt_u64_e64 s[4:5], v[4:5], v[10:11]
	s_nop 1
	v_cndmask_b32_e64 v7, v11, v5, s[4:5]
	v_cndmask_b32_e64 v6, v10, v4, s[4:5]
	ds_write2_b64 v16, v[4:5], v[6:7] offset0:2 offset1:3
.LBB36_64:
	s_or_b64 exec, exec, s[8:9]
	s_waitcnt lgkmcnt(0)
	s_barrier
	s_and_saveexec_b64 s[4:5], s[2:3]
	s_cbranch_execz .LBB36_66
; %bb.65:
	v_add_u32_e32 v2, -1, v0
	v_lshrrev_b32_e32 v3, 5, v2
	v_add_lshl_u32 v2, v3, v2, 3
	ds_read_b64 v[2:3], v2
.LBB36_66:
	s_or_b64 exec, exec, s[4:5]
	s_waitcnt lgkmcnt(0)
	v_cmp_lt_u64_e64 s[2:3], v[2:3], v[54:55]
	s_nop 1
	v_cndmask_b32_e64 v2, v54, v2, s[2:3]
	v_cndmask_b32_e64 v3, v55, v3, s[2:3]
	v_cndmask_b32_e32 v3, v3, v55, vcc
	v_cndmask_b32_e32 v2, v2, v54, vcc
	v_cmp_lt_u64_e64 s[2:3], v[2:3], v[56:57]
	s_nop 1
	v_cndmask_b32_e64 v5, v57, v3, s[2:3]
	v_cndmask_b32_e64 v4, v56, v2, s[2:3]
	v_cmp_lt_u64_e64 s[2:3], v[4:5], v[58:59]
	s_nop 1
	v_cndmask_b32_e64 v7, v59, v5, s[2:3]
	v_cndmask_b32_e64 v6, v58, v4, s[2:3]
	;; [unrolled: 4-line block ×14, first 2 shown]
	s_and_saveexec_b64 s[2:3], vcc
	s_cbranch_execz .LBB36_68
; %bb.67:
	s_add_u32 s4, s16, 0x400
	v_mov_b32_e32 v35, 0
	s_addc_u32 s5, s17, 0
	ds_read_b64 v[32:33], v35 offset:2096
	v_mov_b32_e32 v34, 2
	v_mov_b64_e32 v[36:37], s[4:5]
	s_waitcnt lgkmcnt(0)
	;;#ASMSTART
	global_store_dwordx4 v[36:37], v[32:35] off sc1	
s_waitcnt vmcnt(0)
	;;#ASMEND
.LBB36_68:
	s_or_b64 exec, exec, s[2:3]
.LBB36_69:
	s_add_u32 s2, s10, s14
	s_addc_u32 s3, s11, s15
	s_waitcnt lgkmcnt(0)
	s_mov_b64 s[4:5], -1
	s_and_b64 vcc, exec, s[12:13]
	s_barrier
	s_cbranch_vccz .LBB36_71
; %bb.70:
	v_mul_u32_u24_e32 v32, 0x78, v0
	s_movk_i32 s4, 0x78
	ds_write2_b64 v32, v[2:3], v[4:5] offset1:1
	ds_write2_b64 v32, v[6:7], v[8:9] offset0:2 offset1:3
	ds_write2_b64 v32, v[10:11], v[12:13] offset0:4 offset1:5
	;; [unrolled: 1-line block ×6, first 2 shown]
	ds_write_b64 v32, v[30:31] offset:112
	v_mul_i32_i24_e32 v32, 0xffffff90, v0
	v_mad_u32_u24 v60, v0, s4, v32
	v_mov_b32_e32 v63, 0
	s_waitcnt lgkmcnt(0)
	s_barrier
	ds_read2st64_b64 v[32:35], v60 offset1:4
	ds_read2st64_b64 v[36:39], v60 offset0:8 offset1:12
	ds_read2st64_b64 v[40:43], v60 offset0:16 offset1:20
	;; [unrolled: 1-line block ×6, first 2 shown]
	ds_read_b64 v[60:61], v60 offset:28672
	v_lshl_add_u64 v[64:65], s[2:3], 0, v[62:63]
	s_movk_i32 s4, 0x1000
	s_waitcnt lgkmcnt(7)
	global_store_dwordx2 v62, v[32:33], s[2:3]
	global_store_dwordx2 v62, v[34:35], s[2:3] offset:2048
	v_add_co_u32_e32 v32, vcc, s4, v64
	s_movk_i32 s4, 0x2000
	s_nop 0
	v_addc_co_u32_e32 v33, vcc, 0, v65, vcc
	v_add_co_u32_e32 v34, vcc, s4, v64
	s_movk_i32 s4, 0x3000
	s_nop 0
	v_addc_co_u32_e32 v35, vcc, 0, v65, vcc
	s_waitcnt lgkmcnt(6)
	global_store_dwordx2 v[34:35], v[36:37], off offset:-4096
	global_store_dwordx2 v[32:33], v[38:39], off offset:2048
	s_waitcnt lgkmcnt(5)
	global_store_dwordx2 v[34:35], v[40:41], off
	global_store_dwordx2 v[34:35], v[42:43], off offset:2048
	v_add_co_u32_e32 v32, vcc, s4, v64
	s_movk_i32 s4, 0x4000
	s_nop 0
	v_addc_co_u32_e32 v33, vcc, 0, v65, vcc
	v_add_co_u32_e32 v34, vcc, s4, v64
	s_movk_i32 s4, 0x5000
	s_nop 0
	v_addc_co_u32_e32 v35, vcc, 0, v65, vcc
	s_waitcnt lgkmcnt(4)
	global_store_dwordx2 v[34:35], v[44:45], off offset:-4096
	global_store_dwordx2 v[32:33], v[46:47], off offset:2048
	s_waitcnt lgkmcnt(3)
	global_store_dwordx2 v[34:35], v[48:49], off
	global_store_dwordx2 v[34:35], v[50:51], off offset:2048
	v_add_co_u32_e32 v32, vcc, s4, v64
	s_mov_b64 s[4:5], 0
	s_nop 0
	v_addc_co_u32_e32 v33, vcc, 0, v65, vcc
	s_waitcnt lgkmcnt(2)
	global_store_dwordx2 v[32:33], v[52:53], off
	global_store_dwordx2 v[32:33], v[54:55], off offset:2048
	v_add_co_u32_e32 v32, vcc, 0x6000, v64
	s_nop 1
	v_addc_co_u32_e32 v33, vcc, 0, v65, vcc
	s_waitcnt lgkmcnt(1)
	global_store_dwordx2 v[32:33], v[56:57], off
	global_store_dwordx2 v[32:33], v[58:59], off offset:2048
	v_add_co_u32_e32 v32, vcc, 0x7000, v64
	s_nop 1
	v_addc_co_u32_e32 v33, vcc, 0, v65, vcc
	s_waitcnt lgkmcnt(0)
	global_store_dwordx2 v[32:33], v[60:61], off
.LBB36_71:
	s_andn2_b64 vcc, exec, s[4:5]
	s_cbranch_vccnz .LBB36_157
; %bb.72:
	s_movk_i32 s4, 0xff90
	ds_write2_b64 v1, v[2:3], v[4:5] offset1:1
	ds_write2_b64 v1, v[6:7], v[8:9] offset0:2 offset1:3
	ds_write2_b64 v1, v[10:11], v[12:13] offset0:4 offset1:5
	;; [unrolled: 1-line block ×6, first 2 shown]
	ds_write_b64 v1, v[30:31] offset:112
	v_mad_i32_i24 v1, v0, s4, v1
	s_waitcnt lgkmcnt(0)
	s_barrier
	ds_read2st64_b64 v[6:9], v1 offset1:4
	ds_read2st64_b64 v[14:17], v1 offset0:8 offset1:12
	ds_read2st64_b64 v[10:13], v1 offset0:16 offset1:20
	;; [unrolled: 1-line block ×6, first 2 shown]
	ds_read_b64 v[30:31], v1 offset:28672
	v_mov_b32_e32 v63, 0
	v_lshl_add_u64 v[32:33], s[2:3], 0, v[62:63]
	v_cmp_gt_u32_e32 vcc, s22, v0
	s_and_saveexec_b64 s[2:3], vcc
	s_cbranch_execz .LBB36_74
; %bb.73:
	s_waitcnt lgkmcnt(7)
	global_store_dwordx2 v[32:33], v[6:7], off
.LBB36_74:
	s_or_b64 exec, exec, s[2:3]
	v_or_b32_e32 v1, 0x100, v0
	v_cmp_gt_u32_e32 vcc, s22, v1
	s_and_saveexec_b64 s[2:3], vcc
	s_cbranch_execz .LBB36_76
; %bb.75:
	s_waitcnt lgkmcnt(7)
	global_store_dwordx2 v[32:33], v[8:9], off offset:2048
.LBB36_76:
	s_or_b64 exec, exec, s[2:3]
	v_or_b32_e32 v1, 0x200, v0
	v_cmp_gt_u32_e32 vcc, s22, v1
	s_and_saveexec_b64 s[2:3], vcc
	s_cbranch_execz .LBB36_78
; %bb.77:
	v_add_co_u32_e32 v34, vcc, 0x1000, v32
	s_nop 1
	v_addc_co_u32_e32 v35, vcc, 0, v33, vcc
	s_waitcnt lgkmcnt(6)
	global_store_dwordx2 v[34:35], v[14:15], off
.LBB36_78:
	s_or_b64 exec, exec, s[2:3]
	v_or_b32_e32 v1, 0x300, v0
	v_cmp_gt_u32_e32 vcc, s22, v1
	s_and_saveexec_b64 s[2:3], vcc
	s_cbranch_execz .LBB36_80
; %bb.79:
	v_add_co_u32_e32 v34, vcc, 0x1000, v32
	s_nop 1
	v_addc_co_u32_e32 v35, vcc, 0, v33, vcc
	s_waitcnt lgkmcnt(6)
	global_store_dwordx2 v[34:35], v[16:17], off offset:2048
.LBB36_80:
	s_or_b64 exec, exec, s[2:3]
	v_or_b32_e32 v1, 0x400, v0
	v_cmp_gt_u32_e32 vcc, s22, v1
	s_and_saveexec_b64 s[2:3], vcc
	s_cbranch_execz .LBB36_82
; %bb.81:
	v_add_co_u32_e32 v34, vcc, 0x2000, v32
	s_nop 1
	v_addc_co_u32_e32 v35, vcc, 0, v33, vcc
	s_waitcnt lgkmcnt(5)
	global_store_dwordx2 v[34:35], v[10:11], off
.LBB36_82:
	s_or_b64 exec, exec, s[2:3]
	v_or_b32_e32 v1, 0x500, v0
	v_cmp_gt_u32_e32 vcc, s22, v1
	s_and_saveexec_b64 s[2:3], vcc
	s_cbranch_execz .LBB36_84
; %bb.83:
	v_add_co_u32_e32 v34, vcc, 0x2000, v32
	s_nop 1
	v_addc_co_u32_e32 v35, vcc, 0, v33, vcc
	s_waitcnt lgkmcnt(5)
	global_store_dwordx2 v[34:35], v[12:13], off offset:2048
.LBB36_84:
	;; [unrolled: 24-line block ×6, first 2 shown]
	s_or_b64 exec, exec, s[2:3]
	v_or_b32_e32 v1, 0xe00, v0
	v_cmp_gt_u32_e32 vcc, s22, v1
	s_and_saveexec_b64 s[2:3], vcc
	s_cbranch_execz .LBB36_102
; %bb.101:
	v_add_co_u32_e32 v32, vcc, 0x7000, v32
	s_nop 1
	v_addc_co_u32_e32 v33, vcc, 0, v33, vcc
	s_waitcnt lgkmcnt(0)
	global_store_dwordx2 v[32:33], v[30:31], off
.LBB36_102:
	s_or_b64 exec, exec, s[2:3]
	s_load_dword s0, s[0:1], 0x48
	s_waitcnt lgkmcnt(0)
	s_bfe_u32 s0, s0, 0x10008
	s_cmp_eq_u32 s0, 0
	s_cbranch_scc1 .LBB36_157
; %bb.103:
	s_add_u32 s0, s22, -1
	s_addc_u32 s1, s23, -1
	s_add_u32 s2, 0, 0x11108400
	s_addc_u32 s3, 0, 49
	s_add_i32 s3, s3, 0x111110e0
	s_mul_hi_u32 s9, s2, -15
	s_sub_i32 s9, s9, s2
	s_mul_i32 s10, s3, -15
	s_mul_i32 s4, s2, -15
	s_add_i32 s9, s9, s10
	s_mul_hi_u32 s5, s3, s4
	s_mul_i32 s8, s3, s4
	s_mul_i32 s11, s2, s9
	s_mul_hi_u32 s4, s2, s4
	s_mul_hi_u32 s10, s2, s9
	s_add_u32 s4, s4, s11
	s_addc_u32 s10, 0, s10
	s_add_u32 s4, s4, s8
	s_mul_hi_u32 s11, s3, s9
	s_addc_u32 s4, s10, s5
	s_addc_u32 s5, s11, 0
	s_mul_i32 s8, s3, s9
	s_add_u32 s4, s4, s8
	v_mov_b32_e32 v32, s4
	s_addc_u32 s5, 0, s5
	v_add_co_u32_e32 v32, vcc, s2, v32
	s_cmp_lg_u64 vcc, 0
	s_addc_u32 s2, s3, s5
	v_readfirstlane_b32 s5, v32
	s_mul_i32 s4, s0, s2
	s_mul_hi_u32 s8, s0, s5
	s_mul_hi_u32 s3, s0, s2
	s_add_u32 s4, s8, s4
	s_addc_u32 s3, 0, s3
	s_mul_hi_u32 s9, s1, s5
	s_mul_i32 s5, s1, s5
	s_add_u32 s4, s4, s5
	s_mul_hi_u32 s8, s1, s2
	s_addc_u32 s3, s3, s9
	s_addc_u32 s4, s8, 0
	s_mul_i32 s2, s1, s2
	s_add_u32 s2, s3, s2
	s_addc_u32 s3, 0, s4
	s_add_u32 s4, s2, 1
	s_addc_u32 s5, s3, 0
	s_add_u32 s8, s2, 2
	s_mul_i32 s10, s3, 15
	s_mul_hi_u32 s11, s2, 15
	s_addc_u32 s9, s3, 0
	s_add_i32 s11, s11, s10
	s_mul_i32 s10, s2, 15
	v_mov_b32_e32 v32, s10
	v_sub_co_u32_e32 v32, vcc, s0, v32
	s_cmp_lg_u64 vcc, 0
	s_subb_u32 s10, s1, s11
	v_subrev_co_u32_e32 v33, vcc, 15, v32
	s_cmp_lg_u64 vcc, 0
	s_subb_u32 s11, s10, 0
	v_readfirstlane_b32 s12, v33
	s_cmp_gt_u32 s12, 14
	s_cselect_b32 s12, -1, 0
	s_cmp_eq_u32 s11, 0
	s_cselect_b32 s11, s12, -1
	s_cmp_lg_u32 s11, 0
	s_cselect_b32 s4, s8, s4
	v_readfirstlane_b32 s8, v32
	s_cselect_b32 s5, s9, s5
	s_cmp_gt_u32 s8, 14
	s_cselect_b32 s8, -1, 0
	s_cmp_eq_u32 s10, 0
	s_cselect_b32 s8, s8, -1
	s_cmp_lg_u32 s8, 0
	v_mov_b32_e32 v1, v63
	s_cselect_b32 s3, s5, s3
	s_cselect_b32 s2, s4, s2
	v_cmp_eq_u64_e32 vcc, s[2:3], v[0:1]
	s_and_saveexec_b64 s[2:3], vcc
	s_cbranch_execz .LBB36_157
; %bb.104:
	v_mul_hi_u32_u24_e32 v1, 15, v0
	v_mov_b32_e32 v32, s1
	v_sub_co_u32_e32 v0, vcc, s0, v66
	s_nop 1
	v_subb_co_u32_e32 v1, vcc, v32, v1, vcc
	v_cmp_lt_i64_e32 vcc, 7, v[0:1]
	s_and_saveexec_b64 s[0:1], vcc
	s_xor_b64 s[0:1], exec, s[0:1]
	s_cbranch_execz .LBB36_130
; %bb.105:
	v_cmp_lt_i64_e32 vcc, 10, v[0:1]
	s_and_saveexec_b64 s[2:3], vcc
	s_xor_b64 s[2:3], exec, s[2:3]
	s_cbranch_execz .LBB36_119
; %bb.106:
	;; [unrolled: 5-line block ×4, first 2 shown]
	v_mov_b32_e32 v0, 0
	global_store_dwordx2 v0, v[30:31], s[6:7]
                                        ; implicit-def: $vgpr22_vgpr23_vgpr24_vgpr25
.LBB36_109:
	s_andn2_saveexec_b64 s[8:9], s[8:9]
	s_cbranch_execz .LBB36_111
; %bb.110:
	v_mov_b32_e32 v0, 0
	global_store_dwordx2 v0, v[24:25], s[6:7]
.LBB36_111:
	s_or_b64 exec, exec, s[8:9]
                                        ; implicit-def: $vgpr2_vgpr3_vgpr4_vgpr5
                                        ; implicit-def: $vgpr0_vgpr1
                                        ; implicit-def: $vgpr22_vgpr23_vgpr24_vgpr25
.LBB36_112:
	s_andn2_saveexec_b64 s[4:5], s[4:5]
	s_cbranch_execz .LBB36_118
; %bb.113:
	v_cmp_lt_i64_e32 vcc, 11, v[0:1]
	s_and_saveexec_b64 s[8:9], vcc
	s_xor_b64 s[8:9], exec, s[8:9]
	s_cbranch_execz .LBB36_115
; %bb.114:
	v_mov_b32_e32 v0, 0
	global_store_dwordx2 v0, v[22:23], s[6:7]
                                        ; implicit-def: $vgpr2_vgpr3_vgpr4_vgpr5
.LBB36_115:
	s_andn2_saveexec_b64 s[8:9], s[8:9]
	s_cbranch_execz .LBB36_117
; %bb.116:
	v_mov_b32_e32 v0, 0
	global_store_dwordx2 v0, v[4:5], s[6:7]
.LBB36_117:
	s_or_b64 exec, exec, s[8:9]
.LBB36_118:
	s_or_b64 exec, exec, s[4:5]
                                        ; implicit-def: $vgpr18_vgpr19_vgpr20_vgpr21
                                        ; implicit-def: $vgpr0_vgpr1
                                        ; implicit-def: $vgpr2_vgpr3_vgpr4_vgpr5
.LBB36_119:
	s_andn2_saveexec_b64 s[2:3], s[2:3]
	s_cbranch_execz .LBB36_129
; %bb.120:
	v_cmp_lt_i64_e32 vcc, 8, v[0:1]
	s_and_saveexec_b64 s[4:5], vcc
	s_xor_b64 s[4:5], exec, s[4:5]
	s_cbranch_execz .LBB36_126
; %bb.121:
	v_cmp_lt_i64_e32 vcc, 9, v[0:1]
	s_and_saveexec_b64 s[8:9], vcc
	s_xor_b64 s[8:9], exec, s[8:9]
	s_cbranch_execz .LBB36_123
; %bb.122:
	v_mov_b32_e32 v0, 0
	global_store_dwordx2 v0, v[2:3], s[6:7]
                                        ; implicit-def: $vgpr18_vgpr19_vgpr20_vgpr21
.LBB36_123:
	s_andn2_saveexec_b64 s[8:9], s[8:9]
	s_cbranch_execz .LBB36_125
; %bb.124:
	v_mov_b32_e32 v0, 0
	global_store_dwordx2 v0, v[20:21], s[6:7]
.LBB36_125:
	s_or_b64 exec, exec, s[8:9]
                                        ; implicit-def: $vgpr18_vgpr19_vgpr20_vgpr21
.LBB36_126:
	s_andn2_saveexec_b64 s[4:5], s[4:5]
	s_cbranch_execz .LBB36_128
; %bb.127:
	v_mov_b32_e32 v0, 0
	global_store_dwordx2 v0, v[18:19], s[6:7]
.LBB36_128:
	s_or_b64 exec, exec, s[4:5]
.LBB36_129:
	s_or_b64 exec, exec, s[2:3]
                                        ; implicit-def: $vgpr0_vgpr1
                                        ; implicit-def: $vgpr6_vgpr7_vgpr8_vgpr9
                                        ; implicit-def: $vgpr10_vgpr11_vgpr12_vgpr13
                                        ; implicit-def: $vgpr14_vgpr15_vgpr16_vgpr17
                                        ; implicit-def: $vgpr26_vgpr27_vgpr28_vgpr29
.LBB36_130:
	s_andn2_saveexec_b64 s[0:1], s[0:1]
	s_cbranch_execz .LBB36_157
; %bb.131:
	v_cmp_lt_i64_e32 vcc, 3, v[0:1]
	s_and_saveexec_b64 s[0:1], vcc
	s_xor_b64 s[0:1], exec, s[0:1]
	s_cbranch_execz .LBB36_145
; %bb.132:
	v_cmp_lt_i64_e32 vcc, 5, v[0:1]
	s_and_saveexec_b64 s[2:3], vcc
	s_xor_b64 s[2:3], exec, s[2:3]
	;; [unrolled: 5-line block ×3, first 2 shown]
	s_cbranch_execz .LBB36_135
; %bb.134:
	v_mov_b32_e32 v0, 0
	global_store_dwordx2 v0, v[28:29], s[6:7]
                                        ; implicit-def: $vgpr26_vgpr27_vgpr28_vgpr29
.LBB36_135:
	s_andn2_saveexec_b64 s[4:5], s[4:5]
	s_cbranch_execz .LBB36_137
; %bb.136:
	v_mov_b32_e32 v0, 0
	global_store_dwordx2 v0, v[26:27], s[6:7]
.LBB36_137:
	s_or_b64 exec, exec, s[4:5]
                                        ; implicit-def: $vgpr10_vgpr11_vgpr12_vgpr13
                                        ; implicit-def: $vgpr0_vgpr1
.LBB36_138:
	s_andn2_saveexec_b64 s[2:3], s[2:3]
	s_cbranch_execz .LBB36_144
; %bb.139:
	v_cmp_lt_i64_e32 vcc, 4, v[0:1]
	s_and_saveexec_b64 s[4:5], vcc
	s_xor_b64 s[4:5], exec, s[4:5]
	s_cbranch_execz .LBB36_141
; %bb.140:
	v_mov_b32_e32 v0, 0
	global_store_dwordx2 v0, v[12:13], s[6:7]
                                        ; implicit-def: $vgpr10_vgpr11_vgpr12_vgpr13
.LBB36_141:
	s_andn2_saveexec_b64 s[4:5], s[4:5]
	s_cbranch_execz .LBB36_143
; %bb.142:
	v_mov_b32_e32 v0, 0
	global_store_dwordx2 v0, v[10:11], s[6:7]
.LBB36_143:
	s_or_b64 exec, exec, s[4:5]
.LBB36_144:
	s_or_b64 exec, exec, s[2:3]
                                        ; implicit-def: $vgpr0_vgpr1
                                        ; implicit-def: $vgpr6_vgpr7_vgpr8_vgpr9
                                        ; implicit-def: $vgpr14_vgpr15_vgpr16_vgpr17
.LBB36_145:
	s_andn2_saveexec_b64 s[0:1], s[0:1]
	s_cbranch_execz .LBB36_157
; %bb.146:
	v_cmp_lt_i64_e32 vcc, 1, v[0:1]
	s_and_saveexec_b64 s[0:1], vcc
	s_xor_b64 s[0:1], exec, s[0:1]
	s_cbranch_execz .LBB36_152
; %bb.147:
	v_cmp_lt_i64_e32 vcc, 2, v[0:1]
	s_and_saveexec_b64 s[2:3], vcc
	s_xor_b64 s[2:3], exec, s[2:3]
	s_cbranch_execz .LBB36_149
; %bb.148:
	v_mov_b32_e32 v0, 0
	global_store_dwordx2 v0, v[16:17], s[6:7]
                                        ; implicit-def: $vgpr14_vgpr15_vgpr16_vgpr17
.LBB36_149:
	s_andn2_saveexec_b64 s[2:3], s[2:3]
	s_cbranch_execz .LBB36_151
; %bb.150:
	v_mov_b32_e32 v0, 0
	global_store_dwordx2 v0, v[14:15], s[6:7]
.LBB36_151:
	s_or_b64 exec, exec, s[2:3]
                                        ; implicit-def: $vgpr6_vgpr7_vgpr8_vgpr9
                                        ; implicit-def: $vgpr0_vgpr1
.LBB36_152:
	s_andn2_saveexec_b64 s[0:1], s[0:1]
	s_cbranch_execz .LBB36_157
; %bb.153:
	v_cmp_ne_u64_e32 vcc, 1, v[0:1]
	s_and_saveexec_b64 s[0:1], vcc
	s_xor_b64 s[0:1], exec, s[0:1]
	s_cbranch_execz .LBB36_155
; %bb.154:
	v_mov_b32_e32 v0, 0
	global_store_dwordx2 v0, v[6:7], s[6:7]
                                        ; implicit-def: $vgpr6_vgpr7_vgpr8_vgpr9
.LBB36_155:
	s_andn2_saveexec_b64 s[0:1], s[0:1]
	s_cbranch_execz .LBB36_157
; %bb.156:
	v_mov_b32_e32 v0, 0
	global_store_dwordx2 v0, v[8:9], s[6:7]
.LBB36_157:
	s_endpgm
	.section	.rodata,"a",@progbits
	.p2align	6, 0x0
	.amdhsa_kernel _ZN7rocprim6detail20lookback_scan_kernelILNS0_25lookback_scan_determinismE0ELb0ENS0_19wrapped_scan_configINS_14default_configEyEEPyS6_N6hipcub3MinEyyNS0_19lookback_scan_stateIyLb0ELb1EEEEEvT2_T3_mT5_T4_T7_jPT6_SH_bb
		.amdhsa_group_segment_fixed_size 30720
		.amdhsa_private_segment_fixed_size 0
		.amdhsa_kernarg_size 76
		.amdhsa_user_sgpr_count 2
		.amdhsa_user_sgpr_dispatch_ptr 0
		.amdhsa_user_sgpr_queue_ptr 0
		.amdhsa_user_sgpr_kernarg_segment_ptr 1
		.amdhsa_user_sgpr_dispatch_id 0
		.amdhsa_user_sgpr_kernarg_preload_length 0
		.amdhsa_user_sgpr_kernarg_preload_offset 0
		.amdhsa_user_sgpr_private_segment_size 0
		.amdhsa_uses_dynamic_stack 0
		.amdhsa_enable_private_segment 0
		.amdhsa_system_sgpr_workgroup_id_x 1
		.amdhsa_system_sgpr_workgroup_id_y 0
		.amdhsa_system_sgpr_workgroup_id_z 0
		.amdhsa_system_sgpr_workgroup_info 0
		.amdhsa_system_vgpr_workitem_id 0
		.amdhsa_next_free_vgpr 67
		.amdhsa_next_free_sgpr 68
		.amdhsa_accum_offset 68
		.amdhsa_reserve_vcc 1
		.amdhsa_float_round_mode_32 0
		.amdhsa_float_round_mode_16_64 0
		.amdhsa_float_denorm_mode_32 3
		.amdhsa_float_denorm_mode_16_64 3
		.amdhsa_dx10_clamp 1
		.amdhsa_ieee_mode 1
		.amdhsa_fp16_overflow 0
		.amdhsa_tg_split 0
		.amdhsa_exception_fp_ieee_invalid_op 0
		.amdhsa_exception_fp_denorm_src 0
		.amdhsa_exception_fp_ieee_div_zero 0
		.amdhsa_exception_fp_ieee_overflow 0
		.amdhsa_exception_fp_ieee_underflow 0
		.amdhsa_exception_fp_ieee_inexact 0
		.amdhsa_exception_int_div_zero 0
	.end_amdhsa_kernel
	.section	.text._ZN7rocprim6detail20lookback_scan_kernelILNS0_25lookback_scan_determinismE0ELb0ENS0_19wrapped_scan_configINS_14default_configEyEEPyS6_N6hipcub3MinEyyNS0_19lookback_scan_stateIyLb0ELb1EEEEEvT2_T3_mT5_T4_T7_jPT6_SH_bb,"axG",@progbits,_ZN7rocprim6detail20lookback_scan_kernelILNS0_25lookback_scan_determinismE0ELb0ENS0_19wrapped_scan_configINS_14default_configEyEEPyS6_N6hipcub3MinEyyNS0_19lookback_scan_stateIyLb0ELb1EEEEEvT2_T3_mT5_T4_T7_jPT6_SH_bb,comdat
.Lfunc_end36:
	.size	_ZN7rocprim6detail20lookback_scan_kernelILNS0_25lookback_scan_determinismE0ELb0ENS0_19wrapped_scan_configINS_14default_configEyEEPyS6_N6hipcub3MinEyyNS0_19lookback_scan_stateIyLb0ELb1EEEEEvT2_T3_mT5_T4_T7_jPT6_SH_bb, .Lfunc_end36-_ZN7rocprim6detail20lookback_scan_kernelILNS0_25lookback_scan_determinismE0ELb0ENS0_19wrapped_scan_configINS_14default_configEyEEPyS6_N6hipcub3MinEyyNS0_19lookback_scan_stateIyLb0ELb1EEEEEvT2_T3_mT5_T4_T7_jPT6_SH_bb
                                        ; -- End function
	.section	.AMDGPU.csdata,"",@progbits
; Kernel info:
; codeLenInByte = 8788
; NumSgprs: 74
; NumVgprs: 67
; NumAgprs: 0
; TotalNumVgprs: 67
; ScratchSize: 0
; MemoryBound: 1
; FloatMode: 240
; IeeeMode: 1
; LDSByteSize: 30720 bytes/workgroup (compile time only)
; SGPRBlocks: 9
; VGPRBlocks: 8
; NumSGPRsForWavesPerEU: 74
; NumVGPRsForWavesPerEU: 67
; AccumOffset: 68
; Occupancy: 2
; WaveLimiterHint : 1
; COMPUTE_PGM_RSRC2:SCRATCH_EN: 0
; COMPUTE_PGM_RSRC2:USER_SGPR: 2
; COMPUTE_PGM_RSRC2:TRAP_HANDLER: 0
; COMPUTE_PGM_RSRC2:TGID_X_EN: 1
; COMPUTE_PGM_RSRC2:TGID_Y_EN: 0
; COMPUTE_PGM_RSRC2:TGID_Z_EN: 0
; COMPUTE_PGM_RSRC2:TIDIG_COMP_CNT: 0
; COMPUTE_PGM_RSRC3_GFX90A:ACCUM_OFFSET: 16
; COMPUTE_PGM_RSRC3_GFX90A:TG_SPLIT: 0
	.section	.text._ZN7rocprim6detail16transform_kernelINS0_24wrapped_transform_configINS_14default_configEyEEyPyS5_NS_8identityIyEEEEvT1_mT2_T3_,"axG",@progbits,_ZN7rocprim6detail16transform_kernelINS0_24wrapped_transform_configINS_14default_configEyEEyPyS5_NS_8identityIyEEEEvT1_mT2_T3_,comdat
	.protected	_ZN7rocprim6detail16transform_kernelINS0_24wrapped_transform_configINS_14default_configEyEEyPyS5_NS_8identityIyEEEEvT1_mT2_T3_ ; -- Begin function _ZN7rocprim6detail16transform_kernelINS0_24wrapped_transform_configINS_14default_configEyEEyPyS5_NS_8identityIyEEEEvT1_mT2_T3_
	.globl	_ZN7rocprim6detail16transform_kernelINS0_24wrapped_transform_configINS_14default_configEyEEyPyS5_NS_8identityIyEEEEvT1_mT2_T3_
	.p2align	8
	.type	_ZN7rocprim6detail16transform_kernelINS0_24wrapped_transform_configINS_14default_configEyEEyPyS5_NS_8identityIyEEEEvT1_mT2_T3_,@function
_ZN7rocprim6detail16transform_kernelINS0_24wrapped_transform_configINS_14default_configEyEEyPyS5_NS_8identityIyEEEEvT1_mT2_T3_: ; @_ZN7rocprim6detail16transform_kernelINS0_24wrapped_transform_configINS_14default_configEyEEyPyS5_NS_8identityIyEEEEvT1_mT2_T3_
; %bb.0:
	s_load_dword s3, s[0:1], 0x20
	s_load_dwordx4 s[4:7], s[0:1], 0x0
	s_load_dwordx2 s[8:9], s[0:1], 0x10
	s_lshl_b32 s0, s2, 9
	s_mov_b32 s1, 0
	s_waitcnt lgkmcnt(0)
	s_add_i32 s3, s3, -1
	s_lshl_b64 s[10:11], s[0:1], 3
	s_add_u32 s4, s4, s10
	s_addc_u32 s5, s5, s11
	v_mov_b32_e32 v7, 0
	v_lshlrev_b32_e32 v6, 3, v0
	s_cmp_lg_u32 s2, s3
	v_lshl_add_u64 v[8:9], s[4:5], 0, v[6:7]
	s_cbranch_scc0 .LBB37_2
; %bb.1:
	global_load_dwordx2 v[2:3], v[8:9], off
	global_load_dwordx2 v[4:5], v[8:9], off offset:2048
	s_add_u32 s2, s8, s10
	s_addc_u32 s3, s9, s11
	s_waitcnt vmcnt(1)
	global_store_dwordx2 v6, v[2:3], s[2:3]
	s_mov_b64 s[2:3], -1
	s_cbranch_execz .LBB37_3
	s_branch .LBB37_10
.LBB37_2:
	s_mov_b64 s[2:3], 0
                                        ; implicit-def: $vgpr4_vgpr5
.LBB37_3:
	s_sub_i32 s4, s6, s0
	v_cmp_gt_u32_e32 vcc, s4, v0
                                        ; implicit-def: $vgpr2_vgpr3_vgpr4_vgpr5
	s_and_saveexec_b64 s[0:1], vcc
	s_cbranch_execz .LBB37_5
; %bb.4:
	global_load_dwordx2 v[2:3], v[8:9], off
.LBB37_5:
	s_or_b64 exec, exec, s[0:1]
	v_or_b32_e32 v0, 0x100, v0
	v_cmp_gt_u32_e64 s[0:1], s4, v0
	s_and_saveexec_b64 s[4:5], s[0:1]
	s_cbranch_execnz .LBB37_13
; %bb.6:
	s_or_b64 exec, exec, s[4:5]
	s_and_saveexec_b64 s[4:5], vcc
	s_cbranch_execnz .LBB37_14
.LBB37_7:
	s_or_b64 exec, exec, s[4:5]
	s_and_saveexec_b64 s[4:5], s[0:1]
.LBB37_8:
	s_or_b64 s[2:3], s[2:3], exec
.LBB37_9:
	s_or_b64 exec, exec, s[4:5]
.LBB37_10:
	s_and_saveexec_b64 s[0:1], s[2:3]
	s_cbranch_execnz .LBB37_12
; %bb.11:
	s_endpgm
.LBB37_12:
	s_add_u32 s0, s8, s10
	s_addc_u32 s1, s9, s11
	s_waitcnt vmcnt(0)
	global_store_dwordx2 v6, v[4:5], s[0:1] offset:2048
	s_endpgm
.LBB37_13:
	global_load_dwordx2 v[4:5], v[8:9], off offset:2048
	s_or_b64 exec, exec, s[4:5]
	s_and_saveexec_b64 s[4:5], vcc
	s_cbranch_execz .LBB37_7
.LBB37_14:
	s_add_u32 s6, s8, s10
	s_addc_u32 s7, s9, s11
	s_waitcnt vmcnt(0)
	global_store_dwordx2 v6, v[2:3], s[6:7]
	s_or_b64 exec, exec, s[4:5]
	s_and_saveexec_b64 s[4:5], s[0:1]
	s_cbranch_execnz .LBB37_8
	s_branch .LBB37_9
	.section	.rodata,"a",@progbits
	.p2align	6, 0x0
	.amdhsa_kernel _ZN7rocprim6detail16transform_kernelINS0_24wrapped_transform_configINS_14default_configEyEEyPyS5_NS_8identityIyEEEEvT1_mT2_T3_
		.amdhsa_group_segment_fixed_size 0
		.amdhsa_private_segment_fixed_size 0
		.amdhsa_kernarg_size 288
		.amdhsa_user_sgpr_count 2
		.amdhsa_user_sgpr_dispatch_ptr 0
		.amdhsa_user_sgpr_queue_ptr 0
		.amdhsa_user_sgpr_kernarg_segment_ptr 1
		.amdhsa_user_sgpr_dispatch_id 0
		.amdhsa_user_sgpr_kernarg_preload_length 0
		.amdhsa_user_sgpr_kernarg_preload_offset 0
		.amdhsa_user_sgpr_private_segment_size 0
		.amdhsa_uses_dynamic_stack 0
		.amdhsa_enable_private_segment 0
		.amdhsa_system_sgpr_workgroup_id_x 1
		.amdhsa_system_sgpr_workgroup_id_y 0
		.amdhsa_system_sgpr_workgroup_id_z 0
		.amdhsa_system_sgpr_workgroup_info 0
		.amdhsa_system_vgpr_workitem_id 0
		.amdhsa_next_free_vgpr 10
		.amdhsa_next_free_sgpr 12
		.amdhsa_accum_offset 12
		.amdhsa_reserve_vcc 1
		.amdhsa_float_round_mode_32 0
		.amdhsa_float_round_mode_16_64 0
		.amdhsa_float_denorm_mode_32 3
		.amdhsa_float_denorm_mode_16_64 3
		.amdhsa_dx10_clamp 1
		.amdhsa_ieee_mode 1
		.amdhsa_fp16_overflow 0
		.amdhsa_tg_split 0
		.amdhsa_exception_fp_ieee_invalid_op 0
		.amdhsa_exception_fp_denorm_src 0
		.amdhsa_exception_fp_ieee_div_zero 0
		.amdhsa_exception_fp_ieee_overflow 0
		.amdhsa_exception_fp_ieee_underflow 0
		.amdhsa_exception_fp_ieee_inexact 0
		.amdhsa_exception_int_div_zero 0
	.end_amdhsa_kernel
	.section	.text._ZN7rocprim6detail16transform_kernelINS0_24wrapped_transform_configINS_14default_configEyEEyPyS5_NS_8identityIyEEEEvT1_mT2_T3_,"axG",@progbits,_ZN7rocprim6detail16transform_kernelINS0_24wrapped_transform_configINS_14default_configEyEEyPyS5_NS_8identityIyEEEEvT1_mT2_T3_,comdat
.Lfunc_end37:
	.size	_ZN7rocprim6detail16transform_kernelINS0_24wrapped_transform_configINS_14default_configEyEEyPyS5_NS_8identityIyEEEEvT1_mT2_T3_, .Lfunc_end37-_ZN7rocprim6detail16transform_kernelINS0_24wrapped_transform_configINS_14default_configEyEEyPyS5_NS_8identityIyEEEEvT1_mT2_T3_
                                        ; -- End function
	.section	.AMDGPU.csdata,"",@progbits
; Kernel info:
; codeLenInByte = 300
; NumSgprs: 18
; NumVgprs: 10
; NumAgprs: 0
; TotalNumVgprs: 10
; ScratchSize: 0
; MemoryBound: 1
; FloatMode: 240
; IeeeMode: 1
; LDSByteSize: 0 bytes/workgroup (compile time only)
; SGPRBlocks: 2
; VGPRBlocks: 1
; NumSGPRsForWavesPerEU: 18
; NumVGPRsForWavesPerEU: 10
; AccumOffset: 12
; Occupancy: 8
; WaveLimiterHint : 1
; COMPUTE_PGM_RSRC2:SCRATCH_EN: 0
; COMPUTE_PGM_RSRC2:USER_SGPR: 2
; COMPUTE_PGM_RSRC2:TRAP_HANDLER: 0
; COMPUTE_PGM_RSRC2:TGID_X_EN: 1
; COMPUTE_PGM_RSRC2:TGID_Y_EN: 0
; COMPUTE_PGM_RSRC2:TGID_Z_EN: 0
; COMPUTE_PGM_RSRC2:TIDIG_COMP_CNT: 0
; COMPUTE_PGM_RSRC3_GFX90A:ACCUM_OFFSET: 2
; COMPUTE_PGM_RSRC3_GFX90A:TG_SPLIT: 0
	.section	.text._ZN7rocprim6detail18single_scan_kernelILb0ENS0_19wrapped_scan_configINS_14default_configEyEEPyS5_N6hipcub3MinEyyEEvT1_mT4_T2_T3_,"axG",@progbits,_ZN7rocprim6detail18single_scan_kernelILb0ENS0_19wrapped_scan_configINS_14default_configEyEEPyS5_N6hipcub3MinEyyEEvT1_mT4_T2_T3_,comdat
	.protected	_ZN7rocprim6detail18single_scan_kernelILb0ENS0_19wrapped_scan_configINS_14default_configEyEEPyS5_N6hipcub3MinEyyEEvT1_mT4_T2_T3_ ; -- Begin function _ZN7rocprim6detail18single_scan_kernelILb0ENS0_19wrapped_scan_configINS_14default_configEyEEPyS5_N6hipcub3MinEyyEEvT1_mT4_T2_T3_
	.globl	_ZN7rocprim6detail18single_scan_kernelILb0ENS0_19wrapped_scan_configINS_14default_configEyEEPyS5_N6hipcub3MinEyyEEvT1_mT4_T2_T3_
	.p2align	8
	.type	_ZN7rocprim6detail18single_scan_kernelILb0ENS0_19wrapped_scan_configINS_14default_configEyEEPyS5_N6hipcub3MinEyyEEvT1_mT4_T2_T3_,@function
_ZN7rocprim6detail18single_scan_kernelILb0ENS0_19wrapped_scan_configINS_14default_configEyEEPyS5_N6hipcub3MinEyyEEvT1_mT4_T2_T3_: ; @_ZN7rocprim6detail18single_scan_kernelILb0ENS0_19wrapped_scan_configINS_14default_configEyEEPyS5_N6hipcub3MinEyyEEvT1_mT4_T2_T3_
; %bb.0:
	s_load_dwordx4 s[28:31], s[0:1], 0x0
	v_mov_b32_e32 v35, 0
	v_lshlrev_b32_e32 v34, 3, v0
	s_waitcnt lgkmcnt(0)
	s_load_dwordx2 s[36:37], s[28:29], 0x0
	v_lshl_add_u64 v[36:37], s[28:29], 0, v[34:35]
	v_cmp_gt_u32_e64 s[4:5], s30, v0
	s_waitcnt lgkmcnt(0)
	s_mov_b32 s38, s36
	s_mov_b32 s39, s37
	;; [unrolled: 1-line block ×28, first 2 shown]
	v_mov_b64_e32 v[2:3], s[36:37]
	v_mov_b64_e32 v[4:5], s[38:39]
	;; [unrolled: 1-line block ×16, first 2 shown]
	s_and_saveexec_b64 s[2:3], s[4:5]
	s_cbranch_execz .LBB38_2
; %bb.1:
	global_load_dwordx2 v[2:3], v[36:37], off
	v_mov_b32_e32 v4, s36
	v_mov_b32_e32 v5, s37
	;; [unrolled: 1-line block ×28, first 2 shown]
.LBB38_2:
	s_or_b64 exec, exec, s[2:3]
	v_or_b32_e32 v1, 0x100, v0
	v_cmp_gt_u32_e64 s[2:3], s30, v1
	s_and_saveexec_b64 s[6:7], s[2:3]
	s_cbranch_execz .LBB38_4
; %bb.3:
	global_load_dwordx2 v[4:5], v[36:37], off offset:2048
.LBB38_4:
	s_or_b64 exec, exec, s[6:7]
	v_or_b32_e32 v1, 0x200, v0
	v_cmp_gt_u32_e64 s[6:7], s30, v1
	s_and_saveexec_b64 s[8:9], s[6:7]
	s_cbranch_execz .LBB38_6
; %bb.5:
	v_add_co_u32_e32 v6, vcc, 0x1000, v36
	s_nop 1
	v_addc_co_u32_e32 v7, vcc, 0, v37, vcc
	global_load_dwordx2 v[6:7], v[6:7], off
.LBB38_6:
	s_or_b64 exec, exec, s[8:9]
	v_or_b32_e32 v1, 0x300, v0
	v_cmp_gt_u32_e64 s[8:9], s30, v1
	s_and_saveexec_b64 s[10:11], s[8:9]
	s_cbranch_execz .LBB38_8
; %bb.7:
	v_add_co_u32_e32 v8, vcc, 0x1000, v36
	s_nop 1
	v_addc_co_u32_e32 v9, vcc, 0, v37, vcc
	global_load_dwordx2 v[8:9], v[8:9], off offset:2048
.LBB38_8:
	s_or_b64 exec, exec, s[10:11]
	v_or_b32_e32 v1, 0x400, v0
	v_cmp_gt_u32_e64 s[10:11], s30, v1
	s_and_saveexec_b64 s[12:13], s[10:11]
	s_cbranch_execz .LBB38_10
; %bb.9:
	v_add_co_u32_e32 v10, vcc, 0x2000, v36
	s_nop 1
	v_addc_co_u32_e32 v11, vcc, 0, v37, vcc
	global_load_dwordx2 v[10:11], v[10:11], off
.LBB38_10:
	s_or_b64 exec, exec, s[12:13]
	v_or_b32_e32 v1, 0x500, v0
	v_cmp_gt_u32_e64 s[12:13], s30, v1
	s_and_saveexec_b64 s[14:15], s[12:13]
	s_cbranch_execz .LBB38_12
; %bb.11:
	v_add_co_u32_e32 v12, vcc, 0x2000, v36
	s_nop 1
	v_addc_co_u32_e32 v13, vcc, 0, v37, vcc
	global_load_dwordx2 v[12:13], v[12:13], off offset:2048
.LBB38_12:
	s_or_b64 exec, exec, s[14:15]
	v_or_b32_e32 v1, 0x600, v0
	v_cmp_gt_u32_e64 s[14:15], s30, v1
	s_and_saveexec_b64 s[16:17], s[14:15]
	s_cbranch_execz .LBB38_14
; %bb.13:
	v_add_co_u32_e32 v14, vcc, 0x3000, v36
	s_nop 1
	v_addc_co_u32_e32 v15, vcc, 0, v37, vcc
	global_load_dwordx2 v[14:15], v[14:15], off
.LBB38_14:
	s_or_b64 exec, exec, s[16:17]
	v_or_b32_e32 v1, 0x700, v0
	v_cmp_gt_u32_e64 s[16:17], s30, v1
	s_and_saveexec_b64 s[18:19], s[16:17]
	s_cbranch_execz .LBB38_16
; %bb.15:
	v_add_co_u32_e32 v16, vcc, 0x3000, v36
	s_nop 1
	v_addc_co_u32_e32 v17, vcc, 0, v37, vcc
	global_load_dwordx2 v[16:17], v[16:17], off offset:2048
.LBB38_16:
	s_or_b64 exec, exec, s[18:19]
	v_or_b32_e32 v1, 0x800, v0
	v_cmp_gt_u32_e64 s[18:19], s30, v1
	s_and_saveexec_b64 s[20:21], s[18:19]
	s_cbranch_execz .LBB38_18
; %bb.17:
	v_add_co_u32_e32 v18, vcc, 0x4000, v36
	s_nop 1
	v_addc_co_u32_e32 v19, vcc, 0, v37, vcc
	global_load_dwordx2 v[18:19], v[18:19], off
.LBB38_18:
	s_or_b64 exec, exec, s[20:21]
	v_or_b32_e32 v1, 0x900, v0
	v_cmp_gt_u32_e64 s[20:21], s30, v1
	s_and_saveexec_b64 s[22:23], s[20:21]
	s_cbranch_execz .LBB38_20
; %bb.19:
	v_add_co_u32_e32 v20, vcc, 0x4000, v36
	s_nop 1
	v_addc_co_u32_e32 v21, vcc, 0, v37, vcc
	global_load_dwordx2 v[20:21], v[20:21], off offset:2048
.LBB38_20:
	s_or_b64 exec, exec, s[22:23]
	v_or_b32_e32 v1, 0xa00, v0
	v_cmp_gt_u32_e64 s[22:23], s30, v1
	s_and_saveexec_b64 s[24:25], s[22:23]
	s_cbranch_execz .LBB38_22
; %bb.21:
	v_add_co_u32_e32 v22, vcc, 0x5000, v36
	s_nop 1
	v_addc_co_u32_e32 v23, vcc, 0, v37, vcc
	global_load_dwordx2 v[22:23], v[22:23], off
.LBB38_22:
	s_or_b64 exec, exec, s[24:25]
	v_or_b32_e32 v1, 0xb00, v0
	v_cmp_gt_u32_e64 s[24:25], s30, v1
	s_and_saveexec_b64 s[26:27], s[24:25]
	s_cbranch_execz .LBB38_24
; %bb.23:
	v_add_co_u32_e32 v24, vcc, 0x5000, v36
	s_nop 1
	v_addc_co_u32_e32 v25, vcc, 0, v37, vcc
	global_load_dwordx2 v[24:25], v[24:25], off offset:2048
.LBB38_24:
	s_or_b64 exec, exec, s[26:27]
	v_or_b32_e32 v1, 0xc00, v0
	v_cmp_gt_u32_e64 s[26:27], s30, v1
	s_and_saveexec_b64 s[28:29], s[26:27]
	s_cbranch_execz .LBB38_26
; %bb.25:
	v_add_co_u32_e32 v26, vcc, 0x6000, v36
	s_nop 1
	v_addc_co_u32_e32 v27, vcc, 0, v37, vcc
	global_load_dwordx2 v[26:27], v[26:27], off
.LBB38_26:
	s_or_b64 exec, exec, s[28:29]
	v_or_b32_e32 v1, 0xd00, v0
	v_cmp_gt_u32_e64 s[28:29], s30, v1
	s_and_saveexec_b64 s[34:35], s[28:29]
	s_cbranch_execz .LBB38_28
; %bb.27:
	v_add_co_u32_e32 v28, vcc, 0x6000, v36
	s_nop 1
	v_addc_co_u32_e32 v29, vcc, 0, v37, vcc
	global_load_dwordx2 v[28:29], v[28:29], off offset:2048
.LBB38_28:
	s_or_b64 exec, exec, s[34:35]
	v_or_b32_e32 v1, 0xe00, v0
	v_cmp_gt_u32_e64 s[30:31], s30, v1
	s_and_saveexec_b64 s[34:35], s[30:31]
	s_cbranch_execz .LBB38_30
; %bb.29:
	v_add_co_u32_e32 v30, vcc, 0x7000, v36
	s_nop 1
	v_addc_co_u32_e32 v31, vcc, 0, v37, vcc
	global_load_dwordx2 v[30:31], v[30:31], off
.LBB38_30:
	s_or_b64 exec, exec, s[34:35]
	s_movk_i32 s33, 0x70
	v_mad_u32_u24 v1, v0, s33, v34
	s_waitcnt vmcnt(0)
	ds_write2st64_b64 v34, v[2:3], v[4:5] offset1:4
	ds_write2st64_b64 v34, v[6:7], v[8:9] offset0:8 offset1:12
	ds_write2st64_b64 v34, v[10:11], v[12:13] offset0:16 offset1:20
	;; [unrolled: 1-line block ×6, first 2 shown]
	ds_write_b64 v34, v[30:31] offset:28672
	s_waitcnt lgkmcnt(0)
	s_barrier
	ds_read2_b64 v[26:29], v1 offset1:1
	ds_read2_b64 v[22:25], v1 offset0:2 offset1:3
	ds_read2_b64 v[18:21], v1 offset0:4 offset1:5
	;; [unrolled: 1-line block ×6, first 2 shown]
	ds_read_b64 v[30:31], v1 offset:112
	s_waitcnt lgkmcnt(7)
	v_cmp_lt_u64_e32 vcc, v[26:27], v[28:29]
	v_lshrrev_b32_e32 v35, 2, v0
	v_and_b32_e32 v35, 56, v35
	v_cndmask_b32_e32 v33, v29, v27, vcc
	v_cndmask_b32_e32 v32, v28, v26, vcc
	s_waitcnt lgkmcnt(6)
	v_cmp_lt_u64_e32 vcc, v[32:33], v[22:23]
	v_add_u32_e32 v35, v34, v35
	s_waitcnt lgkmcnt(0)
	v_cndmask_b32_e32 v33, v23, v33, vcc
	v_cndmask_b32_e32 v32, v22, v32, vcc
	v_cmp_lt_u64_e32 vcc, v[32:33], v[24:25]
	s_barrier
	s_nop 0
	v_cndmask_b32_e32 v33, v25, v33, vcc
	v_cndmask_b32_e32 v32, v24, v32, vcc
	v_cmp_lt_u64_e32 vcc, v[32:33], v[18:19]
	s_nop 1
	v_cndmask_b32_e32 v33, v19, v33, vcc
	v_cndmask_b32_e32 v32, v18, v32, vcc
	v_cmp_lt_u64_e32 vcc, v[32:33], v[20:21]
	;; [unrolled: 4-line block ×11, first 2 shown]
	s_nop 1
	v_cndmask_b32_e32 v33, v31, v33, vcc
	v_cndmask_b32_e32 v32, v30, v32, vcc
	v_cmp_gt_u32_e32 vcc, 64, v0
	ds_write_b64 v35, v[32:33]
	s_waitcnt lgkmcnt(0)
	s_barrier
	s_and_saveexec_b64 s[34:35], vcc
	s_cbranch_execz .LBB38_32
; %bb.31:
	v_lshlrev_b32_e32 v35, 2, v0
	v_lshrrev_b32_e32 v36, 3, v0
	v_add_lshl_u32 v35, v36, v35, 3
	ds_read2_b64 v[36:39], v35 offset1:1
	ds_read2_b64 v[40:43], v35 offset0:2 offset1:3
	v_mbcnt_lo_u32_b32 v46, -1, 0
	v_mbcnt_hi_u32_b32 v48, -1, v46
	v_and_b32_e32 v49, 15, v48
	s_waitcnt lgkmcnt(1)
	v_cmp_lt_u64_e32 vcc, v[36:37], v[38:39]
	s_nop 1
	v_cndmask_b32_e32 v45, v39, v37, vcc
	v_cndmask_b32_e32 v44, v38, v36, vcc
	s_waitcnt lgkmcnt(0)
	v_cmp_lt_u64_e32 vcc, v[44:45], v[40:41]
	s_nop 1
	v_cndmask_b32_e32 v45, v41, v45, vcc
	v_cndmask_b32_e32 v44, v40, v44, vcc
	v_cmp_lt_u64_e32 vcc, v[44:45], v[42:43]
	s_nop 1
	v_cndmask_b32_e32 v45, v43, v45, vcc
	v_cndmask_b32_e32 v44, v42, v44, vcc
	s_nop 0
	v_mov_b32_dpp v47, v45 row_shr:1 row_mask:0xf bank_mask:0xf
	v_mov_b32_dpp v46, v44 row_shr:1 row_mask:0xf bank_mask:0xf
	v_cmp_lt_u64_e32 vcc, v[46:47], v[44:45]
	s_nop 1
	v_cndmask_b32_e32 v46, v44, v46, vcc
	v_cndmask_b32_e32 v47, v45, v47, vcc
	v_cmp_eq_u32_e32 vcc, 0, v49
	s_nop 1
	v_cndmask_b32_e32 v45, v47, v45, vcc
	v_cndmask_b32_e32 v44, v46, v44, vcc
	s_nop 0
	v_mov_b32_dpp v47, v45 row_shr:2 row_mask:0xf bank_mask:0xf
	v_mov_b32_dpp v46, v44 row_shr:2 row_mask:0xf bank_mask:0xf
	v_cmp_lt_u64_e32 vcc, v[46:47], v[44:45]
	s_nop 1
	v_cndmask_b32_e32 v46, v44, v46, vcc
	v_cndmask_b32_e32 v47, v45, v47, vcc
	v_cmp_lt_u32_e32 vcc, 1, v49
	s_nop 1
	v_cndmask_b32_e32 v45, v45, v47, vcc
	v_cndmask_b32_e32 v44, v44, v46, vcc
	s_nop 0
	v_mov_b32_dpp v47, v45 row_shr:4 row_mask:0xf bank_mask:0xf
	v_mov_b32_dpp v46, v44 row_shr:4 row_mask:0xf bank_mask:0xf
	v_cmp_lt_u64_e32 vcc, v[46:47], v[44:45]
	s_nop 1
	v_cndmask_b32_e32 v46, v44, v46, vcc
	v_cndmask_b32_e32 v47, v45, v47, vcc
	v_cmp_lt_u32_e32 vcc, 3, v49
	;; [unrolled: 11-line block ×3, first 2 shown]
	v_and_b32_e32 v49, 16, v48
	s_nop 0
	v_cndmask_b32_e32 v45, v45, v47, vcc
	v_cndmask_b32_e32 v44, v44, v46, vcc
	s_nop 0
	v_mov_b32_dpp v47, v45 row_bcast:15 row_mask:0xf bank_mask:0xf
	v_mov_b32_dpp v46, v44 row_bcast:15 row_mask:0xf bank_mask:0xf
	v_cmp_lt_u64_e32 vcc, v[46:47], v[44:45]
	s_nop 1
	v_cndmask_b32_e32 v46, v44, v46, vcc
	v_cndmask_b32_e32 v47, v45, v47, vcc
	v_cmp_eq_u32_e32 vcc, 0, v49
	s_nop 1
	v_cndmask_b32_e32 v45, v47, v45, vcc
	v_cndmask_b32_e32 v44, v46, v44, vcc
	s_nop 0
	v_mov_b32_dpp v47, v45 row_bcast:31 row_mask:0xf bank_mask:0xf
	v_mov_b32_dpp v46, v44 row_bcast:31 row_mask:0xf bank_mask:0xf
	v_cmp_lt_u64_e32 vcc, v[46:47], v[44:45]
	s_nop 1
	v_cndmask_b32_e32 v47, v45, v47, vcc
	v_cndmask_b32_e32 v46, v44, v46, vcc
	v_cmp_lt_u32_e32 vcc, 31, v48
	s_nop 1
	v_cndmask_b32_e32 v44, v44, v46, vcc
	v_cndmask_b32_e32 v45, v45, v47, vcc
	v_add_u32_e32 v46, -1, v48
	v_and_b32_e32 v47, 64, v48
	v_cmp_lt_i32_e32 vcc, v46, v47
	s_nop 1
	v_cndmask_b32_e32 v46, v46, v48, vcc
	v_lshlrev_b32_e32 v46, 2, v46
	ds_bpermute_b32 v44, v46, v44
	ds_bpermute_b32 v45, v46, v45
	s_waitcnt lgkmcnt(0)
	v_cmp_lt_u64_e32 vcc, v[44:45], v[36:37]
	s_nop 1
	v_cndmask_b32_e32 v36, v36, v44, vcc
	v_cndmask_b32_e32 v37, v37, v45, vcc
	v_cmp_eq_u32_e32 vcc, 0, v0
	s_nop 1
	v_cndmask_b32_e32 v37, v37, v33, vcc
	v_cndmask_b32_e32 v36, v36, v32, vcc
	v_cmp_lt_u64_e32 vcc, v[36:37], v[38:39]
	s_nop 1
	v_cndmask_b32_e32 v39, v39, v37, vcc
	v_cndmask_b32_e32 v38, v38, v36, vcc
	v_cmp_lt_u64_e32 vcc, v[38:39], v[40:41]
	ds_write2_b64 v35, v[36:37], v[38:39] offset1:1
	s_nop 0
	v_cndmask_b32_e32 v37, v41, v39, vcc
	v_cndmask_b32_e32 v36, v40, v38, vcc
	v_cmp_lt_u64_e32 vcc, v[36:37], v[42:43]
	s_nop 1
	v_cndmask_b32_e32 v39, v43, v37, vcc
	v_cndmask_b32_e32 v38, v42, v36, vcc
	ds_write2_b64 v35, v[36:37], v[38:39] offset0:2 offset1:3
.LBB38_32:
	s_or_b64 exec, exec, s[34:35]
	v_cmp_eq_u32_e32 vcc, 0, v0
	v_cmp_ne_u32_e64 s[34:35], 0, v0
	s_waitcnt lgkmcnt(0)
	s_barrier
	s_and_saveexec_b64 s[36:37], s[34:35]
	s_cbranch_execz .LBB38_34
; %bb.33:
	v_add_u32_e32 v32, -1, v0
	v_lshrrev_b32_e32 v33, 5, v32
	v_add_lshl_u32 v32, v33, v32, 3
	ds_read_b64 v[32:33], v32
.LBB38_34:
	s_or_b64 exec, exec, s[36:37]
	s_load_dwordx2 s[34:35], s[0:1], 0x18
	s_waitcnt lgkmcnt(0)
	v_cmp_lt_u64_e64 s[0:1], v[32:33], v[26:27]
	s_barrier
	s_nop 0
	v_cndmask_b32_e64 v32, v26, v32, s[0:1]
	v_cndmask_b32_e64 v33, v27, v33, s[0:1]
	v_cndmask_b32_e32 v27, v33, v27, vcc
	v_cndmask_b32_e32 v26, v32, v26, vcc
	v_cmp_lt_u64_e32 vcc, v[26:27], v[28:29]
	s_movk_i32 s0, 0xff90
	s_nop 0
	v_cndmask_b32_e32 v29, v29, v27, vcc
	v_cndmask_b32_e32 v28, v28, v26, vcc
	v_cmp_lt_u64_e32 vcc, v[28:29], v[22:23]
	v_mov_b32_e32 v35, 0
	s_nop 0
	v_cndmask_b32_e32 v23, v23, v29, vcc
	v_cndmask_b32_e32 v22, v22, v28, vcc
	v_cmp_lt_u64_e32 vcc, v[22:23], v[24:25]
	s_nop 1
	v_cndmask_b32_e32 v25, v25, v23, vcc
	v_cndmask_b32_e32 v24, v24, v22, vcc
	v_cmp_lt_u64_e32 vcc, v[24:25], v[18:19]
	;; [unrolled: 4-line block ×12, first 2 shown]
	s_nop 1
	v_cndmask_b32_e32 v31, v31, v5, vcc
	v_cndmask_b32_e32 v30, v30, v4, vcc
	ds_write2_b64 v1, v[26:27], v[28:29] offset1:1
	ds_write2_b64 v1, v[22:23], v[24:25] offset0:2 offset1:3
	ds_write2_b64 v1, v[18:19], v[20:21] offset0:4 offset1:5
	;; [unrolled: 1-line block ×6, first 2 shown]
	ds_write_b64 v1, v[30:31] offset:112
	v_mad_i32_i24 v24, v0, s0, v1
	s_waitcnt lgkmcnt(0)
	s_barrier
	ds_read2st64_b64 v[20:23], v24 offset0:4 offset1:8
	ds_read2st64_b64 v[16:19], v24 offset0:12 offset1:20
	;; [unrolled: 1-line block ×6, first 2 shown]
	ds_read_b64 v[28:29], v34 offset:24576
	ds_read_b64 v[24:25], v24 offset:28672
	v_lshl_add_u64 v[26:27], s[34:35], 0, v[34:35]
	s_and_saveexec_b64 s[0:1], s[4:5]
	s_cbranch_execnz .LBB38_50
; %bb.35:
	s_or_b64 exec, exec, s[0:1]
	s_and_saveexec_b64 s[0:1], s[2:3]
	s_cbranch_execnz .LBB38_51
.LBB38_36:
	s_or_b64 exec, exec, s[0:1]
	s_and_saveexec_b64 s[0:1], s[6:7]
	s_cbranch_execnz .LBB38_52
.LBB38_37:
	s_or_b64 exec, exec, s[0:1]
	s_and_saveexec_b64 s[0:1], s[8:9]
	s_cbranch_execnz .LBB38_53
.LBB38_38:
	s_or_b64 exec, exec, s[0:1]
	s_and_saveexec_b64 s[0:1], s[10:11]
	s_cbranch_execnz .LBB38_54
.LBB38_39:
	s_or_b64 exec, exec, s[0:1]
	s_and_saveexec_b64 s[0:1], s[12:13]
	s_cbranch_execnz .LBB38_55
.LBB38_40:
	s_or_b64 exec, exec, s[0:1]
	s_and_saveexec_b64 s[0:1], s[14:15]
	s_cbranch_execnz .LBB38_56
.LBB38_41:
	s_or_b64 exec, exec, s[0:1]
	s_and_saveexec_b64 s[0:1], s[16:17]
	s_cbranch_execnz .LBB38_57
.LBB38_42:
	s_or_b64 exec, exec, s[0:1]
	s_and_saveexec_b64 s[0:1], s[18:19]
	s_cbranch_execnz .LBB38_58
.LBB38_43:
	s_or_b64 exec, exec, s[0:1]
	s_and_saveexec_b64 s[0:1], s[20:21]
	s_cbranch_execnz .LBB38_59
.LBB38_44:
	s_or_b64 exec, exec, s[0:1]
	s_and_saveexec_b64 s[0:1], s[22:23]
	s_cbranch_execnz .LBB38_60
.LBB38_45:
	s_or_b64 exec, exec, s[0:1]
	s_and_saveexec_b64 s[0:1], s[24:25]
	s_cbranch_execnz .LBB38_61
.LBB38_46:
	s_or_b64 exec, exec, s[0:1]
	s_and_saveexec_b64 s[0:1], s[26:27]
	s_cbranch_execnz .LBB38_62
.LBB38_47:
	s_or_b64 exec, exec, s[0:1]
	s_and_saveexec_b64 s[0:1], s[28:29]
	s_cbranch_execnz .LBB38_63
.LBB38_48:
	s_or_b64 exec, exec, s[0:1]
	s_and_saveexec_b64 s[0:1], s[30:31]
	s_cbranch_execnz .LBB38_64
.LBB38_49:
	s_endpgm
.LBB38_50:
	ds_read_b64 v[30:31], v34
	s_waitcnt lgkmcnt(0)
	global_store_dwordx2 v[26:27], v[30:31], off
	s_or_b64 exec, exec, s[0:1]
	s_and_saveexec_b64 s[0:1], s[2:3]
	s_cbranch_execz .LBB38_36
.LBB38_51:
	s_waitcnt lgkmcnt(7)
	global_store_dwordx2 v[26:27], v[20:21], off offset:2048
	s_or_b64 exec, exec, s[0:1]
	s_and_saveexec_b64 s[0:1], s[6:7]
	s_cbranch_execz .LBB38_37
.LBB38_52:
	s_waitcnt lgkmcnt(7)
	v_add_co_u32_e32 v20, vcc, 0x1000, v26
	s_nop 1
	v_addc_co_u32_e32 v21, vcc, 0, v27, vcc
	global_store_dwordx2 v[20:21], v[22:23], off
	s_or_b64 exec, exec, s[0:1]
	s_and_saveexec_b64 s[0:1], s[8:9]
	s_cbranch_execz .LBB38_38
.LBB38_53:
	s_waitcnt lgkmcnt(7)
	v_add_co_u32_e32 v20, vcc, 0x1000, v26
	s_nop 1
	v_addc_co_u32_e32 v21, vcc, 0, v27, vcc
	s_waitcnt lgkmcnt(6)
	global_store_dwordx2 v[20:21], v[16:17], off offset:2048
	s_or_b64 exec, exec, s[0:1]
	s_and_saveexec_b64 s[0:1], s[10:11]
	s_cbranch_execz .LBB38_39
.LBB38_54:
	s_waitcnt lgkmcnt(6)
	v_add_co_u32_e32 v16, vcc, 0x2000, v26
	s_nop 1
	v_addc_co_u32_e32 v17, vcc, 0, v27, vcc
	s_waitcnt lgkmcnt(5)
	global_store_dwordx2 v[16:17], v[8:9], off
	s_or_b64 exec, exec, s[0:1]
	s_and_saveexec_b64 s[0:1], s[12:13]
	s_cbranch_execz .LBB38_40
.LBB38_55:
	s_waitcnt lgkmcnt(5)
	v_add_co_u32_e32 v8, vcc, 0x2000, v26
	s_nop 1
	v_addc_co_u32_e32 v9, vcc, 0, v27, vcc
	global_store_dwordx2 v[8:9], v[18:19], off offset:2048
	s_or_b64 exec, exec, s[0:1]
	s_and_saveexec_b64 s[0:1], s[14:15]
	s_cbranch_execz .LBB38_41
.LBB38_56:
	s_waitcnt lgkmcnt(5)
	v_add_co_u32_e32 v8, vcc, 0x3000, v26
	s_nop 1
	v_addc_co_u32_e32 v9, vcc, 0, v27, vcc
	s_waitcnt lgkmcnt(4)
	global_store_dwordx2 v[8:9], v[12:13], off
	s_or_b64 exec, exec, s[0:1]
	s_and_saveexec_b64 s[0:1], s[16:17]
	s_cbranch_execz .LBB38_42
.LBB38_57:
	s_waitcnt lgkmcnt(5)
	v_add_co_u32_e32 v8, vcc, 0x3000, v26
	s_nop 1
	v_addc_co_u32_e32 v9, vcc, 0, v27, vcc
	s_waitcnt lgkmcnt(4)
	global_store_dwordx2 v[8:9], v[14:15], off offset:2048
	s_or_b64 exec, exec, s[0:1]
	s_and_saveexec_b64 s[0:1], s[18:19]
	s_cbranch_execz .LBB38_43
.LBB38_58:
	s_waitcnt lgkmcnt(5)
	v_add_co_u32_e32 v8, vcc, 0x4000, v26
	s_nop 1
	v_addc_co_u32_e32 v9, vcc, 0, v27, vcc
	global_store_dwordx2 v[8:9], v[10:11], off
	s_or_b64 exec, exec, s[0:1]
	s_and_saveexec_b64 s[0:1], s[20:21]
	s_cbranch_execz .LBB38_44
.LBB38_59:
	s_waitcnt lgkmcnt(5)
	v_add_co_u32_e32 v8, vcc, 0x4000, v26
	s_nop 1
	v_addc_co_u32_e32 v9, vcc, 0, v27, vcc
	s_waitcnt lgkmcnt(3)
	global_store_dwordx2 v[8:9], v[4:5], off offset:2048
	s_or_b64 exec, exec, s[0:1]
	s_and_saveexec_b64 s[0:1], s[22:23]
	s_cbranch_execz .LBB38_45
.LBB38_60:
	s_waitcnt lgkmcnt(3)
	v_add_co_u32_e32 v4, vcc, 0x5000, v26
	s_nop 1
	v_addc_co_u32_e32 v5, vcc, 0, v27, vcc
	global_store_dwordx2 v[4:5], v[6:7], off
	s_or_b64 exec, exec, s[0:1]
	s_and_saveexec_b64 s[0:1], s[24:25]
	s_cbranch_execz .LBB38_46
.LBB38_61:
	s_waitcnt lgkmcnt(3)
	v_add_co_u32_e32 v4, vcc, 0x5000, v26
	s_nop 1
	v_addc_co_u32_e32 v5, vcc, 0, v27, vcc
	s_waitcnt lgkmcnt(2)
	global_store_dwordx2 v[4:5], v[0:1], off offset:2048
	s_or_b64 exec, exec, s[0:1]
	s_and_saveexec_b64 s[0:1], s[26:27]
	s_cbranch_execz .LBB38_47
.LBB38_62:
	s_waitcnt lgkmcnt(2)
	v_add_co_u32_e32 v0, vcc, 0x6000, v26
	s_nop 1
	v_addc_co_u32_e32 v1, vcc, 0, v27, vcc
	s_waitcnt lgkmcnt(1)
	global_store_dwordx2 v[0:1], v[28:29], off
	s_or_b64 exec, exec, s[0:1]
	s_and_saveexec_b64 s[0:1], s[28:29]
	s_cbranch_execz .LBB38_48
.LBB38_63:
	s_waitcnt lgkmcnt(2)
	v_add_co_u32_e32 v0, vcc, 0x6000, v26
	s_nop 1
	v_addc_co_u32_e32 v1, vcc, 0, v27, vcc
	global_store_dwordx2 v[0:1], v[2:3], off offset:2048
	s_or_b64 exec, exec, s[0:1]
	s_and_saveexec_b64 s[0:1], s[30:31]
	s_cbranch_execz .LBB38_49
.LBB38_64:
	s_waitcnt lgkmcnt(2)
	v_add_co_u32_e32 v0, vcc, 0x7000, v26
	s_nop 1
	v_addc_co_u32_e32 v1, vcc, 0, v27, vcc
	s_waitcnt lgkmcnt(0)
	global_store_dwordx2 v[0:1], v[24:25], off
	s_endpgm
	.section	.rodata,"a",@progbits
	.p2align	6, 0x0
	.amdhsa_kernel _ZN7rocprim6detail18single_scan_kernelILb0ENS0_19wrapped_scan_configINS_14default_configEyEEPyS5_N6hipcub3MinEyyEEvT1_mT4_T2_T3_
		.amdhsa_group_segment_fixed_size 30720
		.amdhsa_private_segment_fixed_size 0
		.amdhsa_kernarg_size 36
		.amdhsa_user_sgpr_count 2
		.amdhsa_user_sgpr_dispatch_ptr 0
		.amdhsa_user_sgpr_queue_ptr 0
		.amdhsa_user_sgpr_kernarg_segment_ptr 1
		.amdhsa_user_sgpr_dispatch_id 0
		.amdhsa_user_sgpr_kernarg_preload_length 0
		.amdhsa_user_sgpr_kernarg_preload_offset 0
		.amdhsa_user_sgpr_private_segment_size 0
		.amdhsa_uses_dynamic_stack 0
		.amdhsa_enable_private_segment 0
		.amdhsa_system_sgpr_workgroup_id_x 1
		.amdhsa_system_sgpr_workgroup_id_y 0
		.amdhsa_system_sgpr_workgroup_id_z 0
		.amdhsa_system_sgpr_workgroup_info 0
		.amdhsa_system_vgpr_workitem_id 0
		.amdhsa_next_free_vgpr 50
		.amdhsa_next_free_sgpr 68
		.amdhsa_accum_offset 52
		.amdhsa_reserve_vcc 1
		.amdhsa_float_round_mode_32 0
		.amdhsa_float_round_mode_16_64 0
		.amdhsa_float_denorm_mode_32 3
		.amdhsa_float_denorm_mode_16_64 3
		.amdhsa_dx10_clamp 1
		.amdhsa_ieee_mode 1
		.amdhsa_fp16_overflow 0
		.amdhsa_tg_split 0
		.amdhsa_exception_fp_ieee_invalid_op 0
		.amdhsa_exception_fp_denorm_src 0
		.amdhsa_exception_fp_ieee_div_zero 0
		.amdhsa_exception_fp_ieee_overflow 0
		.amdhsa_exception_fp_ieee_underflow 0
		.amdhsa_exception_fp_ieee_inexact 0
		.amdhsa_exception_int_div_zero 0
	.end_amdhsa_kernel
	.section	.text._ZN7rocprim6detail18single_scan_kernelILb0ENS0_19wrapped_scan_configINS_14default_configEyEEPyS5_N6hipcub3MinEyyEEvT1_mT4_T2_T3_,"axG",@progbits,_ZN7rocprim6detail18single_scan_kernelILb0ENS0_19wrapped_scan_configINS_14default_configEyEEPyS5_N6hipcub3MinEyyEEvT1_mT4_T2_T3_,comdat
.Lfunc_end38:
	.size	_ZN7rocprim6detail18single_scan_kernelILb0ENS0_19wrapped_scan_configINS_14default_configEyEEPyS5_N6hipcub3MinEyyEEvT1_mT4_T2_T3_, .Lfunc_end38-_ZN7rocprim6detail18single_scan_kernelILb0ENS0_19wrapped_scan_configINS_14default_configEyEEPyS5_N6hipcub3MinEyyEEvT1_mT4_T2_T3_
                                        ; -- End function
	.section	.AMDGPU.csdata,"",@progbits
; Kernel info:
; codeLenInByte = 3332
; NumSgprs: 74
; NumVgprs: 50
; NumAgprs: 0
; TotalNumVgprs: 50
; ScratchSize: 0
; MemoryBound: 1
; FloatMode: 240
; IeeeMode: 1
; LDSByteSize: 30720 bytes/workgroup (compile time only)
; SGPRBlocks: 9
; VGPRBlocks: 6
; NumSGPRsForWavesPerEU: 74
; NumVGPRsForWavesPerEU: 50
; AccumOffset: 52
; Occupancy: 2
; WaveLimiterHint : 0
; COMPUTE_PGM_RSRC2:SCRATCH_EN: 0
; COMPUTE_PGM_RSRC2:USER_SGPR: 2
; COMPUTE_PGM_RSRC2:TRAP_HANDLER: 0
; COMPUTE_PGM_RSRC2:TGID_X_EN: 1
; COMPUTE_PGM_RSRC2:TGID_Y_EN: 0
; COMPUTE_PGM_RSRC2:TGID_Z_EN: 0
; COMPUTE_PGM_RSRC2:TIDIG_COMP_CNT: 0
; COMPUTE_PGM_RSRC3_GFX90A:ACCUM_OFFSET: 12
; COMPUTE_PGM_RSRC3_GFX90A:TG_SPLIT: 0
	.section	.text._ZN7rocprim6detail31init_lookback_scan_state_kernelINS0_19lookback_scan_stateINS_5tupleIJibEEELb1ELb1EEEEEvT_jjPNS6_10value_typeE,"axG",@progbits,_ZN7rocprim6detail31init_lookback_scan_state_kernelINS0_19lookback_scan_stateINS_5tupleIJibEEELb1ELb1EEEEEvT_jjPNS6_10value_typeE,comdat
	.protected	_ZN7rocprim6detail31init_lookback_scan_state_kernelINS0_19lookback_scan_stateINS_5tupleIJibEEELb1ELb1EEEEEvT_jjPNS6_10value_typeE ; -- Begin function _ZN7rocprim6detail31init_lookback_scan_state_kernelINS0_19lookback_scan_stateINS_5tupleIJibEEELb1ELb1EEEEEvT_jjPNS6_10value_typeE
	.globl	_ZN7rocprim6detail31init_lookback_scan_state_kernelINS0_19lookback_scan_stateINS_5tupleIJibEEELb1ELb1EEEEEvT_jjPNS6_10value_typeE
	.p2align	8
	.type	_ZN7rocprim6detail31init_lookback_scan_state_kernelINS0_19lookback_scan_stateINS_5tupleIJibEEELb1ELb1EEEEEvT_jjPNS6_10value_typeE,@function
_ZN7rocprim6detail31init_lookback_scan_state_kernelINS0_19lookback_scan_stateINS_5tupleIJibEEELb1ELb1EEEEEvT_jjPNS6_10value_typeE: ; @_ZN7rocprim6detail31init_lookback_scan_state_kernelINS0_19lookback_scan_stateINS_5tupleIJibEEELb1ELb1EEEEEvT_jjPNS6_10value_typeE
; %bb.0:
	s_load_dword s3, s[0:1], 0x24
	s_load_dwordx2 s[8:9], s[0:1], 0x10
	s_load_dwordx4 s[4:7], s[0:1], 0x0
	s_waitcnt lgkmcnt(0)
	s_and_b32 s0, s3, 0xffff
	s_mul_i32 s2, s2, s0
	s_cmp_eq_u64 s[8:9], 0
	v_add_u32_e32 v0, s2, v0
	s_cbranch_scc1 .LBB39_10
; %bb.1:
	s_cmp_lt_u32 s7, s6
	s_cselect_b32 s0, s7, 0
	s_mov_b32 s3, 0
	v_cmp_eq_u32_e32 vcc, s0, v0
	s_and_saveexec_b64 s[0:1], vcc
	s_cbranch_execz .LBB39_9
; %bb.2:
	s_add_i32 s2, s7, 64
	s_lshl_b64 s[2:3], s[2:3], 4
	s_add_u32 s12, s4, s2
	s_addc_u32 s13, s5, s3
	v_mov_b64_e32 v[2:3], s[12:13]
	;;#ASMSTART
	global_load_dwordx4 v[2:5], v[2:3] off sc1	
s_waitcnt vmcnt(0)
	;;#ASMEND
	v_mov_b32_e32 v7, 0
	v_and_b32_e32 v6, 0xff, v4
	s_mov_b64 s[10:11], 0
	v_cmp_eq_u64_e32 vcc, 0, v[6:7]
	s_and_saveexec_b64 s[2:3], vcc
	s_cbranch_execz .LBB39_8
; %bb.3:
	s_mov_b32 s7, 1
	v_mov_b64_e32 v[8:9], s[12:13]
.LBB39_4:                               ; =>This Loop Header: Depth=1
                                        ;     Child Loop BB39_5 Depth 2
	s_max_u32 s12, s7, 1
.LBB39_5:                               ;   Parent Loop BB39_4 Depth=1
                                        ; =>  This Inner Loop Header: Depth=2
	s_add_i32 s12, s12, -1
	s_cmp_eq_u32 s12, 0
	s_sleep 1
	s_cbranch_scc0 .LBB39_5
; %bb.6:                                ;   in Loop: Header=BB39_4 Depth=1
	s_cmp_lt_u32 s7, 32
	s_cselect_b64 s[12:13], -1, 0
	s_cmp_lg_u64 s[12:13], 0
	;;#ASMSTART
	global_load_dwordx4 v[2:5], v[8:9] off sc1	
s_waitcnt vmcnt(0)
	;;#ASMEND
	s_addc_u32 s7, s7, 0
	v_and_b32_e32 v6, 0xff, v4
	v_cmp_ne_u64_e32 vcc, 0, v[6:7]
	s_or_b64 s[10:11], vcc, s[10:11]
	s_andn2_b64 exec, exec, s[10:11]
	s_cbranch_execnz .LBB39_4
; %bb.7:
	s_or_b64 exec, exec, s[10:11]
.LBB39_8:
	s_or_b64 exec, exec, s[2:3]
	v_mov_b32_e32 v1, 0
	global_store_dword v1, v2, s[8:9]
	global_store_byte v1, v3, s[8:9] offset:4
.LBB39_9:
	s_or_b64 exec, exec, s[0:1]
.LBB39_10:
	v_cmp_gt_u32_e32 vcc, s6, v0
	s_and_saveexec_b64 s[0:1], vcc
	s_cbranch_execnz .LBB39_13
; %bb.11:
	s_or_b64 exec, exec, s[0:1]
	v_cmp_gt_u32_e32 vcc, 64, v0
	s_and_saveexec_b64 s[0:1], vcc
	s_cbranch_execnz .LBB39_14
.LBB39_12:
	s_endpgm
.LBB39_13:
	v_add_u32_e32 v2, 64, v0
	v_mov_b32_e32 v3, 0
	v_lshl_add_u64 v[6:7], v[2:3], 4, s[4:5]
	v_mov_b32_e32 v2, v3
	v_mov_b32_e32 v4, v3
	v_mov_b32_e32 v5, v3
	global_store_dwordx4 v[6:7], v[2:5], off
	s_or_b64 exec, exec, s[0:1]
	v_cmp_gt_u32_e32 vcc, 64, v0
	s_and_saveexec_b64 s[0:1], vcc
	s_cbranch_execz .LBB39_12
.LBB39_14:
	v_mov_b32_e32 v1, 0
	v_lshl_add_u64 v[4:5], v[0:1], 4, s[4:5]
	v_mov_b32_e32 v2, 0xff
	v_mov_b32_e32 v0, v1
	;; [unrolled: 1-line block ×3, first 2 shown]
	global_store_dwordx4 v[4:5], v[0:3], off
	s_endpgm
	.section	.rodata,"a",@progbits
	.p2align	6, 0x0
	.amdhsa_kernel _ZN7rocprim6detail31init_lookback_scan_state_kernelINS0_19lookback_scan_stateINS_5tupleIJibEEELb1ELb1EEEEEvT_jjPNS6_10value_typeE
		.amdhsa_group_segment_fixed_size 0
		.amdhsa_private_segment_fixed_size 0
		.amdhsa_kernarg_size 280
		.amdhsa_user_sgpr_count 2
		.amdhsa_user_sgpr_dispatch_ptr 0
		.amdhsa_user_sgpr_queue_ptr 0
		.amdhsa_user_sgpr_kernarg_segment_ptr 1
		.amdhsa_user_sgpr_dispatch_id 0
		.amdhsa_user_sgpr_kernarg_preload_length 0
		.amdhsa_user_sgpr_kernarg_preload_offset 0
		.amdhsa_user_sgpr_private_segment_size 0
		.amdhsa_uses_dynamic_stack 0
		.amdhsa_enable_private_segment 0
		.amdhsa_system_sgpr_workgroup_id_x 1
		.amdhsa_system_sgpr_workgroup_id_y 0
		.amdhsa_system_sgpr_workgroup_id_z 0
		.amdhsa_system_sgpr_workgroup_info 0
		.amdhsa_system_vgpr_workitem_id 0
		.amdhsa_next_free_vgpr 10
		.amdhsa_next_free_sgpr 14
		.amdhsa_accum_offset 12
		.amdhsa_reserve_vcc 1
		.amdhsa_float_round_mode_32 0
		.amdhsa_float_round_mode_16_64 0
		.amdhsa_float_denorm_mode_32 3
		.amdhsa_float_denorm_mode_16_64 3
		.amdhsa_dx10_clamp 1
		.amdhsa_ieee_mode 1
		.amdhsa_fp16_overflow 0
		.amdhsa_tg_split 0
		.amdhsa_exception_fp_ieee_invalid_op 0
		.amdhsa_exception_fp_denorm_src 0
		.amdhsa_exception_fp_ieee_div_zero 0
		.amdhsa_exception_fp_ieee_overflow 0
		.amdhsa_exception_fp_ieee_underflow 0
		.amdhsa_exception_fp_ieee_inexact 0
		.amdhsa_exception_int_div_zero 0
	.end_amdhsa_kernel
	.section	.text._ZN7rocprim6detail31init_lookback_scan_state_kernelINS0_19lookback_scan_stateINS_5tupleIJibEEELb1ELb1EEEEEvT_jjPNS6_10value_typeE,"axG",@progbits,_ZN7rocprim6detail31init_lookback_scan_state_kernelINS0_19lookback_scan_stateINS_5tupleIJibEEELb1ELb1EEEEEvT_jjPNS6_10value_typeE,comdat
.Lfunc_end39:
	.size	_ZN7rocprim6detail31init_lookback_scan_state_kernelINS0_19lookback_scan_stateINS_5tupleIJibEEELb1ELb1EEEEEvT_jjPNS6_10value_typeE, .Lfunc_end39-_ZN7rocprim6detail31init_lookback_scan_state_kernelINS0_19lookback_scan_stateINS_5tupleIJibEEELb1ELb1EEEEEvT_jjPNS6_10value_typeE
                                        ; -- End function
	.section	.AMDGPU.csdata,"",@progbits
; Kernel info:
; codeLenInByte = 380
; NumSgprs: 20
; NumVgprs: 10
; NumAgprs: 0
; TotalNumVgprs: 10
; ScratchSize: 0
; MemoryBound: 0
; FloatMode: 240
; IeeeMode: 1
; LDSByteSize: 0 bytes/workgroup (compile time only)
; SGPRBlocks: 2
; VGPRBlocks: 1
; NumSGPRsForWavesPerEU: 20
; NumVGPRsForWavesPerEU: 10
; AccumOffset: 12
; Occupancy: 8
; WaveLimiterHint : 0
; COMPUTE_PGM_RSRC2:SCRATCH_EN: 0
; COMPUTE_PGM_RSRC2:USER_SGPR: 2
; COMPUTE_PGM_RSRC2:TRAP_HANDLER: 0
; COMPUTE_PGM_RSRC2:TGID_X_EN: 1
; COMPUTE_PGM_RSRC2:TGID_Y_EN: 0
; COMPUTE_PGM_RSRC2:TGID_Z_EN: 0
; COMPUTE_PGM_RSRC2:TIDIG_COMP_CNT: 0
; COMPUTE_PGM_RSRC3_GFX90A:ACCUM_OFFSET: 2
; COMPUTE_PGM_RSRC3_GFX90A:TG_SPLIT: 0
	.section	.text._ZN7rocprim6detail31init_lookback_scan_state_kernelINS0_19lookback_scan_stateINS_5tupleIJibEEELb0ELb1EEEEEvT_jjPNS6_10value_typeE,"axG",@progbits,_ZN7rocprim6detail31init_lookback_scan_state_kernelINS0_19lookback_scan_stateINS_5tupleIJibEEELb0ELb1EEEEEvT_jjPNS6_10value_typeE,comdat
	.protected	_ZN7rocprim6detail31init_lookback_scan_state_kernelINS0_19lookback_scan_stateINS_5tupleIJibEEELb0ELb1EEEEEvT_jjPNS6_10value_typeE ; -- Begin function _ZN7rocprim6detail31init_lookback_scan_state_kernelINS0_19lookback_scan_stateINS_5tupleIJibEEELb0ELb1EEEEEvT_jjPNS6_10value_typeE
	.globl	_ZN7rocprim6detail31init_lookback_scan_state_kernelINS0_19lookback_scan_stateINS_5tupleIJibEEELb0ELb1EEEEEvT_jjPNS6_10value_typeE
	.p2align	8
	.type	_ZN7rocprim6detail31init_lookback_scan_state_kernelINS0_19lookback_scan_stateINS_5tupleIJibEEELb0ELb1EEEEEvT_jjPNS6_10value_typeE,@function
_ZN7rocprim6detail31init_lookback_scan_state_kernelINS0_19lookback_scan_stateINS_5tupleIJibEEELb0ELb1EEEEEvT_jjPNS6_10value_typeE: ; @_ZN7rocprim6detail31init_lookback_scan_state_kernelINS0_19lookback_scan_stateINS_5tupleIJibEEELb0ELb1EEEEEvT_jjPNS6_10value_typeE
; %bb.0:
	s_load_dword s3, s[0:1], 0x24
	s_load_dwordx2 s[8:9], s[0:1], 0x10
	s_load_dwordx4 s[4:7], s[0:1], 0x0
	s_waitcnt lgkmcnt(0)
	s_and_b32 s0, s3, 0xffff
	s_mul_i32 s2, s2, s0
	s_cmp_eq_u64 s[8:9], 0
	v_add_u32_e32 v0, s2, v0
	s_cbranch_scc1 .LBB40_8
; %bb.1:
	s_cmp_lt_u32 s7, s6
	s_cselect_b32 s0, s7, 0
	s_mov_b32 s3, 0
	v_cmp_eq_u32_e32 vcc, s0, v0
	s_and_saveexec_b64 s[0:1], vcc
	s_cbranch_execz .LBB40_7
; %bb.2:
	s_add_i32 s2, s7, 64
	s_lshl_b64 s[2:3], s[2:3], 4
	s_add_u32 s12, s4, s2
	s_addc_u32 s13, s5, s3
	v_mov_b64_e32 v[2:3], s[12:13]
	;;#ASMSTART
	global_load_dwordx4 v[2:5], v[2:3] off sc1	
s_waitcnt vmcnt(0)
	;;#ASMEND
	v_mov_b32_e32 v7, 0
	v_and_b32_e32 v6, 0xff, v4
	s_mov_b64 s[10:11], 0
	v_cmp_eq_u64_e32 vcc, 0, v[6:7]
	s_and_saveexec_b64 s[2:3], vcc
	s_cbranch_execz .LBB40_6
; %bb.3:
	v_mov_b64_e32 v[8:9], s[12:13]
.LBB40_4:                               ; =>This Inner Loop Header: Depth=1
	;;#ASMSTART
	global_load_dwordx4 v[2:5], v[8:9] off sc1	
s_waitcnt vmcnt(0)
	;;#ASMEND
	s_nop 0
	v_and_b32_e32 v6, 0xff, v4
	v_cmp_ne_u64_e32 vcc, 0, v[6:7]
	s_or_b64 s[10:11], vcc, s[10:11]
	s_andn2_b64 exec, exec, s[10:11]
	s_cbranch_execnz .LBB40_4
; %bb.5:
	s_or_b64 exec, exec, s[10:11]
.LBB40_6:
	s_or_b64 exec, exec, s[2:3]
	v_mov_b32_e32 v1, 0
	global_store_dword v1, v2, s[8:9]
	global_store_byte v1, v3, s[8:9] offset:4
.LBB40_7:
	s_or_b64 exec, exec, s[0:1]
.LBB40_8:
	v_cmp_gt_u32_e32 vcc, s6, v0
	s_and_saveexec_b64 s[0:1], vcc
	s_cbranch_execnz .LBB40_11
; %bb.9:
	s_or_b64 exec, exec, s[0:1]
	v_cmp_gt_u32_e32 vcc, 64, v0
	s_and_saveexec_b64 s[0:1], vcc
	s_cbranch_execnz .LBB40_12
.LBB40_10:
	s_endpgm
.LBB40_11:
	v_add_u32_e32 v2, 64, v0
	v_mov_b32_e32 v3, 0
	v_lshl_add_u64 v[6:7], v[2:3], 4, s[4:5]
	v_mov_b32_e32 v2, v3
	v_mov_b32_e32 v4, v3
	;; [unrolled: 1-line block ×3, first 2 shown]
	global_store_dwordx4 v[6:7], v[2:5], off
	s_or_b64 exec, exec, s[0:1]
	v_cmp_gt_u32_e32 vcc, 64, v0
	s_and_saveexec_b64 s[0:1], vcc
	s_cbranch_execz .LBB40_10
.LBB40_12:
	v_mov_b32_e32 v1, 0
	v_lshl_add_u64 v[4:5], v[0:1], 4, s[4:5]
	v_mov_b32_e32 v2, 0xff
	v_mov_b32_e32 v0, v1
	;; [unrolled: 1-line block ×3, first 2 shown]
	global_store_dwordx4 v[4:5], v[0:3], off
	s_endpgm
	.section	.rodata,"a",@progbits
	.p2align	6, 0x0
	.amdhsa_kernel _ZN7rocprim6detail31init_lookback_scan_state_kernelINS0_19lookback_scan_stateINS_5tupleIJibEEELb0ELb1EEEEEvT_jjPNS6_10value_typeE
		.amdhsa_group_segment_fixed_size 0
		.amdhsa_private_segment_fixed_size 0
		.amdhsa_kernarg_size 280
		.amdhsa_user_sgpr_count 2
		.amdhsa_user_sgpr_dispatch_ptr 0
		.amdhsa_user_sgpr_queue_ptr 0
		.amdhsa_user_sgpr_kernarg_segment_ptr 1
		.amdhsa_user_sgpr_dispatch_id 0
		.amdhsa_user_sgpr_kernarg_preload_length 0
		.amdhsa_user_sgpr_kernarg_preload_offset 0
		.amdhsa_user_sgpr_private_segment_size 0
		.amdhsa_uses_dynamic_stack 0
		.amdhsa_enable_private_segment 0
		.amdhsa_system_sgpr_workgroup_id_x 1
		.amdhsa_system_sgpr_workgroup_id_y 0
		.amdhsa_system_sgpr_workgroup_id_z 0
		.amdhsa_system_sgpr_workgroup_info 0
		.amdhsa_system_vgpr_workitem_id 0
		.amdhsa_next_free_vgpr 10
		.amdhsa_next_free_sgpr 14
		.amdhsa_accum_offset 12
		.amdhsa_reserve_vcc 1
		.amdhsa_float_round_mode_32 0
		.amdhsa_float_round_mode_16_64 0
		.amdhsa_float_denorm_mode_32 3
		.amdhsa_float_denorm_mode_16_64 3
		.amdhsa_dx10_clamp 1
		.amdhsa_ieee_mode 1
		.amdhsa_fp16_overflow 0
		.amdhsa_tg_split 0
		.amdhsa_exception_fp_ieee_invalid_op 0
		.amdhsa_exception_fp_denorm_src 0
		.amdhsa_exception_fp_ieee_div_zero 0
		.amdhsa_exception_fp_ieee_overflow 0
		.amdhsa_exception_fp_ieee_underflow 0
		.amdhsa_exception_fp_ieee_inexact 0
		.amdhsa_exception_int_div_zero 0
	.end_amdhsa_kernel
	.section	.text._ZN7rocprim6detail31init_lookback_scan_state_kernelINS0_19lookback_scan_stateINS_5tupleIJibEEELb0ELb1EEEEEvT_jjPNS6_10value_typeE,"axG",@progbits,_ZN7rocprim6detail31init_lookback_scan_state_kernelINS0_19lookback_scan_stateINS_5tupleIJibEEELb0ELb1EEEEEvT_jjPNS6_10value_typeE,comdat
.Lfunc_end40:
	.size	_ZN7rocprim6detail31init_lookback_scan_state_kernelINS0_19lookback_scan_stateINS_5tupleIJibEEELb0ELb1EEEEEvT_jjPNS6_10value_typeE, .Lfunc_end40-_ZN7rocprim6detail31init_lookback_scan_state_kernelINS0_19lookback_scan_stateINS_5tupleIJibEEELb0ELb1EEEEEvT_jjPNS6_10value_typeE
                                        ; -- End function
	.section	.AMDGPU.csdata,"",@progbits
; Kernel info:
; codeLenInByte = 344
; NumSgprs: 20
; NumVgprs: 10
; NumAgprs: 0
; TotalNumVgprs: 10
; ScratchSize: 0
; MemoryBound: 0
; FloatMode: 240
; IeeeMode: 1
; LDSByteSize: 0 bytes/workgroup (compile time only)
; SGPRBlocks: 2
; VGPRBlocks: 1
; NumSGPRsForWavesPerEU: 20
; NumVGPRsForWavesPerEU: 10
; AccumOffset: 12
; Occupancy: 8
; WaveLimiterHint : 0
; COMPUTE_PGM_RSRC2:SCRATCH_EN: 0
; COMPUTE_PGM_RSRC2:USER_SGPR: 2
; COMPUTE_PGM_RSRC2:TRAP_HANDLER: 0
; COMPUTE_PGM_RSRC2:TGID_X_EN: 1
; COMPUTE_PGM_RSRC2:TGID_Y_EN: 0
; COMPUTE_PGM_RSRC2:TGID_Z_EN: 0
; COMPUTE_PGM_RSRC2:TIDIG_COMP_CNT: 0
; COMPUTE_PGM_RSRC3_GFX90A:ACCUM_OFFSET: 2
; COMPUTE_PGM_RSRC3_GFX90A:TG_SPLIT: 0
	.section	.text._ZN7rocprim6detail25device_scan_by_key_kernelILNS0_25lookback_scan_determinismE0ELb0ENS0_26wrapped_scan_by_key_configINS_14default_configEiiEEPiN6hipcub22TransformInputIteratorIiNS7_6CastOpIiEES6_lEEPliNS7_8EqualityENS7_3SumENS0_19lookback_scan_stateINS_5tupleIJibEEELb1ELb1EEEiEEvT2_T3_T4_T5_T6_T7_T8_mmmPKNSG_IJT9_bEEE,"axG",@progbits,_ZN7rocprim6detail25device_scan_by_key_kernelILNS0_25lookback_scan_determinismE0ELb0ENS0_26wrapped_scan_by_key_configINS_14default_configEiiEEPiN6hipcub22TransformInputIteratorIiNS7_6CastOpIiEES6_lEEPliNS7_8EqualityENS7_3SumENS0_19lookback_scan_stateINS_5tupleIJibEEELb1ELb1EEEiEEvT2_T3_T4_T5_T6_T7_T8_mmmPKNSG_IJT9_bEEE,comdat
	.protected	_ZN7rocprim6detail25device_scan_by_key_kernelILNS0_25lookback_scan_determinismE0ELb0ENS0_26wrapped_scan_by_key_configINS_14default_configEiiEEPiN6hipcub22TransformInputIteratorIiNS7_6CastOpIiEES6_lEEPliNS7_8EqualityENS7_3SumENS0_19lookback_scan_stateINS_5tupleIJibEEELb1ELb1EEEiEEvT2_T3_T4_T5_T6_T7_T8_mmmPKNSG_IJT9_bEEE ; -- Begin function _ZN7rocprim6detail25device_scan_by_key_kernelILNS0_25lookback_scan_determinismE0ELb0ENS0_26wrapped_scan_by_key_configINS_14default_configEiiEEPiN6hipcub22TransformInputIteratorIiNS7_6CastOpIiEES6_lEEPliNS7_8EqualityENS7_3SumENS0_19lookback_scan_stateINS_5tupleIJibEEELb1ELb1EEEiEEvT2_T3_T4_T5_T6_T7_T8_mmmPKNSG_IJT9_bEEE
	.globl	_ZN7rocprim6detail25device_scan_by_key_kernelILNS0_25lookback_scan_determinismE0ELb0ENS0_26wrapped_scan_by_key_configINS_14default_configEiiEEPiN6hipcub22TransformInputIteratorIiNS7_6CastOpIiEES6_lEEPliNS7_8EqualityENS7_3SumENS0_19lookback_scan_stateINS_5tupleIJibEEELb1ELb1EEEiEEvT2_T3_T4_T5_T6_T7_T8_mmmPKNSG_IJT9_bEEE
	.p2align	8
	.type	_ZN7rocprim6detail25device_scan_by_key_kernelILNS0_25lookback_scan_determinismE0ELb0ENS0_26wrapped_scan_by_key_configINS_14default_configEiiEEPiN6hipcub22TransformInputIteratorIiNS7_6CastOpIiEES6_lEEPliNS7_8EqualityENS7_3SumENS0_19lookback_scan_stateINS_5tupleIJibEEELb1ELb1EEEiEEvT2_T3_T4_T5_T6_T7_T8_mmmPKNSG_IJT9_bEEE,@function
_ZN7rocprim6detail25device_scan_by_key_kernelILNS0_25lookback_scan_determinismE0ELb0ENS0_26wrapped_scan_by_key_configINS_14default_configEiiEEPiN6hipcub22TransformInputIteratorIiNS7_6CastOpIiEES6_lEEPliNS7_8EqualityENS7_3SumENS0_19lookback_scan_stateINS_5tupleIJibEEELb1ELb1EEEiEEvT2_T3_T4_T5_T6_T7_T8_mmmPKNSG_IJT9_bEEE: ; @_ZN7rocprim6detail25device_scan_by_key_kernelILNS0_25lookback_scan_determinismE0ELb0ENS0_26wrapped_scan_by_key_configINS_14default_configEiiEEPiN6hipcub22TransformInputIteratorIiNS7_6CastOpIiEES6_lEEPliNS7_8EqualityENS7_3SumENS0_19lookback_scan_stateINS_5tupleIJibEEELb1ELb1EEEiEEvT2_T3_T4_T5_T6_T7_T8_mmmPKNSG_IJT9_bEEE
; %bb.0:
	s_endpgm
	.section	.rodata,"a",@progbits
	.p2align	6, 0x0
	.amdhsa_kernel _ZN7rocprim6detail25device_scan_by_key_kernelILNS0_25lookback_scan_determinismE0ELb0ENS0_26wrapped_scan_by_key_configINS_14default_configEiiEEPiN6hipcub22TransformInputIteratorIiNS7_6CastOpIiEES6_lEEPliNS7_8EqualityENS7_3SumENS0_19lookback_scan_stateINS_5tupleIJibEEELb1ELb1EEEiEEvT2_T3_T4_T5_T6_T7_T8_mmmPKNSG_IJT9_bEEE
		.amdhsa_group_segment_fixed_size 0
		.amdhsa_private_segment_fixed_size 0
		.amdhsa_kernarg_size 80
		.amdhsa_user_sgpr_count 2
		.amdhsa_user_sgpr_dispatch_ptr 0
		.amdhsa_user_sgpr_queue_ptr 0
		.amdhsa_user_sgpr_kernarg_segment_ptr 1
		.amdhsa_user_sgpr_dispatch_id 0
		.amdhsa_user_sgpr_kernarg_preload_length 0
		.amdhsa_user_sgpr_kernarg_preload_offset 0
		.amdhsa_user_sgpr_private_segment_size 0
		.amdhsa_uses_dynamic_stack 0
		.amdhsa_enable_private_segment 0
		.amdhsa_system_sgpr_workgroup_id_x 1
		.amdhsa_system_sgpr_workgroup_id_y 0
		.amdhsa_system_sgpr_workgroup_id_z 0
		.amdhsa_system_sgpr_workgroup_info 0
		.amdhsa_system_vgpr_workitem_id 0
		.amdhsa_next_free_vgpr 1
		.amdhsa_next_free_sgpr 0
		.amdhsa_accum_offset 4
		.amdhsa_reserve_vcc 0
		.amdhsa_float_round_mode_32 0
		.amdhsa_float_round_mode_16_64 0
		.amdhsa_float_denorm_mode_32 3
		.amdhsa_float_denorm_mode_16_64 3
		.amdhsa_dx10_clamp 1
		.amdhsa_ieee_mode 1
		.amdhsa_fp16_overflow 0
		.amdhsa_tg_split 0
		.amdhsa_exception_fp_ieee_invalid_op 0
		.amdhsa_exception_fp_denorm_src 0
		.amdhsa_exception_fp_ieee_div_zero 0
		.amdhsa_exception_fp_ieee_overflow 0
		.amdhsa_exception_fp_ieee_underflow 0
		.amdhsa_exception_fp_ieee_inexact 0
		.amdhsa_exception_int_div_zero 0
	.end_amdhsa_kernel
	.section	.text._ZN7rocprim6detail25device_scan_by_key_kernelILNS0_25lookback_scan_determinismE0ELb0ENS0_26wrapped_scan_by_key_configINS_14default_configEiiEEPiN6hipcub22TransformInputIteratorIiNS7_6CastOpIiEES6_lEEPliNS7_8EqualityENS7_3SumENS0_19lookback_scan_stateINS_5tupleIJibEEELb1ELb1EEEiEEvT2_T3_T4_T5_T6_T7_T8_mmmPKNSG_IJT9_bEEE,"axG",@progbits,_ZN7rocprim6detail25device_scan_by_key_kernelILNS0_25lookback_scan_determinismE0ELb0ENS0_26wrapped_scan_by_key_configINS_14default_configEiiEEPiN6hipcub22TransformInputIteratorIiNS7_6CastOpIiEES6_lEEPliNS7_8EqualityENS7_3SumENS0_19lookback_scan_stateINS_5tupleIJibEEELb1ELb1EEEiEEvT2_T3_T4_T5_T6_T7_T8_mmmPKNSG_IJT9_bEEE,comdat
.Lfunc_end41:
	.size	_ZN7rocprim6detail25device_scan_by_key_kernelILNS0_25lookback_scan_determinismE0ELb0ENS0_26wrapped_scan_by_key_configINS_14default_configEiiEEPiN6hipcub22TransformInputIteratorIiNS7_6CastOpIiEES6_lEEPliNS7_8EqualityENS7_3SumENS0_19lookback_scan_stateINS_5tupleIJibEEELb1ELb1EEEiEEvT2_T3_T4_T5_T6_T7_T8_mmmPKNSG_IJT9_bEEE, .Lfunc_end41-_ZN7rocprim6detail25device_scan_by_key_kernelILNS0_25lookback_scan_determinismE0ELb0ENS0_26wrapped_scan_by_key_configINS_14default_configEiiEEPiN6hipcub22TransformInputIteratorIiNS7_6CastOpIiEES6_lEEPliNS7_8EqualityENS7_3SumENS0_19lookback_scan_stateINS_5tupleIJibEEELb1ELb1EEEiEEvT2_T3_T4_T5_T6_T7_T8_mmmPKNSG_IJT9_bEEE
                                        ; -- End function
	.section	.AMDGPU.csdata,"",@progbits
; Kernel info:
; codeLenInByte = 4
; NumSgprs: 6
; NumVgprs: 0
; NumAgprs: 0
; TotalNumVgprs: 0
; ScratchSize: 0
; MemoryBound: 0
; FloatMode: 240
; IeeeMode: 1
; LDSByteSize: 0 bytes/workgroup (compile time only)
; SGPRBlocks: 0
; VGPRBlocks: 0
; NumSGPRsForWavesPerEU: 6
; NumVGPRsForWavesPerEU: 1
; AccumOffset: 4
; Occupancy: 8
; WaveLimiterHint : 0
; COMPUTE_PGM_RSRC2:SCRATCH_EN: 0
; COMPUTE_PGM_RSRC2:USER_SGPR: 2
; COMPUTE_PGM_RSRC2:TRAP_HANDLER: 0
; COMPUTE_PGM_RSRC2:TGID_X_EN: 1
; COMPUTE_PGM_RSRC2:TGID_Y_EN: 0
; COMPUTE_PGM_RSRC2:TGID_Z_EN: 0
; COMPUTE_PGM_RSRC2:TIDIG_COMP_CNT: 0
; COMPUTE_PGM_RSRC3_GFX90A:ACCUM_OFFSET: 0
; COMPUTE_PGM_RSRC3_GFX90A:TG_SPLIT: 0
	.section	.text._ZN7rocprim6detail25device_scan_by_key_kernelILNS0_25lookback_scan_determinismE0ELb0ENS0_26wrapped_scan_by_key_configINS_14default_configEiiEEPiN6hipcub22TransformInputIteratorIiNS7_6CastOpIiEES6_lEEPliNS7_8EqualityENS7_3SumENS0_19lookback_scan_stateINS_5tupleIJibEEELb0ELb1EEEiEEvT2_T3_T4_T5_T6_T7_T8_mmmPKNSG_IJT9_bEEE,"axG",@progbits,_ZN7rocprim6detail25device_scan_by_key_kernelILNS0_25lookback_scan_determinismE0ELb0ENS0_26wrapped_scan_by_key_configINS_14default_configEiiEEPiN6hipcub22TransformInputIteratorIiNS7_6CastOpIiEES6_lEEPliNS7_8EqualityENS7_3SumENS0_19lookback_scan_stateINS_5tupleIJibEEELb0ELb1EEEiEEvT2_T3_T4_T5_T6_T7_T8_mmmPKNSG_IJT9_bEEE,comdat
	.protected	_ZN7rocprim6detail25device_scan_by_key_kernelILNS0_25lookback_scan_determinismE0ELb0ENS0_26wrapped_scan_by_key_configINS_14default_configEiiEEPiN6hipcub22TransformInputIteratorIiNS7_6CastOpIiEES6_lEEPliNS7_8EqualityENS7_3SumENS0_19lookback_scan_stateINS_5tupleIJibEEELb0ELb1EEEiEEvT2_T3_T4_T5_T6_T7_T8_mmmPKNSG_IJT9_bEEE ; -- Begin function _ZN7rocprim6detail25device_scan_by_key_kernelILNS0_25lookback_scan_determinismE0ELb0ENS0_26wrapped_scan_by_key_configINS_14default_configEiiEEPiN6hipcub22TransformInputIteratorIiNS7_6CastOpIiEES6_lEEPliNS7_8EqualityENS7_3SumENS0_19lookback_scan_stateINS_5tupleIJibEEELb0ELb1EEEiEEvT2_T3_T4_T5_T6_T7_T8_mmmPKNSG_IJT9_bEEE
	.globl	_ZN7rocprim6detail25device_scan_by_key_kernelILNS0_25lookback_scan_determinismE0ELb0ENS0_26wrapped_scan_by_key_configINS_14default_configEiiEEPiN6hipcub22TransformInputIteratorIiNS7_6CastOpIiEES6_lEEPliNS7_8EqualityENS7_3SumENS0_19lookback_scan_stateINS_5tupleIJibEEELb0ELb1EEEiEEvT2_T3_T4_T5_T6_T7_T8_mmmPKNSG_IJT9_bEEE
	.p2align	8
	.type	_ZN7rocprim6detail25device_scan_by_key_kernelILNS0_25lookback_scan_determinismE0ELb0ENS0_26wrapped_scan_by_key_configINS_14default_configEiiEEPiN6hipcub22TransformInputIteratorIiNS7_6CastOpIiEES6_lEEPliNS7_8EqualityENS7_3SumENS0_19lookback_scan_stateINS_5tupleIJibEEELb0ELb1EEEiEEvT2_T3_T4_T5_T6_T7_T8_mmmPKNSG_IJT9_bEEE,@function
_ZN7rocprim6detail25device_scan_by_key_kernelILNS0_25lookback_scan_determinismE0ELb0ENS0_26wrapped_scan_by_key_configINS_14default_configEiiEEPiN6hipcub22TransformInputIteratorIiNS7_6CastOpIiEES6_lEEPliNS7_8EqualityENS7_3SumENS0_19lookback_scan_stateINS_5tupleIJibEEELb0ELb1EEEiEEvT2_T3_T4_T5_T6_T7_T8_mmmPKNSG_IJT9_bEEE: ; @_ZN7rocprim6detail25device_scan_by_key_kernelILNS0_25lookback_scan_determinismE0ELb0ENS0_26wrapped_scan_by_key_configINS_14default_configEiiEEPiN6hipcub22TransformInputIteratorIiNS7_6CastOpIiEES6_lEEPliNS7_8EqualityENS7_3SumENS0_19lookback_scan_stateINS_5tupleIJibEEELb0ELb1EEEiEEvT2_T3_T4_T5_T6_T7_T8_mmmPKNSG_IJT9_bEEE
; %bb.0:
	s_load_dwordx4 s[4:7], s[0:1], 0x0
	s_load_dwordx8 s[68:75], s[0:1], 0x28
	s_load_dwordx2 s[76:77], s[0:1], 0x48
	s_mul_i32 s66, s2, 0x1700
	s_mov_b32 s67, 0
	s_lshl_b64 s[8:9], s[66:67], 2
	s_waitcnt lgkmcnt(0)
	s_add_u32 s54, s4, s8
	s_addc_u32 s55, s5, s9
	s_add_u32 s52, s6, s8
	s_addc_u32 s53, s7, s9
	;; [unrolled: 2-line block ×3, first 2 shown]
	s_add_u32 s8, s74, -1
	s_addc_u32 s9, s75, -1
	v_mov_b64_e32 v[2:3], s[8:9]
	v_cmp_ge_u64_e64 s[64:65], s[4:5], v[2:3]
	s_mov_b64 s[6:7], -1
	s_and_b64 vcc, exec, s[64:65]
	s_mul_i32 s33, s8, 0xffffe900
	s_cbranch_vccz .LBB42_71
; %bb.1:
	s_load_dword s56, s[54:55], 0x0
	s_add_i32 s3, s33, s70
	v_mov_b32_e32 v3, 0
	v_lshlrev_b32_e32 v2, 2, v0
	v_lshl_add_u64 v[4:5], s[54:55], 0, v[2:3]
	v_cmp_gt_u32_e64 s[4:5], s3, v0
	s_waitcnt lgkmcnt(0)
	v_mov_b32_e32 v1, s56
	s_and_saveexec_b64 s[6:7], s[4:5]
	s_cbranch_execz .LBB42_3
; %bb.2:
	global_load_dword v1, v[4:5], off
.LBB42_3:
	s_or_b64 exec, exec, s[6:7]
	v_or_b32_e32 v3, 0x100, v0
	v_cmp_gt_u32_e64 s[6:7], s3, v3
	v_mov_b32_e32 v3, s56
	s_and_saveexec_b64 s[8:9], s[6:7]
	s_cbranch_execz .LBB42_5
; %bb.4:
	global_load_dword v3, v[4:5], off offset:1024
.LBB42_5:
	s_or_b64 exec, exec, s[8:9]
	v_or_b32_e32 v6, 0x200, v0
	v_cmp_gt_u32_e64 s[8:9], s3, v6
	v_mov_b32_e32 v6, s56
	s_and_saveexec_b64 s[10:11], s[8:9]
	s_cbranch_execz .LBB42_7
; %bb.6:
	global_load_dword v6, v[4:5], off offset:2048
.LBB42_7:
	;; [unrolled: 9-line block ×3, first 2 shown]
	s_or_b64 exec, exec, s[12:13]
	v_or_b32_e32 v8, 0x400, v0
	v_cmp_gt_u32_e64 s[12:13], s3, v8
	v_mov_b32_e32 v8, s56
	s_and_saveexec_b64 s[14:15], s[12:13]
	s_cbranch_execz .LBB42_11
; %bb.10:
	v_add_co_u32_e32 v8, vcc, 0x1000, v4
	s_nop 1
	v_addc_co_u32_e32 v9, vcc, 0, v5, vcc
	global_load_dword v8, v[8:9], off
.LBB42_11:
	s_or_b64 exec, exec, s[14:15]
	v_or_b32_e32 v9, 0x500, v0
	v_cmp_gt_u32_e64 s[14:15], s3, v9
	v_mov_b32_e32 v9, s56
	s_and_saveexec_b64 s[16:17], s[14:15]
	s_cbranch_execz .LBB42_13
; %bb.12:
	v_add_co_u32_e32 v10, vcc, 0x1000, v4
	s_nop 1
	v_addc_co_u32_e32 v11, vcc, 0, v5, vcc
	global_load_dword v9, v[10:11], off offset:1024
.LBB42_13:
	s_or_b64 exec, exec, s[16:17]
	v_or_b32_e32 v10, 0x600, v0
	v_cmp_gt_u32_e64 s[16:17], s3, v10
	v_mov_b32_e32 v10, s56
	s_and_saveexec_b64 s[18:19], s[16:17]
	s_cbranch_execz .LBB42_15
; %bb.14:
	v_add_co_u32_e32 v10, vcc, 0x1000, v4
	s_nop 1
	v_addc_co_u32_e32 v11, vcc, 0, v5, vcc
	global_load_dword v10, v[10:11], off offset:2048
.LBB42_15:
	s_or_b64 exec, exec, s[18:19]
	v_or_b32_e32 v11, 0x700, v0
	v_cmp_gt_u32_e64 s[18:19], s3, v11
	v_mov_b32_e32 v11, s56
	s_and_saveexec_b64 s[20:21], s[18:19]
	s_cbranch_execz .LBB42_17
; %bb.16:
	v_add_co_u32_e32 v12, vcc, 0x1000, v4
	s_nop 1
	v_addc_co_u32_e32 v13, vcc, 0, v5, vcc
	global_load_dword v11, v[12:13], off offset:3072
.LBB42_17:
	s_or_b64 exec, exec, s[20:21]
	v_or_b32_e32 v12, 0x800, v0
	v_cmp_gt_u32_e64 s[20:21], s3, v12
	v_mov_b32_e32 v12, s56
	s_and_saveexec_b64 s[22:23], s[20:21]
	s_cbranch_execz .LBB42_19
; %bb.18:
	v_add_co_u32_e32 v12, vcc, 0x2000, v4
	s_nop 1
	v_addc_co_u32_e32 v13, vcc, 0, v5, vcc
	global_load_dword v12, v[12:13], off
.LBB42_19:
	s_or_b64 exec, exec, s[22:23]
	v_or_b32_e32 v13, 0x900, v0
	v_cmp_gt_u32_e64 s[22:23], s3, v13
	v_mov_b32_e32 v13, s56
	s_and_saveexec_b64 s[24:25], s[22:23]
	s_cbranch_execz .LBB42_21
; %bb.20:
	v_add_co_u32_e32 v14, vcc, 0x2000, v4
	s_nop 1
	v_addc_co_u32_e32 v15, vcc, 0, v5, vcc
	global_load_dword v13, v[14:15], off offset:1024
.LBB42_21:
	s_or_b64 exec, exec, s[24:25]
	v_or_b32_e32 v14, 0xa00, v0
	v_cmp_gt_u32_e64 s[24:25], s3, v14
	v_mov_b32_e32 v14, s56
	s_and_saveexec_b64 s[26:27], s[24:25]
	s_cbranch_execz .LBB42_23
; %bb.22:
	v_add_co_u32_e32 v14, vcc, 0x2000, v4
	s_nop 1
	v_addc_co_u32_e32 v15, vcc, 0, v5, vcc
	global_load_dword v14, v[14:15], off offset:2048
.LBB42_23:
	s_or_b64 exec, exec, s[26:27]
	v_or_b32_e32 v15, 0xb00, v0
	v_cmp_gt_u32_e64 s[26:27], s3, v15
	v_mov_b32_e32 v15, s56
	s_and_saveexec_b64 s[28:29], s[26:27]
	s_cbranch_execz .LBB42_25
; %bb.24:
	v_add_co_u32_e32 v16, vcc, 0x2000, v4
	s_nop 1
	v_addc_co_u32_e32 v17, vcc, 0, v5, vcc
	global_load_dword v15, v[16:17], off offset:3072
.LBB42_25:
	;; [unrolled: 48-line block ×4, first 2 shown]
	s_or_b64 exec, exec, s[46:47]
	v_or_b32_e32 v24, 0x1400, v0
	v_cmp_gt_u32_e64 s[46:47], s3, v24
	v_mov_b32_e32 v24, s56
	s_and_saveexec_b64 s[48:49], s[46:47]
	s_cbranch_execz .LBB42_43
; %bb.42:
	v_add_co_u32_e32 v24, vcc, 0x5000, v4
	s_nop 1
	v_addc_co_u32_e32 v25, vcc, 0, v5, vcc
	global_load_dword v24, v[24:25], off
.LBB42_43:
	s_or_b64 exec, exec, s[48:49]
	v_or_b32_e32 v25, 0x1500, v0
	v_cmp_gt_u32_e64 s[48:49], s3, v25
	v_mov_b32_e32 v25, s56
	s_and_saveexec_b64 s[50:51], s[48:49]
	s_cbranch_execz .LBB42_45
; %bb.44:
	v_add_co_u32_e32 v26, vcc, 0x5000, v4
	s_nop 1
	v_addc_co_u32_e32 v27, vcc, 0, v5, vcc
	global_load_dword v25, v[26:27], off offset:1024
.LBB42_45:
	s_or_b64 exec, exec, s[50:51]
	v_or_b32_e32 v26, 0x1600, v0
	v_cmp_gt_u32_e64 s[50:51], s3, v26
	v_mov_b32_e32 v26, s56
	s_and_saveexec_b64 s[56:57], s[50:51]
	s_cbranch_execz .LBB42_47
; %bb.46:
	v_add_co_u32_e32 v4, vcc, 0x5000, v4
	s_nop 1
	v_addc_co_u32_e32 v5, vcc, 0, v5, vcc
	global_load_dword v26, v[4:5], off offset:2048
.LBB42_47:
	s_or_b64 exec, exec, s[56:57]
	s_movk_i32 s56, 0x58
	s_waitcnt vmcnt(0)
	ds_write2st64_b32 v2, v1, v3 offset1:4
	ds_write2st64_b32 v2, v6, v7 offset0:8 offset1:12
	ds_write2st64_b32 v2, v8, v9 offset0:16 offset1:20
	;; [unrolled: 1-line block ×10, first 2 shown]
	ds_write_b32 v2, v26 offset:22528
	v_mad_u32_u24 v1, v0, s56, v2
	s_sub_u32 s56, 0, s2
	s_subb_u32 s57, 0, 0
	s_cmp_eq_u64 s[56:57], s[72:73]
	s_cselect_b32 s56, 0, -4
	s_cselect_b32 s57, 0, -1
	s_add_u32 s56, s54, s56
	s_addc_u32 s57, s55, s57
	s_waitcnt lgkmcnt(0)
	s_barrier
	ds_read2_b32 v[68:69], v1 offset1:1
	ds_read2_b32 v[66:67], v1 offset0:2 offset1:3
	ds_read2_b32 v[64:65], v1 offset0:4 offset1:5
	;; [unrolled: 1-line block ×10, first 2 shown]
	ds_read_b32 v72, v1 offset:88
	s_load_dword s56, s[56:57], 0x0
	s_movk_i32 s57, 0xffa8
	v_mad_i32_i24 v3, v0, s57, v1
	v_cmp_ne_u32_e32 vcc, 0, v0
	s_waitcnt lgkmcnt(0)
	ds_write_b32 v3, v72 offset:23552
	v_mov_b32_e32 v70, s56
	s_waitcnt lgkmcnt(0)
	s_barrier
	s_and_saveexec_b64 s[56:57], vcc
	s_cbranch_execz .LBB42_49
; %bb.48:
	v_mul_i32_i24_e32 v3, 0xffffffa8, v0
	v_add_u32_e32 v3, v1, v3
	ds_read_b32 v70, v3 offset:23548
.LBB42_49:
	s_or_b64 exec, exec, s[56:57]
	v_mov_b32_e32 v3, 0
	v_lshl_add_u64 v[10:11], s[52:53], 0, v[2:3]
	s_waitcnt lgkmcnt(0)
	s_barrier
	s_waitcnt lgkmcnt(0)
                                        ; implicit-def: $vgpr3
	s_and_saveexec_b64 s[56:57], s[4:5]
	s_cbranch_execz .LBB42_72
; %bb.50:
	global_load_dword v3, v[10:11], off
	s_or_b64 exec, exec, s[56:57]
                                        ; implicit-def: $vgpr12
	s_and_saveexec_b64 s[4:5], s[6:7]
	s_cbranch_execnz .LBB42_73
.LBB42_51:
	s_or_b64 exec, exec, s[4:5]
                                        ; implicit-def: $vgpr13
	s_and_saveexec_b64 s[4:5], s[8:9]
	s_cbranch_execz .LBB42_74
.LBB42_52:
	global_load_dword v13, v[10:11], off offset:2048
	s_or_b64 exec, exec, s[4:5]
                                        ; implicit-def: $vgpr14
	s_and_saveexec_b64 s[4:5], s[10:11]
	s_cbranch_execnz .LBB42_75
.LBB42_53:
	s_or_b64 exec, exec, s[4:5]
                                        ; implicit-def: $vgpr15
	s_and_saveexec_b64 s[4:5], s[12:13]
	s_cbranch_execz .LBB42_76
.LBB42_54:
	v_add_co_u32_e32 v16, vcc, 0x1000, v10
	s_nop 1
	v_addc_co_u32_e32 v17, vcc, 0, v11, vcc
	global_load_dword v15, v[16:17], off
	s_or_b64 exec, exec, s[4:5]
                                        ; implicit-def: $vgpr16
	s_and_saveexec_b64 s[4:5], s[14:15]
	s_cbranch_execnz .LBB42_77
.LBB42_55:
	s_or_b64 exec, exec, s[4:5]
                                        ; implicit-def: $vgpr17
	s_and_saveexec_b64 s[4:5], s[16:17]
	s_cbranch_execz .LBB42_78
.LBB42_56:
	v_add_co_u32_e32 v18, vcc, 0x1000, v10
	s_nop 1
	v_addc_co_u32_e32 v19, vcc, 0, v11, vcc
	global_load_dword v17, v[18:19], off offset:2048
	s_or_b64 exec, exec, s[4:5]
                                        ; implicit-def: $vgpr18
	s_and_saveexec_b64 s[4:5], s[18:19]
	s_cbranch_execnz .LBB42_79
.LBB42_57:
	s_or_b64 exec, exec, s[4:5]
                                        ; implicit-def: $vgpr19
	s_and_saveexec_b64 s[4:5], s[20:21]
	s_cbranch_execz .LBB42_80
.LBB42_58:
	v_add_co_u32_e32 v20, vcc, 0x2000, v10
	s_nop 1
	v_addc_co_u32_e32 v21, vcc, 0, v11, vcc
	global_load_dword v19, v[20:21], off
	s_or_b64 exec, exec, s[4:5]
                                        ; implicit-def: $vgpr20
	s_and_saveexec_b64 s[4:5], s[22:23]
	s_cbranch_execnz .LBB42_81
.LBB42_59:
	s_or_b64 exec, exec, s[4:5]
                                        ; implicit-def: $vgpr21
	s_and_saveexec_b64 s[4:5], s[24:25]
	s_cbranch_execz .LBB42_82
.LBB42_60:
	v_add_co_u32_e32 v22, vcc, 0x2000, v10
	s_nop 1
	v_addc_co_u32_e32 v23, vcc, 0, v11, vcc
	global_load_dword v21, v[22:23], off offset:2048
	s_or_b64 exec, exec, s[4:5]
                                        ; implicit-def: $vgpr22
	s_and_saveexec_b64 s[4:5], s[26:27]
	s_cbranch_execnz .LBB42_83
.LBB42_61:
	s_or_b64 exec, exec, s[4:5]
                                        ; implicit-def: $vgpr23
	s_and_saveexec_b64 s[4:5], s[28:29]
	s_cbranch_execz .LBB42_84
.LBB42_62:
	v_add_co_u32_e32 v24, vcc, 0x3000, v10
	s_nop 1
	v_addc_co_u32_e32 v25, vcc, 0, v11, vcc
	global_load_dword v23, v[24:25], off
	s_or_b64 exec, exec, s[4:5]
                                        ; implicit-def: $vgpr24
	s_and_saveexec_b64 s[4:5], s[30:31]
	s_cbranch_execnz .LBB42_85
.LBB42_63:
	s_or_b64 exec, exec, s[4:5]
                                        ; implicit-def: $vgpr25
	s_and_saveexec_b64 s[4:5], s[34:35]
	s_cbranch_execz .LBB42_86
.LBB42_64:
	v_add_co_u32_e32 v26, vcc, 0x3000, v10
	s_nop 1
	v_addc_co_u32_e32 v27, vcc, 0, v11, vcc
	global_load_dword v25, v[26:27], off offset:2048
	s_or_b64 exec, exec, s[4:5]
                                        ; implicit-def: $vgpr26
	s_and_saveexec_b64 s[4:5], s[36:37]
	s_cbranch_execnz .LBB42_87
.LBB42_65:
	s_or_b64 exec, exec, s[4:5]
                                        ; implicit-def: $vgpr27
	s_and_saveexec_b64 s[4:5], s[38:39]
	s_cbranch_execz .LBB42_88
.LBB42_66:
	v_add_co_u32_e32 v28, vcc, 0x4000, v10
	s_nop 1
	v_addc_co_u32_e32 v29, vcc, 0, v11, vcc
	global_load_dword v27, v[28:29], off
	s_or_b64 exec, exec, s[4:5]
                                        ; implicit-def: $vgpr28
	s_and_saveexec_b64 s[4:5], s[40:41]
	s_cbranch_execnz .LBB42_89
.LBB42_67:
	s_or_b64 exec, exec, s[4:5]
                                        ; implicit-def: $vgpr29
	s_and_saveexec_b64 s[4:5], s[42:43]
	s_cbranch_execz .LBB42_90
.LBB42_68:
	v_add_co_u32_e32 v30, vcc, 0x4000, v10
	s_nop 1
	v_addc_co_u32_e32 v31, vcc, 0, v11, vcc
	global_load_dword v29, v[30:31], off offset:2048
	s_or_b64 exec, exec, s[4:5]
                                        ; implicit-def: $vgpr30
	s_and_saveexec_b64 s[4:5], s[44:45]
	s_cbranch_execnz .LBB42_91
.LBB42_69:
	s_or_b64 exec, exec, s[4:5]
                                        ; implicit-def: $vgpr31
	s_and_saveexec_b64 s[4:5], s[46:47]
	s_cbranch_execz .LBB42_92
.LBB42_70:
	v_add_co_u32_e32 v32, vcc, 0x5000, v10
	s_nop 1
	v_addc_co_u32_e32 v33, vcc, 0, v11, vcc
	global_load_dword v31, v[32:33], off
	s_or_b64 exec, exec, s[4:5]
                                        ; implicit-def: $vgpr32
	s_and_saveexec_b64 s[4:5], s[48:49]
	s_cbranch_execz .LBB42_94
	s_branch .LBB42_93
.LBB42_71:
	s_mov_b64 s[12:13], 0
                                        ; implicit-def: $sgpr10_sgpr11
                                        ; implicit-def: $vgpr3
                                        ; implicit-def: $vgpr10_vgpr11
                                        ; implicit-def: $vgpr12_vgpr13
                                        ; implicit-def: $vgpr14_vgpr15
                                        ; implicit-def: $vgpr16_vgpr17
                                        ; implicit-def: $vgpr18_vgpr19
                                        ; implicit-def: $vgpr20_vgpr21
                                        ; implicit-def: $vgpr22_vgpr23
                                        ; implicit-def: $vgpr24_vgpr25
                                        ; implicit-def: $vgpr26_vgpr27
                                        ; implicit-def: $vgpr28_vgpr29
                                        ; implicit-def: $vgpr30_vgpr31
                                        ; implicit-def: $vgpr32_vgpr33
                                        ; implicit-def: $vgpr34_vgpr35
                                        ; implicit-def: $vgpr36_vgpr37
                                        ; implicit-def: $vgpr38_vgpr39
                                        ; implicit-def: $vgpr40_vgpr41
                                        ; implicit-def: $vgpr42_vgpr43
                                        ; implicit-def: $vgpr44_vgpr45
                                        ; implicit-def: $vgpr46_vgpr47
                                        ; implicit-def: $vgpr48_vgpr49
                                        ; implicit-def: $vgpr50_vgpr51
                                        ; implicit-def: $vgpr52_vgpr53
                                        ; implicit-def: $sgpr8_sgpr9
	s_and_b64 vcc, exec, s[6:7]
	v_cmp_ne_u32_e64 s[4:5], 0, v0
	s_cbranch_vccz .LBB42_144
	s_branch .LBB42_141
.LBB42_72:
	s_or_b64 exec, exec, s[56:57]
                                        ; implicit-def: $vgpr12
	s_and_saveexec_b64 s[4:5], s[6:7]
	s_cbranch_execz .LBB42_51
.LBB42_73:
	global_load_dword v12, v[10:11], off offset:1024
	s_or_b64 exec, exec, s[4:5]
                                        ; implicit-def: $vgpr13
	s_and_saveexec_b64 s[4:5], s[8:9]
	s_cbranch_execnz .LBB42_52
.LBB42_74:
	s_or_b64 exec, exec, s[4:5]
                                        ; implicit-def: $vgpr14
	s_and_saveexec_b64 s[4:5], s[10:11]
	s_cbranch_execz .LBB42_53
.LBB42_75:
	global_load_dword v14, v[10:11], off offset:3072
	s_or_b64 exec, exec, s[4:5]
                                        ; implicit-def: $vgpr15
	s_and_saveexec_b64 s[4:5], s[12:13]
	s_cbranch_execnz .LBB42_54
.LBB42_76:
	s_or_b64 exec, exec, s[4:5]
                                        ; implicit-def: $vgpr16
	s_and_saveexec_b64 s[4:5], s[14:15]
	s_cbranch_execz .LBB42_55
.LBB42_77:
	v_add_co_u32_e32 v16, vcc, 0x1000, v10
	s_nop 1
	v_addc_co_u32_e32 v17, vcc, 0, v11, vcc
	global_load_dword v16, v[16:17], off offset:1024
	s_or_b64 exec, exec, s[4:5]
                                        ; implicit-def: $vgpr17
	s_and_saveexec_b64 s[4:5], s[16:17]
	s_cbranch_execnz .LBB42_56
.LBB42_78:
	s_or_b64 exec, exec, s[4:5]
                                        ; implicit-def: $vgpr18
	s_and_saveexec_b64 s[4:5], s[18:19]
	s_cbranch_execz .LBB42_57
.LBB42_79:
	v_add_co_u32_e32 v18, vcc, 0x1000, v10
	s_nop 1
	v_addc_co_u32_e32 v19, vcc, 0, v11, vcc
	global_load_dword v18, v[18:19], off offset:3072
	s_or_b64 exec, exec, s[4:5]
                                        ; implicit-def: $vgpr19
	s_and_saveexec_b64 s[4:5], s[20:21]
	s_cbranch_execnz .LBB42_58
.LBB42_80:
	s_or_b64 exec, exec, s[4:5]
                                        ; implicit-def: $vgpr20
	s_and_saveexec_b64 s[4:5], s[22:23]
	s_cbranch_execz .LBB42_59
.LBB42_81:
	v_add_co_u32_e32 v20, vcc, 0x2000, v10
	s_nop 1
	v_addc_co_u32_e32 v21, vcc, 0, v11, vcc
	global_load_dword v20, v[20:21], off offset:1024
	s_or_b64 exec, exec, s[4:5]
                                        ; implicit-def: $vgpr21
	s_and_saveexec_b64 s[4:5], s[24:25]
	s_cbranch_execnz .LBB42_60
.LBB42_82:
	s_or_b64 exec, exec, s[4:5]
                                        ; implicit-def: $vgpr22
	s_and_saveexec_b64 s[4:5], s[26:27]
	s_cbranch_execz .LBB42_61
.LBB42_83:
	v_add_co_u32_e32 v22, vcc, 0x2000, v10
	s_nop 1
	v_addc_co_u32_e32 v23, vcc, 0, v11, vcc
	global_load_dword v22, v[22:23], off offset:3072
	s_or_b64 exec, exec, s[4:5]
                                        ; implicit-def: $vgpr23
	s_and_saveexec_b64 s[4:5], s[28:29]
	s_cbranch_execnz .LBB42_62
.LBB42_84:
	s_or_b64 exec, exec, s[4:5]
                                        ; implicit-def: $vgpr24
	s_and_saveexec_b64 s[4:5], s[30:31]
	s_cbranch_execz .LBB42_63
.LBB42_85:
	v_add_co_u32_e32 v24, vcc, 0x3000, v10
	s_nop 1
	v_addc_co_u32_e32 v25, vcc, 0, v11, vcc
	global_load_dword v24, v[24:25], off offset:1024
	s_or_b64 exec, exec, s[4:5]
                                        ; implicit-def: $vgpr25
	s_and_saveexec_b64 s[4:5], s[34:35]
	s_cbranch_execnz .LBB42_64
.LBB42_86:
	s_or_b64 exec, exec, s[4:5]
                                        ; implicit-def: $vgpr26
	s_and_saveexec_b64 s[4:5], s[36:37]
	s_cbranch_execz .LBB42_65
.LBB42_87:
	v_add_co_u32_e32 v26, vcc, 0x3000, v10
	s_nop 1
	v_addc_co_u32_e32 v27, vcc, 0, v11, vcc
	global_load_dword v26, v[26:27], off offset:3072
	s_or_b64 exec, exec, s[4:5]
                                        ; implicit-def: $vgpr27
	s_and_saveexec_b64 s[4:5], s[38:39]
	s_cbranch_execnz .LBB42_66
.LBB42_88:
	s_or_b64 exec, exec, s[4:5]
                                        ; implicit-def: $vgpr28
	s_and_saveexec_b64 s[4:5], s[40:41]
	s_cbranch_execz .LBB42_67
.LBB42_89:
	v_add_co_u32_e32 v28, vcc, 0x4000, v10
	s_nop 1
	v_addc_co_u32_e32 v29, vcc, 0, v11, vcc
	global_load_dword v28, v[28:29], off offset:1024
	s_or_b64 exec, exec, s[4:5]
                                        ; implicit-def: $vgpr29
	s_and_saveexec_b64 s[4:5], s[42:43]
	s_cbranch_execnz .LBB42_68
.LBB42_90:
	s_or_b64 exec, exec, s[4:5]
                                        ; implicit-def: $vgpr30
	s_and_saveexec_b64 s[4:5], s[44:45]
	s_cbranch_execz .LBB42_69
.LBB42_91:
	v_add_co_u32_e32 v30, vcc, 0x4000, v10
	s_nop 1
	v_addc_co_u32_e32 v31, vcc, 0, v11, vcc
	global_load_dword v30, v[30:31], off offset:3072
	s_or_b64 exec, exec, s[4:5]
                                        ; implicit-def: $vgpr31
	s_and_saveexec_b64 s[4:5], s[46:47]
	s_cbranch_execnz .LBB42_70
.LBB42_92:
	s_or_b64 exec, exec, s[4:5]
                                        ; implicit-def: $vgpr32
	s_and_saveexec_b64 s[4:5], s[48:49]
	s_cbranch_execz .LBB42_94
.LBB42_93:
	v_add_co_u32_e32 v32, vcc, 0x5000, v10
	s_nop 1
	v_addc_co_u32_e32 v33, vcc, 0, v11, vcc
	global_load_dword v32, v[32:33], off offset:1024
.LBB42_94:
	s_or_b64 exec, exec, s[4:5]
	v_mul_u32_u24_e32 v73, 23, v0
                                        ; implicit-def: $vgpr33
	s_and_saveexec_b64 s[4:5], s[50:51]
	s_cbranch_execz .LBB42_96
; %bb.95:
	v_add_co_u32_e32 v10, vcc, 0x5000, v10
	s_nop 1
	v_addc_co_u32_e32 v11, vcc, 0, v11, vcc
	global_load_dword v33, v[10:11], off offset:2048
.LBB42_96:
	s_or_b64 exec, exec, s[4:5]
	v_mov_b64_e32 v[10:11], 0
	s_waitcnt vmcnt(0)
	ds_write2st64_b32 v2, v3, v12 offset1:4
	ds_write2st64_b32 v2, v13, v14 offset0:8 offset1:12
	ds_write2st64_b32 v2, v15, v16 offset0:16 offset1:20
	;; [unrolled: 1-line block ×10, first 2 shown]
	ds_write_b32 v2, v33 offset:22528
	v_cmp_gt_u32_e32 vcc, s3, v73
	s_mov_b64 s[12:13], 0
	s_mov_b64 s[6:7], 0
	v_mov_b64_e32 v[12:13], v[10:11]
	v_mov_b64_e32 v[14:15], v[10:11]
	;; [unrolled: 1-line block ×21, first 2 shown]
	s_waitcnt lgkmcnt(0)
	s_barrier
	s_waitcnt lgkmcnt(0)
                                        ; implicit-def: $sgpr10_sgpr11
                                        ; implicit-def: $vgpr3
	s_and_saveexec_b64 s[8:9], vcc
	s_cbranch_execz .LBB42_140
; %bb.97:
	ds_read_b32 v10, v1
	v_add_u32_e32 v2, 1, v73
	v_cmp_ne_u32_e32 vcc, v70, v68
	v_mov_b64_e32 v[12:13], 0
	s_mov_b64 s[4:5], 0
	v_cndmask_b32_e64 v11, 0, 1, vcc
	v_cmp_gt_u32_e32 vcc, s3, v2
	v_mov_b64_e32 v[14:15], v[12:13]
	v_mov_b64_e32 v[16:17], v[12:13]
	;; [unrolled: 1-line block ×20, first 2 shown]
                                        ; implicit-def: $sgpr14_sgpr15
                                        ; implicit-def: $vgpr3
	s_and_saveexec_b64 s[10:11], vcc
	s_cbranch_execz .LBB42_139
; %bb.98:
	ds_read2_b32 v[70:71], v1 offset0:1 offset1:2
	v_add_u32_e32 v2, 2, v73
	v_cmp_ne_u32_e32 vcc, v68, v69
	v_mov_b64_e32 v[14:15], 0
	s_mov_b64 s[16:17], 0
	v_cndmask_b32_e64 v13, 0, 1, vcc
	v_cmp_gt_u32_e32 vcc, s3, v2
	s_waitcnt lgkmcnt(0)
	v_mov_b32_e32 v12, v70
	v_mov_b64_e32 v[16:17], v[14:15]
	v_mov_b64_e32 v[18:19], v[14:15]
	;; [unrolled: 1-line block ×19, first 2 shown]
                                        ; implicit-def: $sgpr14_sgpr15
                                        ; implicit-def: $vgpr3
	s_and_saveexec_b64 s[12:13], vcc
	s_cbranch_execz .LBB42_138
; %bb.99:
	v_add_u32_e32 v2, 3, v73
	v_cmp_ne_u32_e32 vcc, v69, v66
	v_mov_b64_e32 v[16:17], 0
	v_mov_b32_e32 v14, v71
	v_cndmask_b32_e64 v15, 0, 1, vcc
	v_cmp_gt_u32_e32 vcc, s3, v2
	v_mov_b64_e32 v[18:19], v[16:17]
	v_mov_b64_e32 v[20:21], v[16:17]
	;; [unrolled: 1-line block ×18, first 2 shown]
                                        ; implicit-def: $sgpr18_sgpr19
                                        ; implicit-def: $vgpr3
	s_and_saveexec_b64 s[14:15], vcc
	s_cbranch_execz .LBB42_137
; %bb.100:
	ds_read2_b32 v[68:69], v1 offset0:3 offset1:4
	v_add_u32_e32 v2, 4, v73
	v_cmp_ne_u32_e32 vcc, v66, v67
	v_mov_b64_e32 v[18:19], 0
	s_mov_b64 s[20:21], 0
	v_cndmask_b32_e64 v17, 0, 1, vcc
	v_cmp_gt_u32_e32 vcc, s3, v2
	s_waitcnt lgkmcnt(0)
	v_mov_b32_e32 v16, v68
	v_mov_b64_e32 v[20:21], v[18:19]
	v_mov_b64_e32 v[22:23], v[18:19]
	;; [unrolled: 1-line block ×17, first 2 shown]
                                        ; implicit-def: $sgpr18_sgpr19
                                        ; implicit-def: $vgpr3
	s_and_saveexec_b64 s[16:17], vcc
	s_cbranch_execz .LBB42_136
; %bb.101:
	v_add_u32_e32 v2, 5, v73
	v_cmp_ne_u32_e32 vcc, v67, v64
	v_mov_b64_e32 v[20:21], 0
	v_mov_b32_e32 v18, v69
	v_cndmask_b32_e64 v19, 0, 1, vcc
	v_cmp_gt_u32_e32 vcc, s3, v2
	v_mov_b64_e32 v[22:23], v[20:21]
	v_mov_b64_e32 v[24:25], v[20:21]
	;; [unrolled: 1-line block ×16, first 2 shown]
                                        ; implicit-def: $sgpr22_sgpr23
                                        ; implicit-def: $vgpr3
	s_and_saveexec_b64 s[18:19], vcc
	s_cbranch_execz .LBB42_135
; %bb.102:
	ds_read2_b32 v[66:67], v1 offset0:5 offset1:6
	v_add_u32_e32 v2, 6, v73
	v_cmp_ne_u32_e32 vcc, v64, v65
	v_mov_b64_e32 v[22:23], 0
	s_mov_b64 s[24:25], 0
	v_cndmask_b32_e64 v21, 0, 1, vcc
	v_cmp_gt_u32_e32 vcc, s3, v2
	s_waitcnt lgkmcnt(0)
	v_mov_b32_e32 v20, v66
	v_mov_b64_e32 v[24:25], v[22:23]
	v_mov_b64_e32 v[26:27], v[22:23]
	;; [unrolled: 1-line block ×15, first 2 shown]
                                        ; implicit-def: $sgpr22_sgpr23
                                        ; implicit-def: $vgpr3
	s_and_saveexec_b64 s[20:21], vcc
	s_cbranch_execz .LBB42_134
; %bb.103:
	v_add_u32_e32 v2, 7, v73
	v_cmp_ne_u32_e32 vcc, v65, v62
	v_mov_b64_e32 v[24:25], 0
	v_mov_b32_e32 v22, v67
	v_cndmask_b32_e64 v23, 0, 1, vcc
	v_cmp_gt_u32_e32 vcc, s3, v2
	v_mov_b64_e32 v[26:27], v[24:25]
	v_mov_b64_e32 v[28:29], v[24:25]
	;; [unrolled: 1-line block ×14, first 2 shown]
                                        ; implicit-def: $sgpr26_sgpr27
                                        ; implicit-def: $vgpr3
	s_and_saveexec_b64 s[22:23], vcc
	s_cbranch_execz .LBB42_133
; %bb.104:
	ds_read2_b32 v[64:65], v1 offset0:7 offset1:8
	v_add_u32_e32 v2, 8, v73
	v_cmp_ne_u32_e32 vcc, v62, v63
	v_mov_b64_e32 v[26:27], 0
	s_mov_b64 s[28:29], 0
	v_cndmask_b32_e64 v25, 0, 1, vcc
	v_cmp_gt_u32_e32 vcc, s3, v2
	s_waitcnt lgkmcnt(0)
	v_mov_b32_e32 v24, v64
	v_mov_b64_e32 v[28:29], v[26:27]
	v_mov_b64_e32 v[30:31], v[26:27]
	;; [unrolled: 1-line block ×13, first 2 shown]
                                        ; implicit-def: $sgpr26_sgpr27
                                        ; implicit-def: $vgpr3
	s_and_saveexec_b64 s[24:25], vcc
	s_cbranch_execz .LBB42_132
; %bb.105:
	v_add_u32_e32 v2, 9, v73
	v_cmp_ne_u32_e32 vcc, v63, v60
	v_mov_b64_e32 v[28:29], 0
	v_mov_b32_e32 v26, v65
	v_cndmask_b32_e64 v27, 0, 1, vcc
	v_cmp_gt_u32_e32 vcc, s3, v2
	v_mov_b64_e32 v[30:31], v[28:29]
	v_mov_b64_e32 v[32:33], v[28:29]
	v_mov_b64_e32 v[34:35], v[28:29]
	v_mov_b64_e32 v[36:37], v[28:29]
	v_mov_b64_e32 v[38:39], v[28:29]
	v_mov_b64_e32 v[40:41], v[28:29]
	v_mov_b64_e32 v[42:43], v[28:29]
	v_mov_b64_e32 v[44:45], v[28:29]
	v_mov_b64_e32 v[46:47], v[28:29]
	v_mov_b64_e32 v[48:49], v[28:29]
	v_mov_b64_e32 v[50:51], v[28:29]
	v_mov_b64_e32 v[52:53], v[28:29]
                                        ; implicit-def: $sgpr30_sgpr31
                                        ; implicit-def: $vgpr3
	s_and_saveexec_b64 s[26:27], vcc
	s_cbranch_execz .LBB42_131
; %bb.106:
	ds_read2_b32 v[62:63], v1 offset0:9 offset1:10
	v_add_u32_e32 v2, 10, v73
	v_cmp_ne_u32_e32 vcc, v60, v61
	v_mov_b64_e32 v[30:31], 0
	s_mov_b64 s[34:35], 0
	v_cndmask_b32_e64 v29, 0, 1, vcc
	v_cmp_gt_u32_e32 vcc, s3, v2
	s_waitcnt lgkmcnt(0)
	v_mov_b32_e32 v28, v62
	v_mov_b64_e32 v[32:33], v[30:31]
	v_mov_b64_e32 v[34:35], v[30:31]
	;; [unrolled: 1-line block ×11, first 2 shown]
                                        ; implicit-def: $sgpr30_sgpr31
                                        ; implicit-def: $vgpr3
	s_and_saveexec_b64 s[28:29], vcc
	s_cbranch_execz .LBB42_130
; %bb.107:
	v_add_u32_e32 v2, 11, v73
	v_cmp_ne_u32_e32 vcc, v61, v58
	v_mov_b64_e32 v[32:33], 0
	v_mov_b32_e32 v30, v63
	v_cndmask_b32_e64 v31, 0, 1, vcc
	v_cmp_gt_u32_e32 vcc, s3, v2
	v_mov_b64_e32 v[34:35], v[32:33]
	v_mov_b64_e32 v[36:37], v[32:33]
	v_mov_b64_e32 v[38:39], v[32:33]
	v_mov_b64_e32 v[40:41], v[32:33]
	v_mov_b64_e32 v[42:43], v[32:33]
	v_mov_b64_e32 v[44:45], v[32:33]
	v_mov_b64_e32 v[46:47], v[32:33]
	v_mov_b64_e32 v[48:49], v[32:33]
	v_mov_b64_e32 v[50:51], v[32:33]
	v_mov_b64_e32 v[52:53], v[32:33]
                                        ; implicit-def: $sgpr36_sgpr37
                                        ; implicit-def: $vgpr3
	s_and_saveexec_b64 s[30:31], vcc
	s_cbranch_execz .LBB42_129
; %bb.108:
	ds_read2_b32 v[60:61], v1 offset0:11 offset1:12
	v_add_u32_e32 v2, 12, v73
	v_cmp_ne_u32_e32 vcc, v58, v59
	v_mov_b64_e32 v[34:35], 0
	s_mov_b64 s[38:39], 0
	v_cndmask_b32_e64 v33, 0, 1, vcc
	v_cmp_gt_u32_e32 vcc, s3, v2
	s_waitcnt lgkmcnt(0)
	v_mov_b32_e32 v32, v60
	v_mov_b64_e32 v[36:37], v[34:35]
	v_mov_b64_e32 v[38:39], v[34:35]
	;; [unrolled: 1-line block ×9, first 2 shown]
                                        ; implicit-def: $sgpr36_sgpr37
                                        ; implicit-def: $vgpr3
	s_and_saveexec_b64 s[34:35], vcc
	s_cbranch_execz .LBB42_128
; %bb.109:
	v_add_u32_e32 v2, 13, v73
	v_cmp_ne_u32_e32 vcc, v59, v56
	v_mov_b64_e32 v[36:37], 0
	v_mov_b32_e32 v34, v61
	v_cndmask_b32_e64 v35, 0, 1, vcc
	v_cmp_gt_u32_e32 vcc, s3, v2
	v_mov_b64_e32 v[38:39], v[36:37]
	v_mov_b64_e32 v[40:41], v[36:37]
	;; [unrolled: 1-line block ×8, first 2 shown]
                                        ; implicit-def: $sgpr40_sgpr41
                                        ; implicit-def: $vgpr3
	s_and_saveexec_b64 s[36:37], vcc
	s_cbranch_execz .LBB42_127
; %bb.110:
	ds_read2_b32 v[58:59], v1 offset0:13 offset1:14
	v_add_u32_e32 v2, 14, v73
	v_cmp_ne_u32_e32 vcc, v56, v57
	v_mov_b64_e32 v[38:39], 0
	s_mov_b64 s[42:43], 0
	v_cndmask_b32_e64 v37, 0, 1, vcc
	v_cmp_gt_u32_e32 vcc, s3, v2
	s_waitcnt lgkmcnt(0)
	v_mov_b32_e32 v36, v58
	v_mov_b64_e32 v[40:41], v[38:39]
	v_mov_b64_e32 v[42:43], v[38:39]
	;; [unrolled: 1-line block ×7, first 2 shown]
                                        ; implicit-def: $sgpr40_sgpr41
                                        ; implicit-def: $vgpr3
	s_and_saveexec_b64 s[38:39], vcc
	s_cbranch_execz .LBB42_126
; %bb.111:
	v_add_u32_e32 v2, 15, v73
	v_cmp_ne_u32_e32 vcc, v57, v54
	v_mov_b64_e32 v[40:41], 0
	v_mov_b32_e32 v38, v59
	v_cndmask_b32_e64 v39, 0, 1, vcc
	v_cmp_gt_u32_e32 vcc, s3, v2
	v_mov_b64_e32 v[42:43], v[40:41]
	v_mov_b64_e32 v[44:45], v[40:41]
	v_mov_b64_e32 v[46:47], v[40:41]
	v_mov_b64_e32 v[48:49], v[40:41]
	v_mov_b64_e32 v[50:51], v[40:41]
	v_mov_b64_e32 v[52:53], v[40:41]
                                        ; implicit-def: $sgpr44_sgpr45
                                        ; implicit-def: $vgpr3
	s_and_saveexec_b64 s[40:41], vcc
	s_cbranch_execz .LBB42_125
; %bb.112:
	ds_read2_b32 v[56:57], v1 offset0:15 offset1:16
	v_add_u32_e32 v2, 16, v73
	v_cmp_ne_u32_e32 vcc, v54, v55
	v_mov_b64_e32 v[42:43], 0
	s_mov_b64 s[46:47], 0
	v_cndmask_b32_e64 v41, 0, 1, vcc
	v_cmp_gt_u32_e32 vcc, s3, v2
	s_waitcnt lgkmcnt(0)
	v_mov_b32_e32 v40, v56
	v_mov_b64_e32 v[44:45], v[42:43]
	v_mov_b64_e32 v[46:47], v[42:43]
	;; [unrolled: 1-line block ×5, first 2 shown]
                                        ; implicit-def: $sgpr44_sgpr45
                                        ; implicit-def: $vgpr3
	s_and_saveexec_b64 s[42:43], vcc
	s_cbranch_execz .LBB42_124
; %bb.113:
	v_add_u32_e32 v2, 17, v73
	v_cmp_ne_u32_e32 vcc, v55, v8
	v_mov_b64_e32 v[44:45], 0
	v_mov_b32_e32 v42, v57
	v_cndmask_b32_e64 v43, 0, 1, vcc
	v_cmp_gt_u32_e32 vcc, s3, v2
	v_mov_b64_e32 v[46:47], v[44:45]
	v_mov_b64_e32 v[48:49], v[44:45]
	;; [unrolled: 1-line block ×4, first 2 shown]
                                        ; implicit-def: $sgpr48_sgpr49
                                        ; implicit-def: $vgpr3
	s_and_saveexec_b64 s[44:45], vcc
	s_cbranch_execz .LBB42_123
; %bb.114:
	ds_read2_b32 v[54:55], v1 offset0:17 offset1:18
	v_add_u32_e32 v2, 18, v73
	v_cmp_ne_u32_e32 vcc, v8, v9
	v_mov_b64_e32 v[46:47], 0
	s_mov_b64 s[50:51], 0
	v_cndmask_b32_e64 v45, 0, 1, vcc
	v_cmp_gt_u32_e32 vcc, s3, v2
	s_waitcnt lgkmcnt(0)
	v_mov_b32_e32 v44, v54
	v_mov_b64_e32 v[48:49], v[46:47]
	v_mov_b64_e32 v[50:51], v[46:47]
	;; [unrolled: 1-line block ×3, first 2 shown]
                                        ; implicit-def: $sgpr48_sgpr49
                                        ; implicit-def: $vgpr3
	s_and_saveexec_b64 s[46:47], vcc
	s_cbranch_execz .LBB42_122
; %bb.115:
	v_add_u32_e32 v2, 19, v73
	v_cmp_ne_u32_e32 vcc, v9, v6
	v_mov_b64_e32 v[48:49], 0
	v_mov_b32_e32 v46, v55
	v_cndmask_b32_e64 v47, 0, 1, vcc
	v_cmp_gt_u32_e32 vcc, s3, v2
	v_mov_b64_e32 v[50:51], v[48:49]
	v_mov_b64_e32 v[52:53], v[48:49]
                                        ; implicit-def: $sgpr56_sgpr57
                                        ; implicit-def: $vgpr3
	s_and_saveexec_b64 s[48:49], vcc
	s_cbranch_execz .LBB42_121
; %bb.116:
	ds_read2_b32 v[8:9], v1 offset0:19 offset1:20
	v_add_u32_e32 v2, 20, v73
	v_cmp_ne_u32_e32 vcc, v6, v7
	v_mov_b64_e32 v[50:51], 0
	s_mov_b64 s[56:57], 0
	v_cndmask_b32_e64 v49, 0, 1, vcc
	v_cmp_gt_u32_e32 vcc, s3, v2
	s_waitcnt lgkmcnt(0)
	v_mov_b32_e32 v48, v8
	v_mov_b64_e32 v[52:53], v[50:51]
                                        ; implicit-def: $sgpr58_sgpr59
                                        ; implicit-def: $vgpr3
	s_and_saveexec_b64 s[50:51], vcc
	s_cbranch_execz .LBB42_120
; %bb.117:
	v_add_u32_e32 v2, 21, v73
	v_cmp_ne_u32_e32 vcc, v7, v4
	v_mov_b32_e32 v50, v9
	v_mov_b64_e32 v[52:53], 0
	v_cndmask_b32_e64 v51, 0, 1, vcc
	v_cmp_gt_u32_e32 vcc, s3, v2
                                        ; implicit-def: $sgpr58_sgpr59
                                        ; implicit-def: $vgpr3
	s_and_saveexec_b64 s[4:5], vcc
	s_xor_b64 s[60:61], exec, s[4:5]
	s_cbranch_execz .LBB42_119
; %bb.118:
	ds_read2_b32 v[2:3], v1 offset0:21 offset1:22
	v_add_u32_e32 v1, 22, v73
	v_cmp_ne_u32_e64 s[4:5], v4, v5
	v_cmp_ne_u32_e32 vcc, v5, v72
	s_and_b64 s[58:59], vcc, exec
	v_cndmask_b32_e64 v53, 0, 1, s[4:5]
	v_cmp_gt_u32_e64 s[4:5], s3, v1
	s_waitcnt lgkmcnt(0)
	v_mov_b32_e32 v52, v2
	s_and_b64 s[56:57], s[4:5], exec
.LBB42_119:
	s_or_b64 exec, exec, s[60:61]
	s_and_b64 s[58:59], s[58:59], exec
	s_and_b64 s[4:5], s[56:57], exec
.LBB42_120:
	s_or_b64 exec, exec, s[50:51]
	s_and_b64 s[56:57], s[58:59], exec
	s_and_b64 s[50:51], s[4:5], exec
.LBB42_121:
	s_or_b64 exec, exec, s[48:49]
	s_and_b64 s[48:49], s[56:57], exec
	s_and_b64 s[4:5], s[50:51], exec
.LBB42_122:
	s_or_b64 exec, exec, s[46:47]
	s_and_b64 s[48:49], s[48:49], exec
	s_and_b64 s[46:47], s[4:5], exec
.LBB42_123:
	s_or_b64 exec, exec, s[44:45]
	s_and_b64 s[44:45], s[48:49], exec
	s_and_b64 s[4:5], s[46:47], exec
.LBB42_124:
	s_or_b64 exec, exec, s[42:43]
	s_and_b64 s[44:45], s[44:45], exec
	s_and_b64 s[42:43], s[4:5], exec
.LBB42_125:
	s_or_b64 exec, exec, s[40:41]
	s_and_b64 s[40:41], s[44:45], exec
	s_and_b64 s[4:5], s[42:43], exec
.LBB42_126:
	s_or_b64 exec, exec, s[38:39]
	s_and_b64 s[40:41], s[40:41], exec
	s_and_b64 s[38:39], s[4:5], exec
.LBB42_127:
	s_or_b64 exec, exec, s[36:37]
	s_and_b64 s[36:37], s[40:41], exec
	s_and_b64 s[4:5], s[38:39], exec
.LBB42_128:
	s_or_b64 exec, exec, s[34:35]
	s_and_b64 s[36:37], s[36:37], exec
	s_and_b64 s[34:35], s[4:5], exec
.LBB42_129:
	s_or_b64 exec, exec, s[30:31]
	s_and_b64 s[30:31], s[36:37], exec
	s_and_b64 s[4:5], s[34:35], exec
.LBB42_130:
	s_or_b64 exec, exec, s[28:29]
	s_and_b64 s[30:31], s[30:31], exec
	s_and_b64 s[28:29], s[4:5], exec
.LBB42_131:
	s_or_b64 exec, exec, s[26:27]
	s_and_b64 s[26:27], s[30:31], exec
	s_and_b64 s[4:5], s[28:29], exec
.LBB42_132:
	s_or_b64 exec, exec, s[24:25]
	s_and_b64 s[26:27], s[26:27], exec
	s_and_b64 s[24:25], s[4:5], exec
.LBB42_133:
	s_or_b64 exec, exec, s[22:23]
	s_and_b64 s[22:23], s[26:27], exec
	s_and_b64 s[4:5], s[24:25], exec
.LBB42_134:
	s_or_b64 exec, exec, s[20:21]
	s_and_b64 s[22:23], s[22:23], exec
	s_and_b64 s[20:21], s[4:5], exec
.LBB42_135:
	s_or_b64 exec, exec, s[18:19]
	s_and_b64 s[18:19], s[22:23], exec
	s_and_b64 s[4:5], s[20:21], exec
.LBB42_136:
	s_or_b64 exec, exec, s[16:17]
	s_and_b64 s[18:19], s[18:19], exec
	s_and_b64 s[16:17], s[4:5], exec
.LBB42_137:
	s_or_b64 exec, exec, s[14:15]
	s_and_b64 s[14:15], s[18:19], exec
	s_and_b64 s[4:5], s[16:17], exec
.LBB42_138:
	s_or_b64 exec, exec, s[12:13]
	s_and_b64 s[14:15], s[14:15], exec
	s_and_b64 s[12:13], s[4:5], exec
.LBB42_139:
	s_or_b64 exec, exec, s[10:11]
	s_and_b64 s[10:11], s[14:15], exec
	s_and_b64 s[12:13], s[12:13], exec
.LBB42_140:
	s_or_b64 exec, exec, s[8:9]
	s_mov_b64 s[8:9], 0
	s_and_b64 vcc, exec, s[6:7]
	v_cmp_ne_u32_e64 s[4:5], 0, v0
	s_cbranch_vccz .LBB42_144
.LBB42_141:
	v_mov_b32_e32 v3, 0
	v_lshlrev_b32_e32 v2, 2, v0
	v_lshl_add_u64 v[4:5], s[54:55], 0, v[2:3]
	v_add_co_u32_e32 v6, vcc, 0x1000, v4
	s_waitcnt lgkmcnt(0)
	global_load_dword v10, v2, s[54:55]
	global_load_dword v11, v2, s[54:55] offset:1024
	global_load_dword v12, v2, s[54:55] offset:2048
	;; [unrolled: 1-line block ×3, first 2 shown]
	v_addc_co_u32_e32 v7, vcc, 0, v5, vcc
	v_add_co_u32_e32 v8, vcc, 0x2000, v4
	s_movk_i32 s7, 0x58
	s_nop 0
	v_addc_co_u32_e32 v9, vcc, 0, v5, vcc
	global_load_dword v14, v[6:7], off
	global_load_dword v15, v[6:7], off offset:1024
	global_load_dword v16, v[6:7], off offset:2048
	;; [unrolled: 1-line block ×3, first 2 shown]
	global_load_dword v18, v[8:9], off
	global_load_dword v19, v[8:9], off offset:1024
	global_load_dword v20, v[8:9], off offset:2048
	;; [unrolled: 1-line block ×3, first 2 shown]
	v_add_co_u32_e32 v6, vcc, 0x3000, v4
	s_sub_u32 s6, 0, s2
	s_nop 0
	v_addc_co_u32_e32 v7, vcc, 0, v5, vcc
	v_add_co_u32_e32 v8, vcc, 0x4000, v4
	v_mad_u32_u24 v1, v0, s7, v2
	s_nop 0
	v_addc_co_u32_e32 v9, vcc, 0, v5, vcc
	v_add_co_u32_e32 v4, vcc, 0x5000, v4
	global_load_dword v22, v[6:7], off
	global_load_dword v23, v[6:7], off offset:1024
	global_load_dword v24, v[6:7], off offset:2048
	;; [unrolled: 1-line block ×3, first 2 shown]
	global_load_dword v26, v[8:9], off
	global_load_dword v27, v[8:9], off offset:1024
	global_load_dword v28, v[8:9], off offset:2048
	global_load_dword v29, v[8:9], off offset:3072
	v_addc_co_u32_e32 v5, vcc, 0, v5, vcc
	global_load_dword v6, v[4:5], off
	global_load_dword v7, v[4:5], off offset:1024
	global_load_dword v8, v[4:5], off offset:2048
	s_subb_u32 s7, 0, 0
	s_cmp_eq_u64 s[6:7], s[72:73]
	s_cselect_b32 s6, 0, -4
	s_cselect_b32 s7, 0, -1
	s_add_u32 s6, s54, s6
	s_addc_u32 s7, s55, s7
	s_movk_i32 s11, 0x1000
	s_movk_i32 s10, 0x2000
	;; [unrolled: 1-line block ×5, first 2 shown]
	s_waitcnt vmcnt(21)
	ds_write2st64_b32 v2, v10, v11 offset1:4
	s_waitcnt vmcnt(19)
	ds_write2st64_b32 v2, v12, v13 offset0:8 offset1:12
	s_waitcnt vmcnt(17)
	ds_write2st64_b32 v2, v14, v15 offset0:16 offset1:20
	;; [unrolled: 2-line block ×10, first 2 shown]
	s_waitcnt vmcnt(0)
	ds_write_b32 v2, v8 offset:22528
	s_waitcnt lgkmcnt(0)
	s_barrier
	ds_read2_b32 v[14:15], v1 offset1:1
	ds_read2_b32 v[18:19], v1 offset0:2 offset1:3
	ds_read2_b32 v[22:23], v1 offset0:4 offset1:5
	;; [unrolled: 1-line block ×10, first 2 shown]
	ds_read_b32 v10, v1 offset:88
	s_load_dword s6, s[6:7], 0x0
	s_movk_i32 s7, 0xffa8
	v_mad_i32_i24 v11, v0, s7, v1
	s_waitcnt lgkmcnt(0)
	ds_write_b32 v11, v10 offset:23552
	v_mov_b32_e32 v11, s6
	s_waitcnt lgkmcnt(0)
	s_barrier
	s_and_saveexec_b64 s[6:7], s[4:5]
	s_cbranch_execz .LBB42_143
; %bb.142:
	v_mul_i32_i24_e32 v11, 0xffffffa8, v0
	v_add_u32_e32 v11, v1, v11
	ds_read_b32 v11, v11 offset:23548
.LBB42_143:
	s_or_b64 exec, exec, s[6:7]
	v_lshl_add_u64 v[12:13], s[52:53], 0, v[2:3]
	v_add_co_u32_e32 v16, vcc, s11, v12
	s_waitcnt lgkmcnt(0)
	s_nop 0
	v_addc_co_u32_e32 v17, vcc, 0, v13, vcc
	v_add_co_u32_e32 v20, vcc, s10, v12
	s_barrier
	s_nop 0
	v_addc_co_u32_e32 v21, vcc, 0, v13, vcc
	v_add_co_u32_e32 v24, vcc, s9, v12
	s_nop 1
	v_addc_co_u32_e32 v25, vcc, 0, v13, vcc
	v_add_co_u32_e32 v28, vcc, s8, v12
	global_load_dword v3, v2, s[52:53]
	global_load_dword v32, v2, s[52:53] offset:1024
	global_load_dword v33, v2, s[52:53] offset:2048
	;; [unrolled: 1-line block ×3, first 2 shown]
	global_load_dword v37, v[20:21], off offset:-4096
	global_load_dword v40, v[20:21], off
	global_load_dword v41, v[20:21], off offset:1024
	v_addc_co_u32_e32 v29, vcc, 0, v13, vcc
	v_add_co_u32_e32 v12, vcc, s3, v12
	global_load_dword v44, v[16:17], off offset:1024
	global_load_dword v45, v[16:17], off offset:2048
	;; [unrolled: 1-line block ×8, first 2 shown]
	global_load_dword v52, v[28:29], off offset:-4096
	global_load_dword v53, v[28:29], off
	global_load_dword v54, v[28:29], off offset:1024
	global_load_dword v55, v[28:29], off offset:2048
	;; [unrolled: 1-line block ×3, first 2 shown]
	v_addc_co_u32_e32 v13, vcc, 0, v13, vcc
	global_load_dword v16, v[12:13], off
	global_load_dword v20, v[12:13], off offset:1024
	global_load_dword v21, v[12:13], off offset:2048
	v_cmp_ne_u32_e32 vcc, v11, v14
	v_cmp_ne_u32_e64 s[10:11], v5, v10
	s_mov_b64 s[12:13], -1
	v_cndmask_b32_e64 v11, 0, 1, vcc
	v_cmp_ne_u32_e32 vcc, v14, v15
                                        ; implicit-def: $sgpr8_sgpr9
	s_waitcnt vmcnt(21)
	ds_write2st64_b32 v2, v3, v32 offset1:4
	s_waitcnt vmcnt(19)
	ds_write2st64_b32 v2, v33, v36 offset0:8 offset1:12
	s_waitcnt vmcnt(15)
	ds_write2st64_b32 v2, v37, v44 offset0:16 offset1:20
	;; [unrolled: 2-line block ×3, first 2 shown]
	ds_write2st64_b32 v2, v40, v41 offset0:32 offset1:36
	s_waitcnt vmcnt(8)
	ds_write2st64_b32 v2, v50, v51 offset0:40 offset1:44
	s_waitcnt vmcnt(7)
	ds_write2st64_b32 v2, v52, v47 offset0:48 offset1:52
	ds_write2st64_b32 v2, v48, v49 offset0:56 offset1:60
	s_waitcnt vmcnt(5)
	ds_write2st64_b32 v2, v53, v54 offset0:64 offset1:68
	s_waitcnt vmcnt(3)
	;; [unrolled: 2-line block ×4, first 2 shown]
	ds_write_b32 v2, v21 offset:22528
	v_cndmask_b32_e64 v13, 0, 1, vcc
	v_cmp_ne_u32_e32 vcc, v15, v18
	s_waitcnt lgkmcnt(0)
	s_barrier
	v_cndmask_b32_e64 v15, 0, 1, vcc
	v_cmp_ne_u32_e32 vcc, v18, v19
	ds_read2_b32 v[20:21], v1 offset1:1
	ds_read2_b32 v[24:25], v1 offset0:2 offset1:3
	ds_read2_b32 v[28:29], v1 offset0:4 offset1:5
	;; [unrolled: 1-line block ×10, first 2 shown]
	ds_read_b32 v3, v1 offset:88
	v_cndmask_b32_e64 v17, 0, 1, vcc
	v_cmp_ne_u32_e32 vcc, v19, v22
	s_waitcnt lgkmcnt(11)
	v_mov_b32_e32 v12, v21
	s_waitcnt lgkmcnt(10)
	v_mov_b32_e32 v16, v25
	v_cndmask_b32_e64 v19, 0, 1, vcc
	v_cmp_ne_u32_e32 vcc, v22, v23
	v_mov_b32_e32 v10, v20
	s_waitcnt lgkmcnt(9)
	v_mov_b32_e32 v20, v29
	v_cndmask_b32_e64 v21, 0, 1, vcc
	v_cmp_ne_u32_e32 vcc, v23, v26
	;; [unrolled: 5-line block ×8, first 2 shown]
	s_waitcnt lgkmcnt(1)
	v_mov_b32_e32 v52, v55
	v_cndmask_b32_e64 v35, 0, 1, vcc
	v_cmp_ne_u32_e32 vcc, v38, v39
	v_mov_b32_e32 v38, v46
	v_mov_b32_e32 v46, v50
	v_cndmask_b32_e64 v37, 0, 1, vcc
	v_cmp_ne_u32_e32 vcc, v39, v42
	v_mov_b32_e32 v50, v54
	s_nop 0
	v_cndmask_b32_e64 v39, 0, 1, vcc
	v_cmp_ne_u32_e32 vcc, v42, v43
	v_mov_b32_e32 v42, v48
	v_mov_b32_e32 v48, v51
	v_cndmask_b32_e64 v41, 0, 1, vcc
	v_cmp_ne_u32_e32 vcc, v43, v8
	s_nop 1
	v_cndmask_b32_e64 v43, 0, 1, vcc
	v_cmp_ne_u32_e32 vcc, v8, v9
	s_nop 1
	v_cndmask_b32_e64 v45, 0, 1, vcc
	v_cmp_ne_u32_e32 vcc, v9, v6
	s_nop 1
	v_cndmask_b32_e64 v47, 0, 1, vcc
	v_cmp_ne_u32_e32 vcc, v6, v7
	s_nop 1
	v_cndmask_b32_e64 v49, 0, 1, vcc
	v_cmp_ne_u32_e32 vcc, v7, v4
	s_nop 1
	v_cndmask_b32_e64 v51, 0, 1, vcc
	v_cmp_ne_u32_e32 vcc, v4, v5
	s_nop 1
	v_cndmask_b32_e64 v53, 0, 1, vcc
.LBB42_144:
	v_mov_b64_e32 v[54:55], s[8:9]
	s_and_saveexec_b64 s[4:5], s[12:13]
	s_cbranch_execz .LBB42_146
; %bb.145:
	v_cndmask_b32_e64 v55, 0, 1, s[10:11]
	s_waitcnt lgkmcnt(0)
	v_mov_b32_e32 v54, v3
.LBB42_146:
	s_or_b64 exec, exec, s[4:5]
	s_mov_b32 s48, 0
	s_cmp_lg_u32 s2, 0
	v_or_b32_e32 v72, v55, v53
	v_lshrrev_b32_e32 v1, 5, v0
	v_cmp_gt_u32_e32 vcc, 64, v0
	s_waitcnt lgkmcnt(0)
	s_barrier
	s_cbranch_scc0 .LBB42_181
; %bb.147:
	s_mov_b32 s49, 1
	v_cmp_gt_u64_e64 s[4:5], s[48:49], v[12:13]
	v_cmp_gt_u64_e64 s[6:7], s[48:49], v[14:15]
	v_cmp_gt_u64_e64 s[8:9], s[48:49], v[16:17]
	v_cndmask_b32_e64 v2, 0, v10, s[4:5]
	v_add_u32_e32 v2, v2, v12
	v_cndmask_b32_e64 v2, 0, v2, s[6:7]
	v_add_u32_e32 v2, v2, v14
	v_cndmask_b32_e64 v2, 0, v2, s[8:9]
	v_add_u32_e32 v2, v2, v16
	v_cmp_gt_u64_e64 s[10:11], s[48:49], v[18:19]
	v_cmp_gt_u64_e64 s[12:13], s[48:49], v[20:21]
	v_cmp_gt_u64_e64 s[14:15], s[48:49], v[22:23]
	v_cndmask_b32_e64 v2, 0, v2, s[10:11]
	v_add_u32_e32 v2, v2, v18
	v_cndmask_b32_e64 v2, 0, v2, s[12:13]
	v_add_u32_e32 v2, v2, v20
	v_cndmask_b32_e64 v2, 0, v2, s[14:15]
	v_add_u32_e32 v2, v2, v22
	;; [unrolled: 9-line block ×7, first 2 shown]
	v_cmp_gt_u64_e64 s[48:49], s[48:49], v[54:55]
	s_nop 1
	v_cndmask_b32_e64 v2, 0, v2, s[48:49]
	v_add_u32_e32 v60, v2, v54
	v_or3_b32 v2, v72, v51, v49
	v_or3_b32 v2, v2, v47, v45
	v_or3_b32 v2, v2, v43, v41
	v_or3_b32 v2, v2, v39, v37
	v_or3_b32 v2, v2, v35, v33
	v_or3_b32 v2, v2, v31, v29
	v_or3_b32 v2, v2, v27, v25
	v_or3_b32 v2, v2, v23, v21
	v_or3_b32 v2, v2, v19, v17
	v_or3_b32 v2, v2, v15, v13
	v_and_b32_e32 v2, 1, v2
	v_cmp_eq_u32_e64 s[50:51], 1, v2
	v_add_lshl_u32 v2, v1, v0, 3
	s_nop 0
	v_cndmask_b32_e64 v61, v11, 1, s[50:51]
	ds_write_b32 v2, v60
	ds_write_b8 v2, v61 offset:4
	s_waitcnt lgkmcnt(0)
	s_barrier
	s_and_saveexec_b64 s[72:73], vcc
	s_cbranch_execz .LBB42_159
; %bb.148:
	v_lshlrev_b32_e32 v2, 2, v0
	v_lshrrev_b32_e32 v3, 3, v0
	v_add_lshl_u32 v6, v3, v2, 3
	ds_read2_b32 v[2:3], v6 offset0:2 offset1:4
	ds_read_b64 v[4:5], v6
	ds_read_u8 v9, v6 offset:12
	ds_read_u8 v56, v6 offset:20
	ds_read_b32 v7, v6 offset:24
	ds_read_u8 v57, v6 offset:28
	s_waitcnt lgkmcnt(4)
	v_and_b32_e32 v8, 1, v5
	s_waitcnt lgkmcnt(3)
	v_cmp_eq_u16_e64 s[50:51], 0, v9
	v_and_b32_e32 v9, 1, v9
	s_waitcnt lgkmcnt(2)
	v_cmp_eq_u16_e64 s[52:53], 0, v56
	v_cndmask_b32_e64 v58, 0, v4, s[50:51]
	v_add_u32_e32 v58, v58, v2
	v_cmp_eq_u32_e64 s[56:57], 1, v9
	v_cndmask_b32_e64 v9, 0, v58, s[52:53]
	v_add_u32_e32 v9, v9, v3
	s_waitcnt lgkmcnt(0)
	v_cmp_eq_u16_e64 s[54:55], 0, v57
	v_and_b32_e32 v56, 1, v56
	v_cmp_eq_u32_e64 s[58:59], 1, v56
	v_cndmask_b32_e64 v9, 0, v9, s[54:55]
	v_add_u32_e32 v56, v9, v7
	v_and_b32_e32 v9, 1, v57
	v_cmp_eq_u32_e64 s[60:61], 1, v9
	s_or_b64 s[62:63], s[60:61], s[58:59]
	s_or_b64 s[62:63], s[62:63], s[56:57]
	v_mbcnt_lo_u32_b32 v57, -1, 0
	v_cndmask_b32_e64 v58, v8, 1, s[62:63]
	v_and_b32_e32 v9, 0xffffff00, v5
	v_mbcnt_hi_u32_b32 v57, -1, v57
	v_and_b32_e32 v63, 15, v57
	v_or_b32_sdwa v59, v9, v58 dst_sel:DWORD dst_unused:UNUSED_PAD src0_sel:DWORD src1_sel:WORD_0
	v_mov_b32_dpp v62, v56 row_shr:1 row_mask:0xf bank_mask:0xf
	v_cmp_ne_u32_e64 s[62:63], 0, v63
	v_mov_b32_dpp v64, v59 row_shr:1 row_mask:0xf bank_mask:0xf
	s_and_saveexec_b64 s[74:75], s[62:63]
; %bb.149:
	v_and_b32_e32 v59, 1, v58
	v_and_b32_e32 v64, 1, v64
	v_cmp_eq_u32_e64 s[62:63], 1, v59
	s_nop 1
	v_cndmask_b32_e64 v64, v64, 1, s[62:63]
	v_cmp_eq_u16_e64 s[62:63], 0, v58
	v_or_b32_sdwa v59, v9, v64 dst_sel:DWORD dst_unused:UNUSED_PAD src0_sel:DWORD src1_sel:WORD_0
	s_nop 0
	v_cndmask_b32_e64 v58, 0, v62, s[62:63]
	v_add_u32_e32 v56, v58, v56
	v_mov_b32_e32 v58, v64
; %bb.150:
	s_or_b64 exec, exec, s[74:75]
	v_mov_b32_dpp v64, v56 row_shr:2 row_mask:0xf bank_mask:0xf
	v_mov_b32_dpp v65, v59 row_shr:2 row_mask:0xf bank_mask:0xf
	v_cmp_lt_u32_e64 s[62:63], 1, v63
	v_mov_b32_e32 v62, v59
	s_and_saveexec_b64 s[74:75], s[62:63]
; %bb.151:
	v_and_b32_e32 v58, 1, v59
	v_and_b32_e32 v62, 1, v65
	v_cmp_eq_u32_e64 s[62:63], 1, v58
	s_nop 1
	v_cndmask_b32_e64 v58, v62, 1, s[62:63]
	v_mov_b32_e32 v62, 0
	v_cmp_eq_u16_sdwa s[62:63], v59, v62 src0_sel:BYTE_0 src1_sel:DWORD
	v_mov_b32_e32 v62, v58
	s_nop 0
	v_cndmask_b32_e64 v59, 0, v64, s[62:63]
	v_add_u32_e32 v56, v59, v56
	v_or_b32_sdwa v59, v9, v58 dst_sel:DWORD dst_unused:UNUSED_PAD src0_sel:DWORD src1_sel:WORD_0
; %bb.152:
	s_or_b64 exec, exec, s[74:75]
	v_mov_b32_dpp v64, v56 row_shr:4 row_mask:0xf bank_mask:0xf
	v_mov_b32_dpp v65, v59 row_shr:4 row_mask:0xf bank_mask:0xf
	v_cmp_lt_u32_e64 s[62:63], 3, v63
	s_and_saveexec_b64 s[74:75], s[62:63]
; %bb.153:
	v_and_b32_e32 v58, 1, v62
	v_and_b32_e32 v59, 1, v65
	v_cmp_eq_u32_e64 s[62:63], 1, v58
	s_nop 1
	v_cndmask_b32_e64 v58, v59, 1, s[62:63]
	v_mov_b32_e32 v59, 0
	v_cmp_eq_u16_sdwa s[62:63], v62, v59 src0_sel:BYTE_0 src1_sel:DWORD
	v_mov_b32_e32 v62, v58
	s_nop 0
	v_cndmask_b32_e64 v59, 0, v64, s[62:63]
	v_add_u32_e32 v56, v59, v56
	v_or_b32_sdwa v59, v9, v58 dst_sel:DWORD dst_unused:UNUSED_PAD src0_sel:DWORD src1_sel:WORD_0
; %bb.154:
	s_or_b64 exec, exec, s[74:75]
	v_mov_b32_dpp v64, v56 row_shr:8 row_mask:0xf bank_mask:0xf
	v_mov_b32_dpp v65, v59 row_shr:8 row_mask:0xf bank_mask:0xf
	v_cmp_lt_u32_e64 s[62:63], 7, v63
	s_and_saveexec_b64 s[74:75], s[62:63]
; %bb.155:
	v_and_b32_e32 v58, 1, v62
	v_and_b32_e32 v59, 1, v65
	v_cmp_eq_u32_e64 s[62:63], 1, v58
	s_nop 1
	v_cndmask_b32_e64 v58, v59, 1, s[62:63]
	v_mov_b32_e32 v59, 0
	v_cmp_eq_u16_sdwa s[62:63], v62, v59 src0_sel:BYTE_0 src1_sel:DWORD
	v_mov_b32_e32 v62, v58
	s_nop 0
	v_cndmask_b32_e64 v59, 0, v64, s[62:63]
	v_add_u32_e32 v56, v59, v56
	v_or_b32_sdwa v59, v9, v58 dst_sel:DWORD dst_unused:UNUSED_PAD src0_sel:DWORD src1_sel:WORD_0
; %bb.156:
	s_or_b64 exec, exec, s[74:75]
	v_and_b32_e32 v65, 16, v57
	v_mov_b32_dpp v63, v56 row_bcast:15 row_mask:0xf bank_mask:0xf
	v_mov_b32_dpp v64, v59 row_bcast:15 row_mask:0xf bank_mask:0xf
	v_cmp_ne_u32_e64 s[62:63], 0, v65
	s_and_saveexec_b64 s[74:75], s[62:63]
; %bb.157:
	v_and_b32_e32 v58, 1, v62
	v_and_b32_e32 v59, 1, v64
	v_cmp_eq_u32_e64 s[62:63], 1, v58
	s_nop 1
	v_cndmask_b32_e64 v58, v59, 1, s[62:63]
	v_mov_b32_e32 v59, 0
	v_cmp_eq_u16_sdwa s[62:63], v62, v59 src0_sel:BYTE_0 src1_sel:DWORD
	v_mov_b32_e32 v62, v58
	s_nop 0
	v_cndmask_b32_e64 v59, 0, v63, s[62:63]
	v_add_u32_e32 v56, v59, v56
	v_or_b32_sdwa v59, v9, v58 dst_sel:DWORD dst_unused:UNUSED_PAD src0_sel:DWORD src1_sel:WORD_0
; %bb.158:
	s_or_b64 exec, exec, s[74:75]
	s_nop 0
	v_mov_b32_dpp v59, v59 row_bcast:31 row_mask:0xf bank_mask:0xf
	v_and_b32_e32 v64, 1, v62
	v_and_b32_e32 v59, 1, v59
	v_cmp_eq_u32_e64 s[62:63], 1, v64
	v_mov_b32_e32 v64, 0
	v_cmp_eq_u16_sdwa s[74:75], v62, v64 src0_sel:BYTE_0 src1_sel:DWORD
	v_cndmask_b32_e64 v59, v59, 1, s[62:63]
	v_cmp_lt_u32_e64 s[62:63], 31, v57
	v_mov_b32_dpp v63, v56 row_bcast:31 row_mask:0xf bank_mask:0xf
	v_and_b32_e32 v62, 64, v57
	v_cndmask_b32_e64 v58, v58, v59, s[62:63]
	s_and_b64 s[62:63], s[62:63], s[74:75]
	v_cndmask_b32_e64 v59, 0, v63, s[62:63]
	v_add_u32_e32 v56, v59, v56
	v_add_u32_e32 v59, -1, v57
	v_cmp_lt_i32_e64 s[62:63], v59, v62
	v_or_b32_sdwa v9, v9, v58 dst_sel:DWORD dst_unused:UNUSED_PAD src0_sel:DWORD src1_sel:WORD_0
	s_nop 0
	v_cndmask_b32_e64 v57, v59, v57, s[62:63]
	v_lshlrev_b32_e32 v57, 2, v57
	ds_bpermute_b32 v56, v57, v56
	ds_bpermute_b32 v9, v57, v9
	v_cmp_eq_u16_sdwa s[62:63], v5, v64 src0_sel:BYTE_0 src1_sel:DWORD
	s_waitcnt lgkmcnt(1)
	s_nop 0
	v_cndmask_b32_e64 v5, 0, v56, s[62:63]
	v_add_u32_e32 v4, v5, v4
	s_waitcnt lgkmcnt(0)
	v_and_b32_e32 v5, 1, v9
	v_cmp_eq_u32_e64 s[62:63], 1, v8
	s_nop 1
	v_cndmask_b32_e64 v5, v5, 1, s[62:63]
	v_cmp_eq_u32_e64 s[62:63], 0, v0
	s_nop 1
	v_cndmask_b32_e64 v4, v4, v60, s[62:63]
	v_cndmask_b32_e64 v8, 0, v4, s[50:51]
	;; [unrolled: 1-line block ×3, first 2 shown]
	v_add_u32_e32 v2, v8, v2
	ds_write_b8 v6, v5 offset:4
	v_cndmask_b32_e64 v5, v5, 1, s[56:57]
	ds_write2_b32 v6, v4, v2 offset1:2
	ds_write_b8 v6, v5 offset:12
	v_cndmask_b32_e64 v2, 0, v2, s[52:53]
	v_add_u32_e32 v2, v2, v3
	v_cndmask_b32_e64 v4, 0, v2, s[54:55]
	v_cndmask_b32_e64 v3, v5, 1, s[58:59]
	v_add_u32_e32 v4, v4, v7
	ds_write_b8 v6, v3 offset:20
	v_cndmask_b32_e64 v3, v3, 1, s[60:61]
	ds_write2_b32 v6, v2, v4 offset0:4 offset1:6
	ds_write_b8 v6, v3 offset:28
.LBB42_159:
	s_or_b64 exec, exec, s[72:73]
	v_cmp_eq_u32_e64 s[50:51], 0, v0
	v_cmp_ne_u32_e64 s[52:53], 0, v0
	s_waitcnt lgkmcnt(0)
	s_barrier
	s_and_saveexec_b64 s[54:55], s[52:53]
	s_cbranch_execz .LBB42_161
; %bb.160:
	v_add_u32_e32 v2, -1, v0
	v_lshrrev_b32_e32 v3, 5, v2
	v_add_lshl_u32 v2, v3, v2, 3
	ds_read_b32 v60, v2
	ds_read_u8 v61, v2 offset:4
.LBB42_161:
	s_or_b64 exec, exec, s[54:55]
	s_and_saveexec_b64 s[56:57], vcc
	s_cbranch_execz .LBB42_180
; %bb.162:
	v_mov_b32_e32 v5, 0
	ds_read_b64 v[2:3], v5 offset:2096
	v_mbcnt_lo_u32_b32 v4, -1, 0
	v_mbcnt_hi_u32_b32 v71, -1, v4
	s_mov_b32 s59, 0
	v_cmp_eq_u32_e64 s[52:53], 0, v71
	s_waitcnt lgkmcnt(0)
	v_readfirstlane_b32 s3, v3
	s_and_saveexec_b64 s[54:55], s[52:53]
	s_cbranch_execz .LBB42_164
; %bb.163:
	s_add_i32 s58, s2, 64
	s_lshl_b64 s[60:61], s[58:59], 4
	s_add_u32 s60, s68, s60
	s_addc_u32 s61, s69, s61
	s_and_b32 s63, s3, 0xff000000
	s_mov_b32 s62, s59
	s_and_b32 s73, s3, 0xff0000
	s_mov_b32 s72, s59
	s_or_b64 s[62:63], s[72:73], s[62:63]
	s_and_b32 s73, s3, 0xff00
	s_or_b64 s[62:63], s[62:63], s[72:73]
	s_and_b32 s73, s3, 0xff
	s_or_b64 s[58:59], s[62:63], s[72:73]
	v_mov_b32_e32 v3, s59
	v_mov_b32_e32 v4, 1
	v_mov_b64_e32 v[6:7], s[60:61]
	;;#ASMSTART
	global_store_dwordx4 v[6:7], v[2:5] off sc1	
s_waitcnt vmcnt(0)
	;;#ASMEND
.LBB42_164:
	s_or_b64 exec, exec, s[54:55]
	v_xad_u32 v56, v71, -1, s2
	v_add_u32_e32 v4, 64, v56
	v_lshl_add_u64 v[58:59], v[4:5], 4, s[68:69]
	;;#ASMSTART
	global_load_dwordx4 v[6:9], v[58:59] off sc1	
s_waitcnt vmcnt(0)
	;;#ASMEND
	s_nop 0
	v_cmp_eq_u16_sdwa s[58:59], v8, v5 src0_sel:BYTE_0 src1_sel:DWORD
	s_and_saveexec_b64 s[54:55], s[58:59]
	s_cbranch_execz .LBB42_168
; %bb.165:
	s_mov_b64 s[58:59], 0
	v_mov_b32_e32 v3, 0
.LBB42_166:                             ; =>This Inner Loop Header: Depth=1
	;;#ASMSTART
	global_load_dwordx4 v[6:9], v[58:59] off sc1	
s_waitcnt vmcnt(0)
	;;#ASMEND
	s_nop 0
	v_cmp_ne_u16_sdwa s[60:61], v8, v3 src0_sel:BYTE_0 src1_sel:DWORD
	s_or_b64 s[58:59], s[60:61], s[58:59]
	s_andn2_b64 exec, exec, s[58:59]
	s_cbranch_execnz .LBB42_166
; %bb.167:
	s_or_b64 exec, exec, s[58:59]
.LBB42_168:
	s_or_b64 exec, exec, s[54:55]
	v_mov_b32_e32 v3, 2
	v_cmp_eq_u16_sdwa s[54:55], v8, v3 src0_sel:BYTE_0 src1_sel:DWORD
	v_lshlrev_b64 v[4:5], v71, -1
	v_and_b32_e32 v74, 63, v71
	v_and_b32_e32 v9, s55, v5
	v_or_b32_e32 v9, 0x80000000, v9
	v_and_b32_e32 v57, s54, v4
	v_ffbl_b32_e32 v9, v9
	v_add_u32_e32 v9, 32, v9
	v_ffbl_b32_e32 v57, v57
	v_cmp_ne_u32_e32 vcc, 63, v74
	v_min_u32_e32 v9, v57, v9
	v_and_b32_e32 v59, 0xff, v7
	v_addc_co_u32_e32 v57, vcc, 0, v71, vcc
	v_lshlrev_b32_e32 v62, 2, v57
	ds_bpermute_b32 v57, v62, v59
	ds_bpermute_b32 v64, v62, v6
	s_mov_b32 s58, 0
	v_and_b32_e32 v7, 1, v7
	v_mov_b32_e32 v58, v6
	s_mov_b32 s59, 1
	s_waitcnt lgkmcnt(1)
	v_and_b32_e32 v57, 1, v57
	v_cmp_eq_u32_e32 vcc, 1, v7
	v_add_u32_e32 v63, 1, v71
	v_add_u32_e32 v65, 2, v71
	v_cndmask_b32_e64 v7, v57, 1, vcc
	v_cmp_gt_u64_e32 vcc, s[58:59], v[58:59]
	v_and_b32_e32 v57, 0xffff, v7
	v_add_u32_e32 v67, 4, v71
	s_waitcnt lgkmcnt(0)
	v_cndmask_b32_e32 v58, 0, v64, vcc
	v_cmp_gt_u32_e32 vcc, v63, v9
	v_add_u32_e32 v69, 8, v71
	v_add_u32_e32 v73, 16, v71
	v_cndmask_b32_e32 v7, v7, v59, vcc
	v_cndmask_b32_e64 v58, v58, 0, vcc
	v_cndmask_b32_e32 v57, v57, v59, vcc
	v_cmp_gt_u32_e32 vcc, 62, v74
	v_add_u32_e32 v6, v58, v6
	v_and_b32_e32 v66, 1, v7
	v_cndmask_b32_e64 v59, 0, 1, vcc
	v_lshlrev_b32_e32 v59, 1, v59
	v_add_lshl_u32 v64, v59, v71, 2
	ds_bpermute_b32 v59, v64, v57
	ds_bpermute_b32 v58, v64, v6
	v_cmp_eq_u32_e32 vcc, 1, v66
	v_cmp_gt_u32_e64 s[54:55], 32, v74
	s_waitcnt lgkmcnt(1)
	v_and_b32_e32 v59, 1, v59
	v_cndmask_b32_e64 v59, v59, 1, vcc
	v_cmp_eq_u16_e32 vcc, 0, v7
	v_and_b32_e32 v66, 0xffff, v59
	s_waitcnt lgkmcnt(0)
	v_cndmask_b32_e32 v58, 0, v58, vcc
	v_cmp_gt_u32_e32 vcc, v65, v9
	s_nop 1
	v_cndmask_b32_e32 v7, v59, v7, vcc
	v_cndmask_b32_e64 v58, v58, 0, vcc
	v_cndmask_b32_e32 v57, v66, v57, vcc
	v_cmp_gt_u32_e32 vcc, 60, v74
	v_add_u32_e32 v6, v58, v6
	v_and_b32_e32 v68, 1, v7
	v_cndmask_b32_e64 v59, 0, 1, vcc
	v_lshlrev_b32_e32 v59, 2, v59
	v_add_lshl_u32 v66, v59, v71, 2
	ds_bpermute_b32 v59, v66, v57
	ds_bpermute_b32 v58, v66, v6
	v_cmp_eq_u32_e32 vcc, 1, v68
	s_waitcnt lgkmcnt(1)
	v_and_b32_e32 v59, 1, v59
	v_cndmask_b32_e64 v59, v59, 1, vcc
	v_cmp_eq_u16_e32 vcc, 0, v7
	v_and_b32_e32 v68, 0xffff, v59
	s_waitcnt lgkmcnt(0)
	v_cndmask_b32_e32 v58, 0, v58, vcc
	v_cmp_gt_u32_e32 vcc, v67, v9
	s_nop 1
	v_cndmask_b32_e32 v7, v59, v7, vcc
	v_cndmask_b32_e64 v58, v58, 0, vcc
	v_cndmask_b32_e32 v57, v68, v57, vcc
	v_cmp_gt_u32_e32 vcc, 56, v74
	v_add_u32_e32 v6, v58, v6
	v_and_b32_e32 v70, 1, v7
	v_cndmask_b32_e64 v59, 0, 1, vcc
	v_lshlrev_b32_e32 v59, 3, v59
	v_add_lshl_u32 v68, v59, v71, 2
	ds_bpermute_b32 v59, v68, v57
	ds_bpermute_b32 v58, v68, v6
	v_cmp_eq_u32_e32 vcc, 1, v70
	s_waitcnt lgkmcnt(1)
	v_and_b32_e32 v59, 1, v59
	v_cndmask_b32_e64 v59, v59, 1, vcc
	v_cmp_eq_u16_e32 vcc, 0, v7
	v_and_b32_e32 v70, 0xffff, v59
	s_waitcnt lgkmcnt(0)
	v_cndmask_b32_e32 v58, 0, v58, vcc
	v_cmp_gt_u32_e32 vcc, v69, v9
	s_nop 1
	v_cndmask_b32_e32 v7, v59, v7, vcc
	v_cndmask_b32_e64 v58, v58, 0, vcc
	v_cndmask_b32_e32 v59, v70, v57, vcc
	v_cmp_gt_u32_e32 vcc, 48, v74
	v_add_u32_e32 v6, v58, v6
	v_and_b32_e32 v75, 1, v7
	v_cndmask_b32_e64 v57, 0, 1, vcc
	v_lshlrev_b32_e32 v57, 4, v57
	v_add_lshl_u32 v70, v57, v71, 2
	ds_bpermute_b32 v57, v70, v59
	ds_bpermute_b32 v58, v70, v6
	v_cmp_eq_u32_e32 vcc, 1, v75
	s_waitcnt lgkmcnt(1)
	v_and_b32_e32 v57, 1, v57
	v_cndmask_b32_e64 v75, v57, 1, vcc
	v_mov_b32_e32 v57, 0
	v_cmp_eq_u16_sdwa vcc, v7, v57 src0_sel:BYTE_0 src1_sel:DWORD
	v_and_b32_e32 v76, 0xffff, v75
	s_waitcnt lgkmcnt(0)
	v_cndmask_b32_e32 v58, 0, v58, vcc
	v_cmp_gt_u32_e32 vcc, v73, v9
	s_nop 1
	v_cndmask_b32_e64 v58, v58, 0, vcc
	v_add_u32_e32 v6, v58, v6
	v_cndmask_b32_e64 v58, 0, 1, s[54:55]
	v_lshlrev_b32_e32 v58, 5, v58
	v_cndmask_b32_e32 v7, v75, v7, vcc
	v_add_lshl_u32 v75, v58, v71, 2
	v_cndmask_b32_e32 v59, v76, v59, vcc
	ds_bpermute_b32 v58, v75, v6
	ds_bpermute_b32 v59, v75, v59
	v_add_u32_e32 v76, 32, v71
	v_cmp_eq_u16_sdwa vcc, v7, v57 src0_sel:BYTE_0 src1_sel:DWORD
	v_and_b32_e32 v71, 1, v7
	s_waitcnt lgkmcnt(0)
	v_and_b32_e32 v59, 1, v59
	v_cndmask_b32_e32 v58, 0, v58, vcc
	v_cmp_eq_u32_e32 vcc, 1, v71
	s_nop 1
	v_cndmask_b32_e64 v59, v59, 1, vcc
	v_cmp_gt_u32_e32 vcc, v76, v9
	s_nop 1
	v_cndmask_b32_e64 v9, v58, 0, vcc
	v_cndmask_b32_e32 v7, v59, v7, vcc
	v_add_u32_e32 v6, v9, v6
	s_branch .LBB42_170
.LBB42_169:                             ;   in Loop: Header=BB42_170 Depth=1
	s_or_b64 exec, exec, s[54:55]
	v_cmp_eq_u16_sdwa s[54:55], v8, v3 src0_sel:BYTE_0 src1_sel:DWORD
	v_and_b32_e32 v59, 0xff, v7
	ds_bpermute_b32 v78, v62, v59
	v_and_b32_e32 v9, s55, v5
	v_or_b32_e32 v9, 0x80000000, v9
	v_and_b32_e32 v77, s54, v4
	v_ffbl_b32_e32 v9, v9
	v_add_u32_e32 v9, 32, v9
	v_ffbl_b32_e32 v77, v77
	v_min_u32_e32 v9, v77, v9
	ds_bpermute_b32 v77, v62, v6
	v_and_b32_e32 v7, 1, v7
	v_mov_b32_e32 v58, v6
	s_waitcnt lgkmcnt(1)
	v_and_b32_e32 v78, 1, v78
	v_cmp_eq_u32_e32 vcc, 1, v7
	v_subrev_u32_e32 v56, 64, v56
	s_nop 0
	v_cndmask_b32_e64 v7, v78, 1, vcc
	v_cmp_gt_u64_e32 vcc, s[58:59], v[58:59]
	v_and_b32_e32 v78, 0xffff, v7
	s_waitcnt lgkmcnt(0)
	v_cndmask_b32_e32 v58, 0, v77, vcc
	v_cmp_gt_u32_e32 vcc, v63, v9
	s_nop 1
	v_cndmask_b32_e32 v7, v7, v59, vcc
	v_cndmask_b32_e32 v59, v78, v59, vcc
	ds_bpermute_b32 v77, v64, v59
	v_cndmask_b32_e64 v58, v58, 0, vcc
	v_add_u32_e32 v6, v58, v6
	ds_bpermute_b32 v58, v64, v6
	v_and_b32_e32 v78, 1, v7
	s_waitcnt lgkmcnt(1)
	v_and_b32_e32 v77, 1, v77
	v_cmp_eq_u32_e32 vcc, 1, v78
	s_nop 1
	v_cndmask_b32_e64 v77, v77, 1, vcc
	v_cmp_eq_u16_e32 vcc, 0, v7
	v_and_b32_e32 v78, 0xffff, v77
	s_waitcnt lgkmcnt(0)
	v_cndmask_b32_e32 v58, 0, v58, vcc
	v_cmp_gt_u32_e32 vcc, v65, v9
	s_nop 1
	v_cndmask_b32_e32 v59, v78, v59, vcc
	v_cndmask_b32_e32 v7, v77, v7, vcc
	ds_bpermute_b32 v77, v66, v59
	v_cndmask_b32_e64 v58, v58, 0, vcc
	v_add_u32_e32 v6, v58, v6
	ds_bpermute_b32 v58, v66, v6
	v_and_b32_e32 v78, 1, v7
	s_waitcnt lgkmcnt(1)
	v_and_b32_e32 v77, 1, v77
	v_cmp_eq_u32_e32 vcc, 1, v78
	s_nop 1
	v_cndmask_b32_e64 v77, v77, 1, vcc
	v_cmp_eq_u16_e32 vcc, 0, v7
	;; [unrolled: 18-line block ×3, first 2 shown]
	v_and_b32_e32 v78, 0xffff, v77
	s_waitcnt lgkmcnt(0)
	v_cndmask_b32_e32 v58, 0, v58, vcc
	v_cmp_gt_u32_e32 vcc, v69, v9
	s_nop 1
	v_cndmask_b32_e32 v59, v78, v59, vcc
	v_cndmask_b32_e32 v7, v77, v7, vcc
	ds_bpermute_b32 v77, v70, v59
	v_cndmask_b32_e64 v58, v58, 0, vcc
	v_add_u32_e32 v6, v58, v6
	ds_bpermute_b32 v58, v70, v6
	v_and_b32_e32 v78, 1, v7
	s_waitcnt lgkmcnt(1)
	v_and_b32_e32 v77, 1, v77
	v_cmp_eq_u32_e32 vcc, 1, v78
	s_nop 1
	v_cndmask_b32_e64 v77, v77, 1, vcc
	v_cmp_eq_u16_sdwa vcc, v7, v57 src0_sel:BYTE_0 src1_sel:DWORD
	s_waitcnt lgkmcnt(0)
	s_nop 0
	v_cndmask_b32_e32 v58, 0, v58, vcc
	v_cmp_gt_u32_e32 vcc, v73, v9
	s_nop 1
	v_cndmask_b32_e64 v58, v58, 0, vcc
	v_cndmask_b32_e32 v7, v77, v7, vcc
	v_add_u32_e32 v6, v58, v6
	v_and_b32_e32 v77, 0xffff, v77
	ds_bpermute_b32 v58, v75, v6
	v_cndmask_b32_e32 v59, v77, v59, vcc
	ds_bpermute_b32 v59, v75, v59
	v_cmp_eq_u16_sdwa vcc, v7, v57 src0_sel:BYTE_0 src1_sel:DWORD
	v_and_b32_e32 v77, 1, v7
	s_waitcnt lgkmcnt(1)
	v_cndmask_b32_e32 v58, 0, v58, vcc
	v_cmp_eq_u32_e32 vcc, 1, v77
	s_waitcnt lgkmcnt(0)
	s_nop 0
	v_cndmask_b32_e64 v59, v59, 1, vcc
	v_cmp_gt_u32_e32 vcc, v76, v9
	s_nop 1
	v_cndmask_b32_e64 v9, v58, 0, vcc
	v_cndmask_b32_e32 v7, v59, v7, vcc
	v_add_u32_e32 v6, v9, v6
	v_cmp_eq_u16_sdwa vcc, v71, v57 src0_sel:BYTE_0 src1_sel:DWORD
	v_and_b32_e32 v9, 1, v71
	v_and_b32_e32 v7, 1, v7
	v_cndmask_b32_e32 v6, 0, v6, vcc
	v_cmp_eq_u32_e32 vcc, 1, v9
	v_add_u32_e32 v6, v6, v74
	s_nop 0
	v_cndmask_b32_e64 v7, v7, 1, vcc
.LBB42_170:                             ; =>This Loop Header: Depth=1
                                        ;     Child Loop BB42_173 Depth 2
	v_cmp_ne_u16_sdwa s[54:55], v8, v3 src0_sel:BYTE_0 src1_sel:DWORD
	v_mov_b32_e32 v71, v7
	v_mov_b32_e32 v74, v6
	v_cndmask_b32_e64 v7, 0, 1, s[54:55]
	;;#ASMSTART
	;;#ASMEND
	s_nop 0
	v_cmp_ne_u32_e32 vcc, 0, v7
	s_cmp_lg_u64 vcc, exec
	s_cbranch_scc1 .LBB42_175
; %bb.171:                              ;   in Loop: Header=BB42_170 Depth=1
	v_lshl_add_u64 v[58:59], v[56:57], 4, s[68:69]
	;;#ASMSTART
	global_load_dwordx4 v[6:9], v[58:59] off sc1	
s_waitcnt vmcnt(0)
	;;#ASMEND
	s_nop 0
	v_cmp_eq_u16_sdwa s[60:61], v8, v57 src0_sel:BYTE_0 src1_sel:DWORD
	s_and_saveexec_b64 s[54:55], s[60:61]
	s_cbranch_execz .LBB42_169
; %bb.172:                              ;   in Loop: Header=BB42_170 Depth=1
	s_mov_b64 s[60:61], 0
.LBB42_173:                             ;   Parent Loop BB42_170 Depth=1
                                        ; =>  This Inner Loop Header: Depth=2
	;;#ASMSTART
	global_load_dwordx4 v[6:9], v[58:59] off sc1	
s_waitcnt vmcnt(0)
	;;#ASMEND
	s_nop 0
	v_cmp_ne_u16_sdwa s[62:63], v8, v57 src0_sel:BYTE_0 src1_sel:DWORD
	s_or_b64 s[60:61], s[62:63], s[60:61]
	s_andn2_b64 exec, exec, s[60:61]
	s_cbranch_execnz .LBB42_173
; %bb.174:                              ;   in Loop: Header=BB42_170 Depth=1
	s_or_b64 exec, exec, s[60:61]
	s_branch .LBB42_169
.LBB42_175:                             ;   in Loop: Header=BB42_170 Depth=1
                                        ; implicit-def: $vgpr7
                                        ; implicit-def: $vgpr6
                                        ; implicit-def: $vgpr8
	s_cbranch_execz .LBB42_170
; %bb.176:
	s_and_saveexec_b64 s[54:55], s[52:53]
	s_cbranch_execz .LBB42_178
; %bb.177:
	s_and_b32 s52, s3, 0xff
	s_cmp_eq_u32 s52, 0
	s_cselect_b64 vcc, -1, 0
	s_bitcmp1_b32 s3, 0
	s_mov_b32 s53, 0
	s_cselect_b64 s[58:59], -1, 0
	s_add_i32 s52, s2, 64
	s_lshl_b64 s[2:3], s[52:53], 4
	v_cndmask_b32_e32 v3, 0, v74, vcc
	s_add_u32 s2, s68, s2
	v_add_u32_e32 v2, v3, v2
	v_and_b32_e32 v3, 1, v71
	s_addc_u32 s3, s69, s3
	v_mov_b32_e32 v5, 0
	v_cndmask_b32_e64 v3, v3, 1, s[58:59]
	v_mov_b32_e32 v4, 2
	v_mov_b64_e32 v[6:7], s[2:3]
	;;#ASMSTART
	global_store_dwordx4 v[6:7], v[2:5] off sc1	
s_waitcnt vmcnt(0)
	;;#ASMEND
.LBB42_178:
	s_or_b64 exec, exec, s[54:55]
	s_and_b64 exec, exec, s[50:51]
	s_cbranch_execz .LBB42_180
; %bb.179:
	v_mov_b32_e32 v2, 0
	ds_write_b32 v2, v74
	ds_write_b8 v2, v71 offset:4
.LBB42_180:
	s_or_b64 exec, exec, s[56:57]
	s_mov_b32 s2, 0
	v_mov_b32_e32 v2, 0
	s_mov_b32 s3, 1
	s_waitcnt lgkmcnt(0)
	s_barrier
	ds_read_b32 v3, v2
	v_cmp_gt_u64_e32 vcc, s[2:3], v[10:11]
	v_and_b32_e32 v5, 1, v11
	s_nop 0
	v_cndmask_b32_e32 v4, 0, v60, vcc
	v_cmp_eq_u32_e32 vcc, 1, v5
	v_cndmask_b32_e64 v4, v4, 0, s[50:51]
	s_nop 0
	v_cndmask_b32_e64 v5, v61, 1, vcc
	v_cndmask_b32_e64 v5, v5, v11, s[50:51]
	v_cmp_eq_u16_sdwa vcc, v5, v2 src0_sel:BYTE_0 src1_sel:DWORD
	s_waitcnt lgkmcnt(0)
	s_nop 0
	v_cndmask_b32_e32 v2, 0, v3, vcc
	v_add3_u32 v70, v4, v10, v2
	v_cndmask_b32_e64 v2, 0, v70, s[4:5]
	v_add_u32_e32 v2, v2, v12
	v_cndmask_b32_e64 v3, 0, v2, s[6:7]
	v_add_u32_e32 v3, v3, v14
	;; [unrolled: 2-line block ×22, first 2 shown]
	s_branch .LBB42_201
.LBB42_181:
                                        ; implicit-def: $vgpr70_vgpr71
                                        ; implicit-def: $vgpr68_vgpr69
                                        ; implicit-def: $vgpr66_vgpr67
                                        ; implicit-def: $vgpr64_vgpr65
                                        ; implicit-def: $vgpr62_vgpr63
                                        ; implicit-def: $vgpr60_vgpr61
                                        ; implicit-def: $vgpr58_vgpr59
                                        ; implicit-def: $vgpr56_vgpr57
                                        ; implicit-def: $vgpr8_vgpr9
                                        ; implicit-def: $vgpr6_vgpr7
                                        ; implicit-def: $vgpr4_vgpr5
                                        ; implicit-def: $vgpr2_vgpr3
	s_cbranch_execz .LBB42_201
; %bb.182:
	s_cmp_lg_u64 s[76:77], 0
	s_cselect_b64 s[2:3], -1, 0
	v_cmp_eq_u32_e32 vcc, 0, v0
	s_mov_b32 s50, 0
	v_cmp_ne_u32_e64 s[4:5], 0, v0
	s_and_b64 s[2:3], vcc, s[2:3]
	s_and_saveexec_b64 s[6:7], s[2:3]
	s_cbranch_execz .LBB42_184
; %bb.183:
	v_mov_b32_e32 v2, 0
	global_load_ubyte v4, v2, s[76:77] offset:4
	s_load_dword s2, s[76:77], 0x0
	s_mov_b32 s51, 1
	v_and_b32_e32 v3, 1, v11
	s_waitcnt lgkmcnt(0)
	v_mov_b32_e32 v5, s2
	v_cmp_gt_u64_e64 s[2:3], s[50:51], v[10:11]
	s_waitcnt vmcnt(0)
	v_and_b32_e32 v4, 1, v4
	v_cndmask_b32_e64 v5, 0, v5, s[2:3]
	v_cmp_eq_u64_e64 s[2:3], 0, v[2:3]
	v_add_u32_e32 v10, v5, v10
	s_nop 0
	v_cndmask_b32_e64 v11, 1, v4, s[2:3]
.LBB42_184:
	s_or_b64 exec, exec, s[6:7]
	s_mov_b32 s51, 1
	v_cmp_gt_u64_e64 s[6:7], s[50:51], v[12:13]
	v_cmp_gt_u64_e64 s[8:9], s[50:51], v[14:15]
	v_cmp_gt_u64_e64 s[10:11], s[50:51], v[16:17]
	v_cndmask_b32_e64 v2, 0, v10, s[6:7]
	v_add_u32_e32 v2, v2, v12
	v_cndmask_b32_e64 v3, 0, v2, s[8:9]
	v_add_u32_e32 v3, v3, v14
	v_cndmask_b32_e64 v4, 0, v3, s[10:11]
	v_add_u32_e32 v4, v4, v16
	v_cmp_gt_u64_e64 s[12:13], s[50:51], v[18:19]
	v_cmp_gt_u64_e64 s[14:15], s[50:51], v[20:21]
	v_cmp_gt_u64_e64 s[16:17], s[50:51], v[22:23]
	v_cndmask_b32_e64 v5, 0, v4, s[12:13]
	v_add_u32_e32 v5, v5, v18
	v_cndmask_b32_e64 v6, 0, v5, s[14:15]
	v_add_u32_e32 v6, v6, v20
	v_cndmask_b32_e64 v7, 0, v6, s[16:17]
	v_add_u32_e32 v7, v7, v22
	;; [unrolled: 9-line block ×5, first 2 shown]
	v_cmp_gt_u64_e64 s[38:39], s[50:51], v[42:43]
	v_cmp_gt_u64_e64 s[40:41], s[50:51], v[44:45]
	;; [unrolled: 1-line block ×3, first 2 shown]
	v_cndmask_b32_e64 v63, 0, v62, s[38:39]
	v_add_u32_e32 v63, v63, v42
	v_or3_b32 v49, v72, v51, v49
	v_cndmask_b32_e64 v64, 0, v63, s[40:41]
	v_or3_b32 v45, v49, v47, v45
	v_add_u32_e32 v64, v64, v44
	v_cmp_gt_u64_e64 s[42:43], s[50:51], v[46:47]
	v_or3_b32 v41, v45, v43, v41
	v_or3_b32 v37, v41, v39, v37
	v_cndmask_b32_e64 v65, 0, v64, s[42:43]
	v_add_u32_e32 v65, v65, v46
	v_or3_b32 v33, v37, v35, v33
	v_cndmask_b32_e64 v66, 0, v65, s[44:45]
	v_or3_b32 v29, v33, v31, v29
	v_add_u32_e32 v66, v66, v48
	v_cmp_gt_u64_e64 s[46:47], s[50:51], v[50:51]
	v_or3_b32 v25, v29, v27, v25
	v_or3_b32 v21, v25, v23, v21
	v_cndmask_b32_e64 v67, 0, v66, s[46:47]
	v_add_u32_e32 v67, v67, v50
	v_cmp_gt_u64_e64 s[48:49], s[50:51], v[52:53]
	v_or3_b32 v17, v21, v19, v17
	v_or3_b32 v13, v17, v15, v13
	v_cndmask_b32_e64 v53, 0, v67, s[48:49]
	v_add_u32_e32 v68, v53, v52
	v_cmp_gt_u64_e64 s[50:51], s[50:51], v[54:55]
	v_and_b32_e32 v13, 1, v13
	v_cmp_eq_u32_e64 s[2:3], 1, v13
	v_cndmask_b32_e64 v53, 0, v68, s[50:51]
	v_add_u32_e32 v69, v53, v54
	v_cndmask_b32_e64 v13, v11, 1, s[2:3]
	v_add_lshl_u32 v1, v1, v0, 3
	v_cmp_gt_u32_e64 s[2:3], 64, v0
	ds_write_b32 v1, v69
	ds_write_b8 v1, v13 offset:4
	s_waitcnt lgkmcnt(0)
	s_barrier
	s_and_saveexec_b64 s[72:73], s[2:3]
	s_cbranch_execz .LBB42_196
; %bb.185:
	v_lshlrev_b32_e32 v1, 2, v0
	v_lshrrev_b32_e32 v15, 3, v0
	v_add_lshl_u32 v1, v15, v1, 3
	ds_read2_b32 v[70:71], v1 offset0:2 offset1:4
	ds_read_b64 v[72:73], v1
	ds_read_u8 v19, v1 offset:12
	ds_read_u8 v21, v1 offset:20
	ds_read_b32 v15, v1 offset:24
	ds_read_u8 v23, v1 offset:28
	s_waitcnt lgkmcnt(4)
	v_and_b32_e32 v17, 1, v73
	s_waitcnt lgkmcnt(3)
	v_cmp_eq_u16_e64 s[52:53], 0, v19
	v_and_b32_e32 v19, 1, v19
	s_waitcnt lgkmcnt(2)
	v_cmp_eq_u16_e64 s[54:55], 0, v21
	v_cndmask_b32_e64 v25, 0, v72, s[52:53]
	v_add_u32_e32 v25, v25, v70
	v_cmp_eq_u32_e64 s[58:59], 1, v19
	v_cndmask_b32_e64 v19, 0, v25, s[54:55]
	v_add_u32_e32 v19, v19, v71
	s_waitcnt lgkmcnt(0)
	v_cmp_eq_u16_e64 s[56:57], 0, v23
	v_and_b32_e32 v21, 1, v21
	v_cmp_eq_u32_e64 s[60:61], 1, v21
	v_cndmask_b32_e64 v19, 0, v19, s[56:57]
	v_add_u32_e32 v21, v19, v15
	v_and_b32_e32 v19, 1, v23
	v_cmp_eq_u32_e64 s[62:63], 1, v19
	s_or_b64 s[2:3], s[62:63], s[60:61]
	s_or_b64 s[2:3], s[2:3], s[58:59]
	v_mbcnt_lo_u32_b32 v23, -1, 0
	v_cndmask_b32_e64 v25, v17, 1, s[2:3]
	v_and_b32_e32 v19, 0xffffff00, v73
	v_mbcnt_hi_u32_b32 v23, -1, v23
	v_and_b32_e32 v31, 15, v23
	v_or_b32_sdwa v27, v19, v25 dst_sel:DWORD dst_unused:UNUSED_PAD src0_sel:DWORD src1_sel:WORD_0
	v_mov_b32_dpp v29, v21 row_shr:1 row_mask:0xf bank_mask:0xf
	v_cmp_ne_u32_e64 s[2:3], 0, v31
	v_mov_b32_dpp v33, v27 row_shr:1 row_mask:0xf bank_mask:0xf
	s_and_saveexec_b64 s[74:75], s[2:3]
; %bb.186:
	v_and_b32_e32 v27, 1, v25
	v_and_b32_e32 v33, 1, v33
	v_cmp_eq_u32_e64 s[2:3], 1, v27
	s_nop 1
	v_cndmask_b32_e64 v33, v33, 1, s[2:3]
	v_cmp_eq_u16_e64 s[2:3], 0, v25
	v_or_b32_sdwa v27, v19, v33 dst_sel:DWORD dst_unused:UNUSED_PAD src0_sel:DWORD src1_sel:WORD_0
	s_nop 0
	v_cndmask_b32_e64 v25, 0, v29, s[2:3]
	v_add_u32_e32 v21, v25, v21
	v_mov_b32_e32 v25, v33
; %bb.187:
	s_or_b64 exec, exec, s[74:75]
	v_mov_b32_dpp v33, v21 row_shr:2 row_mask:0xf bank_mask:0xf
	v_mov_b32_dpp v35, v27 row_shr:2 row_mask:0xf bank_mask:0xf
	v_cmp_lt_u32_e64 s[2:3], 1, v31
	v_mov_b32_e32 v29, v27
	s_and_saveexec_b64 s[74:75], s[2:3]
; %bb.188:
	v_and_b32_e32 v25, 1, v27
	v_and_b32_e32 v29, 1, v35
	v_cmp_eq_u32_e64 s[2:3], 1, v25
	s_nop 1
	v_cndmask_b32_e64 v25, v29, 1, s[2:3]
	v_mov_b32_e32 v29, 0
	v_cmp_eq_u16_sdwa s[2:3], v27, v29 src0_sel:BYTE_0 src1_sel:DWORD
	v_mov_b32_e32 v29, v25
	s_nop 0
	v_cndmask_b32_e64 v27, 0, v33, s[2:3]
	v_add_u32_e32 v21, v27, v21
	v_or_b32_sdwa v27, v19, v25 dst_sel:DWORD dst_unused:UNUSED_PAD src0_sel:DWORD src1_sel:WORD_0
; %bb.189:
	s_or_b64 exec, exec, s[74:75]
	v_mov_b32_dpp v33, v21 row_shr:4 row_mask:0xf bank_mask:0xf
	v_mov_b32_dpp v35, v27 row_shr:4 row_mask:0xf bank_mask:0xf
	v_cmp_lt_u32_e64 s[2:3], 3, v31
	s_and_saveexec_b64 s[74:75], s[2:3]
; %bb.190:
	v_and_b32_e32 v25, 1, v29
	v_and_b32_e32 v27, 1, v35
	v_cmp_eq_u32_e64 s[2:3], 1, v25
	s_nop 1
	v_cndmask_b32_e64 v25, v27, 1, s[2:3]
	v_mov_b32_e32 v27, 0
	v_cmp_eq_u16_sdwa s[2:3], v29, v27 src0_sel:BYTE_0 src1_sel:DWORD
	v_mov_b32_e32 v29, v25
	s_nop 0
	v_cndmask_b32_e64 v27, 0, v33, s[2:3]
	v_add_u32_e32 v21, v27, v21
	v_or_b32_sdwa v27, v19, v25 dst_sel:DWORD dst_unused:UNUSED_PAD src0_sel:DWORD src1_sel:WORD_0
; %bb.191:
	s_or_b64 exec, exec, s[74:75]
	v_mov_b32_dpp v33, v21 row_shr:8 row_mask:0xf bank_mask:0xf
	v_mov_b32_dpp v35, v27 row_shr:8 row_mask:0xf bank_mask:0xf
	v_cmp_lt_u32_e64 s[2:3], 7, v31
	s_and_saveexec_b64 s[74:75], s[2:3]
; %bb.192:
	v_and_b32_e32 v25, 1, v29
	v_and_b32_e32 v27, 1, v35
	v_cmp_eq_u32_e64 s[2:3], 1, v25
	s_nop 1
	v_cndmask_b32_e64 v25, v27, 1, s[2:3]
	v_mov_b32_e32 v27, 0
	v_cmp_eq_u16_sdwa s[2:3], v29, v27 src0_sel:BYTE_0 src1_sel:DWORD
	v_mov_b32_e32 v29, v25
	s_nop 0
	v_cndmask_b32_e64 v27, 0, v33, s[2:3]
	v_add_u32_e32 v21, v27, v21
	v_or_b32_sdwa v27, v19, v25 dst_sel:DWORD dst_unused:UNUSED_PAD src0_sel:DWORD src1_sel:WORD_0
; %bb.193:
	s_or_b64 exec, exec, s[74:75]
	v_and_b32_e32 v35, 16, v23
	v_mov_b32_dpp v31, v21 row_bcast:15 row_mask:0xf bank_mask:0xf
	v_mov_b32_dpp v33, v27 row_bcast:15 row_mask:0xf bank_mask:0xf
	v_cmp_ne_u32_e64 s[2:3], 0, v35
	s_and_saveexec_b64 s[74:75], s[2:3]
; %bb.194:
	v_and_b32_e32 v25, 1, v29
	v_and_b32_e32 v27, 1, v33
	v_cmp_eq_u32_e64 s[2:3], 1, v25
	s_nop 1
	v_cndmask_b32_e64 v25, v27, 1, s[2:3]
	v_mov_b32_e32 v27, 0
	v_cmp_eq_u16_sdwa s[2:3], v29, v27 src0_sel:BYTE_0 src1_sel:DWORD
	v_mov_b32_e32 v29, v25
	s_nop 0
	v_cndmask_b32_e64 v27, 0, v31, s[2:3]
	v_add_u32_e32 v21, v27, v21
	v_or_b32_sdwa v27, v19, v25 dst_sel:DWORD dst_unused:UNUSED_PAD src0_sel:DWORD src1_sel:WORD_0
; %bb.195:
	s_or_b64 exec, exec, s[74:75]
	s_nop 0
	v_mov_b32_dpp v27, v27 row_bcast:31 row_mask:0xf bank_mask:0xf
	v_and_b32_e32 v33, 1, v29
	v_and_b32_e32 v27, 1, v27
	v_cmp_eq_u32_e64 s[2:3], 1, v33
	v_mov_b32_e32 v33, 0
	v_cmp_eq_u16_sdwa s[74:75], v29, v33 src0_sel:BYTE_0 src1_sel:DWORD
	v_cndmask_b32_e64 v27, v27, 1, s[2:3]
	v_cmp_lt_u32_e64 s[2:3], 31, v23
	v_mov_b32_dpp v31, v21 row_bcast:31 row_mask:0xf bank_mask:0xf
	v_and_b32_e32 v29, 64, v23
	v_cndmask_b32_e64 v25, v25, v27, s[2:3]
	s_and_b64 s[2:3], s[2:3], s[74:75]
	v_cndmask_b32_e64 v27, 0, v31, s[2:3]
	v_add_u32_e32 v21, v27, v21
	v_add_u32_e32 v27, -1, v23
	v_cmp_lt_i32_e64 s[2:3], v27, v29
	v_or_b32_sdwa v19, v19, v25 dst_sel:DWORD dst_unused:UNUSED_PAD src0_sel:DWORD src1_sel:WORD_0
	s_nop 0
	v_cndmask_b32_e64 v23, v27, v23, s[2:3]
	v_lshlrev_b32_e32 v23, 2, v23
	ds_bpermute_b32 v21, v23, v21
	ds_bpermute_b32 v19, v23, v19
	v_cmp_eq_u16_sdwa s[2:3], v73, v33 src0_sel:BYTE_0 src1_sel:DWORD
	s_waitcnt lgkmcnt(0)
	v_and_b32_e32 v19, 1, v19
	v_cndmask_b32_e64 v21, 0, v21, s[2:3]
	v_add_u32_e32 v21, v21, v72
	v_cmp_eq_u32_e64 s[2:3], 1, v17
	s_nop 1
	v_cndmask_b32_e64 v17, v19, 1, s[2:3]
	v_cndmask_b32_e32 v19, v21, v69, vcc
	v_cndmask_b32_e32 v13, v17, v13, vcc
	v_cndmask_b32_e64 v17, 0, v19, s[52:53]
	v_add_u32_e32 v17, v17, v70
	ds_write_b8 v1, v13 offset:4
	v_cndmask_b32_e64 v13, v13, 1, s[58:59]
	ds_write2_b32 v1, v19, v17 offset1:2
	ds_write_b8 v1, v13 offset:12
	v_cndmask_b32_e64 v17, 0, v17, s[54:55]
	v_add_u32_e32 v17, v17, v71
	v_cndmask_b32_e64 v19, 0, v17, s[56:57]
	v_cndmask_b32_e64 v13, v13, 1, s[60:61]
	v_add_u32_e32 v15, v19, v15
	ds_write_b8 v1, v13 offset:20
	v_cndmask_b32_e64 v13, v13, 1, s[62:63]
	ds_write2_b32 v1, v17, v15 offset0:4 offset1:6
	ds_write_b8 v1, v13 offset:28
.LBB42_196:
	s_or_b64 exec, exec, s[72:73]
	v_mov_b32_e32 v1, v69
	s_waitcnt lgkmcnt(0)
	s_barrier
	s_and_saveexec_b64 s[2:3], s[4:5]
	s_cbranch_execz .LBB42_247
; %bb.197:
	v_add_u32_e32 v1, -1, v0
	v_lshrrev_b32_e32 v13, 5, v1
	v_add_lshl_u32 v1, v13, v1, 3
	ds_read_b32 v1, v1
	s_or_b64 exec, exec, s[2:3]
	s_and_saveexec_b64 s[52:53], s[4:5]
	s_cbranch_execnz .LBB42_248
.LBB42_198:
	s_or_b64 exec, exec, s[52:53]
	s_and_saveexec_b64 s[2:3], vcc
	s_cbranch_execz .LBB42_200
.LBB42_199:
	v_mov_b32_e32 v15, 0
	ds_read_b32 v12, v15 offset:2096
	ds_read_u8 v13, v15 offset:2100
	s_add_u32 s4, s68, 0x400
	s_addc_u32 s5, s69, 0
	v_mov_b32_e32 v14, 2
	v_mov_b64_e32 v[16:17], s[4:5]
	s_waitcnt lgkmcnt(0)
	;;#ASMSTART
	global_store_dwordx4 v[16:17], v[12:15] off sc1	
s_waitcnt vmcnt(0)
	;;#ASMEND
.LBB42_200:
	s_or_b64 exec, exec, s[2:3]
	v_mov_b64_e32 v[70:71], v[10:11]
.LBB42_201:
	s_load_dwordx2 s[0:1], s[0:1], 0x18
	s_lshl_b64 s[2:3], s[66:67], 3
	v_lshlrev_b32_e32 v10, 3, v0
	s_waitcnt lgkmcnt(0)
	s_add_u32 s0, s0, s2
	s_addc_u32 s1, s1, s3
	s_and_b64 vcc, exec, s[64:65]
	s_cbranch_vccz .LBB42_249
; %bb.202:
	v_mul_u32_u24_e32 v1, 23, v0
	v_lshlrev_b32_e32 v1, 2, v1
	s_movk_i32 s2, 0xffa8
	v_mad_i32_i24 v11, v0, s2, v1
	s_barrier
	ds_write_b32 v1, v70
	ds_write2_b32 v1, v2, v3 offset0:1 offset1:2
	ds_write2_b32 v1, v4, v5 offset0:3 offset1:4
	ds_write2_b32 v1, v6, v7 offset0:5 offset1:6
	ds_write2_b32 v1, v8, v9 offset0:7 offset1:8
	ds_write2_b32 v1, v56, v57 offset0:9 offset1:10
	ds_write2_b32 v1, v58, v59 offset0:11 offset1:12
	ds_write2_b32 v1, v60, v61 offset0:13 offset1:14
	ds_write2_b32 v1, v62, v63 offset0:15 offset1:16
	ds_write2_b32 v1, v64, v65 offset0:17 offset1:18
	ds_write2_b32 v1, v66, v67 offset0:19 offset1:20
	ds_write2_b32 v1, v68, v69 offset0:21 offset1:22
	s_waitcnt lgkmcnt(0)
	s_barrier
	ds_read2st64_b32 v[34:35], v11 offset0:4 offset1:8
	ds_read2st64_b32 v[32:33], v11 offset0:12 offset1:16
	;; [unrolled: 1-line block ×11, first 2 shown]
	s_add_i32 s33, s33, s70
	v_mov_b32_e32 v11, 0
	v_lshl_add_u64 v[14:15], s[0:1], 0, v[10:11]
	v_cmp_gt_u32_e32 vcc, s33, v0
	s_and_saveexec_b64 s[2:3], vcc
	s_cbranch_execz .LBB42_204
; %bb.203:
	v_mul_i32_i24_e32 v36, 0xffffffa8, v0
	v_add_u32_e32 v1, v1, v36
	ds_read_b32 v36, v1
	s_waitcnt lgkmcnt(0)
	v_ashrrev_i32_e32 v37, 31, v36
	global_store_dwordx2 v[14:15], v[36:37], off
.LBB42_204:
	s_or_b64 exec, exec, s[2:3]
	v_or_b32_e32 v1, 0x100, v0
	v_cmp_gt_u32_e32 vcc, s33, v1
	s_and_saveexec_b64 s[2:3], vcc
	s_cbranch_execz .LBB42_206
; %bb.205:
	s_waitcnt lgkmcnt(10)
	v_ashrrev_i32_e32 v37, 31, v34
	v_mov_b32_e32 v36, v34
	global_store_dwordx2 v[14:15], v[36:37], off offset:2048
.LBB42_206:
	s_or_b64 exec, exec, s[2:3]
	v_or_b32_e32 v1, 0x200, v0
	v_cmp_gt_u32_e32 vcc, s33, v1
	s_and_saveexec_b64 s[2:3], vcc
	s_cbranch_execz .LBB42_208
; %bb.207:
	s_waitcnt lgkmcnt(10)
	v_add_co_u32_e32 v34, vcc, 0x1000, v14
	v_ashrrev_i32_e32 v37, 31, v35
	v_mov_b32_e32 v36, v35
	v_addc_co_u32_e32 v35, vcc, 0, v15, vcc
	global_store_dwordx2 v[34:35], v[36:37], off
.LBB42_208:
	s_or_b64 exec, exec, s[2:3]
	v_or_b32_e32 v1, 0x300, v0
	v_cmp_gt_u32_e32 vcc, s33, v1
	s_and_saveexec_b64 s[2:3], vcc
	s_cbranch_execz .LBB42_210
; %bb.209:
	v_add_co_u32_e32 v36, vcc, 0x1000, v14
	s_waitcnt lgkmcnt(9)
	v_ashrrev_i32_e32 v35, 31, v32
	v_mov_b32_e32 v34, v32
	v_addc_co_u32_e32 v37, vcc, 0, v15, vcc
	global_store_dwordx2 v[36:37], v[34:35], off offset:2048
.LBB42_210:
	s_or_b64 exec, exec, s[2:3]
	v_or_b32_e32 v1, 0x400, v0
	v_cmp_gt_u32_e32 vcc, s33, v1
	s_and_saveexec_b64 s[2:3], vcc
	s_cbranch_execz .LBB42_212
; %bb.211:
	s_waitcnt lgkmcnt(9)
	v_add_co_u32_e32 v32, vcc, 0x2000, v14
	v_ashrrev_i32_e32 v35, 31, v33
	v_mov_b32_e32 v34, v33
	v_addc_co_u32_e32 v33, vcc, 0, v15, vcc
	global_store_dwordx2 v[32:33], v[34:35], off
.LBB42_212:
	s_or_b64 exec, exec, s[2:3]
	v_or_b32_e32 v1, 0x500, v0
	v_cmp_gt_u32_e32 vcc, s33, v1
	s_and_saveexec_b64 s[2:3], vcc
	s_cbranch_execz .LBB42_214
; %bb.213:
	s_waitcnt lgkmcnt(10)
	v_add_co_u32_e32 v34, vcc, 0x2000, v14
	s_waitcnt lgkmcnt(8)
	v_ashrrev_i32_e32 v33, 31, v30
	v_mov_b32_e32 v32, v30
	v_addc_co_u32_e32 v35, vcc, 0, v15, vcc
	global_store_dwordx2 v[34:35], v[32:33], off offset:2048
.LBB42_214:
	s_or_b64 exec, exec, s[2:3]
	v_or_b32_e32 v1, 0x600, v0
	v_cmp_gt_u32_e32 vcc, s33, v1
	s_and_saveexec_b64 s[2:3], vcc
	s_cbranch_execz .LBB42_216
; %bb.215:
	s_waitcnt lgkmcnt(8)
	v_add_co_u32_e32 v30, vcc, 0x3000, v14
	v_ashrrev_i32_e32 v33, 31, v31
	v_mov_b32_e32 v32, v31
	v_addc_co_u32_e32 v31, vcc, 0, v15, vcc
	global_store_dwordx2 v[30:31], v[32:33], off
.LBB42_216:
	s_or_b64 exec, exec, s[2:3]
	v_or_b32_e32 v1, 0x700, v0
	v_cmp_gt_u32_e32 vcc, s33, v1
	s_and_saveexec_b64 s[2:3], vcc
	s_cbranch_execz .LBB42_218
; %bb.217:
	s_waitcnt lgkmcnt(9)
	v_add_co_u32_e32 v32, vcc, 0x3000, v14
	s_waitcnt lgkmcnt(7)
	v_ashrrev_i32_e32 v31, 31, v28
	v_mov_b32_e32 v30, v28
	v_addc_co_u32_e32 v33, vcc, 0, v15, vcc
	global_store_dwordx2 v[32:33], v[30:31], off offset:2048
.LBB42_218:
	;; [unrolled: 27-line block ×8, first 2 shown]
	s_or_b64 exec, exec, s[2:3]
	v_or_b32_e32 v1, 0x1400, v0
	v_cmp_gt_u32_e32 vcc, s33, v1
	s_and_saveexec_b64 s[2:3], vcc
	s_cbranch_execz .LBB42_244
; %bb.243:
	s_waitcnt lgkmcnt(1)
	v_add_co_u32_e32 v16, vcc, 0xa000, v14
	v_ashrrev_i32_e32 v19, 31, v17
	v_mov_b32_e32 v18, v17
	v_addc_co_u32_e32 v17, vcc, 0, v15, vcc
	global_store_dwordx2 v[16:17], v[18:19], off
.LBB42_244:
	s_or_b64 exec, exec, s[2:3]
	v_or_b32_e32 v1, 0x1500, v0
	v_cmp_gt_u32_e32 vcc, s33, v1
	s_and_saveexec_b64 s[2:3], vcc
	s_cbranch_execz .LBB42_246
; %bb.245:
	v_add_co_u32_e32 v14, vcc, 0xa000, v14
	s_waitcnt lgkmcnt(0)
	v_ashrrev_i32_e32 v17, 31, v12
	v_mov_b32_e32 v16, v12
	v_addc_co_u32_e32 v15, vcc, 0, v15, vcc
	global_store_dwordx2 v[14:15], v[16:17], off offset:2048
.LBB42_246:
	s_or_b64 exec, exec, s[2:3]
	v_mov_b32_e32 v1, v11
	v_or_b32_e32 v11, 0x1600, v0
	v_cmp_gt_u32_e64 s[2:3], s33, v11
	s_branch .LBB42_251
.LBB42_247:
	s_or_b64 exec, exec, s[2:3]
	s_and_saveexec_b64 s[52:53], s[4:5]
	s_cbranch_execz .LBB42_198
.LBB42_248:
	s_mov_b32 s2, 0
	s_mov_b32 s3, 1
	v_cmp_gt_u64_e64 s[2:3], s[2:3], v[10:11]
	s_waitcnt lgkmcnt(0)
	s_nop 0
	v_cndmask_b32_e64 v1, 0, v1, s[2:3]
	v_add_u32_e32 v10, v1, v10
	v_cndmask_b32_e64 v1, 0, v10, s[6:7]
	v_add_u32_e32 v2, v1, v12
	;; [unrolled: 2-line block ×23, first 2 shown]
	s_or_b64 exec, exec, s[52:53]
	s_and_saveexec_b64 s[2:3], vcc
	s_cbranch_execnz .LBB42_199
	s_branch .LBB42_200
.LBB42_249:
	s_mov_b64 s[2:3], 0
                                        ; implicit-def: $vgpr13
	s_cbranch_execz .LBB42_251
; %bb.250:
	v_mul_u32_u24_e32 v1, 0x5c, v0
	s_waitcnt lgkmcnt(0)
	s_barrier
	s_movk_i32 s4, 0x5c
	ds_write_b32 v1, v70
	ds_write2_b32 v1, v2, v3 offset0:1 offset1:2
	ds_write2_b32 v1, v4, v5 offset0:3 offset1:4
	ds_write2_b32 v1, v6, v7 offset0:5 offset1:6
	ds_write2_b32 v1, v8, v9 offset0:7 offset1:8
	ds_write2_b32 v1, v56, v57 offset0:9 offset1:10
	ds_write2_b32 v1, v58, v59 offset0:11 offset1:12
	ds_write2_b32 v1, v60, v61 offset0:13 offset1:14
	ds_write2_b32 v1, v62, v63 offset0:15 offset1:16
	ds_write2_b32 v1, v64, v65 offset0:17 offset1:18
	ds_write2_b32 v1, v66, v67 offset0:19 offset1:20
	ds_write2_b32 v1, v68, v69 offset0:21 offset1:22
	v_mul_i32_i24_e32 v1, 0xffffffa8, v0
	v_mad_u32_u24 v11, v0, s4, v1
	s_waitcnt lgkmcnt(0)
	s_barrier
	ds_read2st64_b32 v[2:3], v11 offset1:4
	ds_read2st64_b32 v[6:7], v11 offset0:8 offset1:12
	ds_read2st64_b32 v[12:13], v11 offset0:24 offset1:28
	v_mov_b32_e32 v1, 0
	s_movk_i32 s4, 0x1000
	s_waitcnt lgkmcnt(2)
	v_ashrrev_i32_e32 v5, 31, v2
	v_mov_b32_e32 v4, v2
	v_ashrrev_i32_e32 v9, 31, v3
	v_mov_b32_e32 v8, v3
	ds_read2st64_b32 v[2:3], v11 offset0:16 offset1:20
	s_waitcnt lgkmcnt(2)
	v_ashrrev_i32_e32 v15, 31, v6
	v_mov_b32_e32 v14, v6
	v_ashrrev_i32_e32 v17, 31, v7
	v_mov_b32_e32 v16, v7
	s_waitcnt lgkmcnt(0)
	v_ashrrev_i32_e32 v7, 31, v2
	v_mov_b32_e32 v6, v2
	v_ashrrev_i32_e32 v19, 31, v3
	v_mov_b32_e32 v18, v3
	ds_read2st64_b32 v[2:3], v11 offset0:32 offset1:36
	v_ashrrev_i32_e32 v21, 31, v12
	v_mov_b32_e32 v20, v12
	v_ashrrev_i32_e32 v23, 31, v13
	v_mov_b32_e32 v22, v13
	ds_read2st64_b32 v[12:13], v11 offset0:40 offset1:44
	s_waitcnt lgkmcnt(1)
	v_ashrrev_i32_e32 v25, 31, v2
	v_mov_b32_e32 v24, v2
	v_ashrrev_i32_e32 v27, 31, v3
	v_mov_b32_e32 v26, v3
	ds_read2st64_b32 v[2:3], v11 offset0:48 offset1:52
	s_waitcnt lgkmcnt(1)
	;; [unrolled: 6-line block ×6, first 2 shown]
	v_ashrrev_i32_e32 v47, 31, v13
	v_mov_b32_e32 v46, v13
	ds_read_b32 v13, v11 offset:22528
	v_mov_b32_e32 v11, v1
	s_waitcnt lgkmcnt(1)
	v_ashrrev_i32_e32 v49, 31, v2
	v_mov_b32_e32 v48, v2
	v_ashrrev_i32_e32 v51, 31, v3
	v_mov_b32_e32 v50, v3
	v_lshl_add_u64 v[2:3], s[0:1], 0, v[10:11]
	global_store_dwordx2 v10, v[4:5], s[0:1]
	global_store_dwordx2 v10, v[8:9], s[0:1] offset:2048
	v_add_co_u32_e32 v4, vcc, s4, v2
	s_movk_i32 s4, 0x2000
	s_nop 0
	v_addc_co_u32_e32 v5, vcc, 0, v3, vcc
	v_add_co_u32_e32 v8, vcc, s4, v2
	s_movk_i32 s4, 0x3000
	s_nop 0
	v_addc_co_u32_e32 v9, vcc, 0, v3, vcc
	global_store_dwordx2 v[8:9], v[14:15], off offset:-4096
	global_store_dwordx2 v[4:5], v[16:17], off offset:2048
	global_store_dwordx2 v[8:9], v[6:7], off
	global_store_dwordx2 v[8:9], v[18:19], off offset:2048
	v_add_co_u32_e32 v4, vcc, s4, v2
	s_movk_i32 s4, 0x4000
	s_nop 0
	v_addc_co_u32_e32 v5, vcc, 0, v3, vcc
	v_add_co_u32_e32 v6, vcc, s4, v2
	s_movk_i32 s4, 0x5000
	s_nop 0
	v_addc_co_u32_e32 v7, vcc, 0, v3, vcc
	global_store_dwordx2 v[6:7], v[20:21], off offset:-4096
	global_store_dwordx2 v[4:5], v[22:23], off offset:2048
	global_store_dwordx2 v[6:7], v[24:25], off
	global_store_dwordx2 v[6:7], v[26:27], off offset:2048
	v_add_co_u32_e32 v4, vcc, s4, v2
	s_movk_i32 s4, 0x6000
	s_nop 0
	v_addc_co_u32_e32 v5, vcc, 0, v3, vcc
	v_add_co_u32_e32 v6, vcc, s4, v2
	s_movk_i32 s4, 0x7000
	s_nop 0
	v_addc_co_u32_e32 v7, vcc, 0, v3, vcc
	global_store_dwordx2 v[6:7], v[28:29], off offset:-4096
	global_store_dwordx2 v[4:5], v[30:31], off offset:2048
	global_store_dwordx2 v[6:7], v[32:33], off
	global_store_dwordx2 v[6:7], v[34:35], off offset:2048
	v_add_co_u32_e32 v4, vcc, s4, v2
	s_mov_b32 s4, 0x8000
	s_nop 0
	v_addc_co_u32_e32 v5, vcc, 0, v3, vcc
	v_add_co_u32_e32 v6, vcc, s4, v2
	v_ashrrev_i32_e32 v45, 31, v12
	s_nop 0
	v_addc_co_u32_e32 v7, vcc, 0, v3, vcc
	global_store_dwordx2 v[6:7], v[36:37], off offset:-4096
	global_store_dwordx2 v[4:5], v[38:39], off offset:2048
	global_store_dwordx2 v[6:7], v[40:41], off
	global_store_dwordx2 v[6:7], v[42:43], off offset:2048
	v_add_co_u32_e32 v4, vcc, 0x9000, v2
	v_mov_b32_e32 v44, v12
	s_nop 0
	v_addc_co_u32_e32 v5, vcc, 0, v3, vcc
	v_add_co_u32_e32 v2, vcc, 0xa000, v2
	s_or_b64 s[2:3], s[2:3], exec
	s_nop 0
	v_addc_co_u32_e32 v3, vcc, 0, v3, vcc
	global_store_dwordx2 v[4:5], v[44:45], off
	global_store_dwordx2 v[4:5], v[46:47], off offset:2048
	global_store_dwordx2 v[2:3], v[48:49], off
	global_store_dwordx2 v[2:3], v[50:51], off offset:2048
.LBB42_251:
	s_and_saveexec_b64 s[4:5], s[2:3]
	s_cbranch_execz .LBB42_253
; %bb.252:
	v_lshl_add_u64 v[0:1], v[0:1], 3, s[0:1]
	v_add_co_u32_e32 v0, vcc, 0xb000, v0
	s_waitcnt lgkmcnt(0)
	v_ashrrev_i32_e32 v3, 31, v13
	v_mov_b32_e32 v2, v13
	v_addc_co_u32_e32 v1, vcc, 0, v1, vcc
	global_store_dwordx2 v[0:1], v[2:3], off
	s_endpgm
.LBB42_253:
	s_endpgm
	.section	.rodata,"a",@progbits
	.p2align	6, 0x0
	.amdhsa_kernel _ZN7rocprim6detail25device_scan_by_key_kernelILNS0_25lookback_scan_determinismE0ELb0ENS0_26wrapped_scan_by_key_configINS_14default_configEiiEEPiN6hipcub22TransformInputIteratorIiNS7_6CastOpIiEES6_lEEPliNS7_8EqualityENS7_3SumENS0_19lookback_scan_stateINS_5tupleIJibEEELb0ELb1EEEiEEvT2_T3_T4_T5_T6_T7_T8_mmmPKNSG_IJT9_bEEE
		.amdhsa_group_segment_fixed_size 25600
		.amdhsa_private_segment_fixed_size 0
		.amdhsa_kernarg_size 80
		.amdhsa_user_sgpr_count 2
		.amdhsa_user_sgpr_dispatch_ptr 0
		.amdhsa_user_sgpr_queue_ptr 0
		.amdhsa_user_sgpr_kernarg_segment_ptr 1
		.amdhsa_user_sgpr_dispatch_id 0
		.amdhsa_user_sgpr_kernarg_preload_length 0
		.amdhsa_user_sgpr_kernarg_preload_offset 0
		.amdhsa_user_sgpr_private_segment_size 0
		.amdhsa_uses_dynamic_stack 0
		.amdhsa_enable_private_segment 0
		.amdhsa_system_sgpr_workgroup_id_x 1
		.amdhsa_system_sgpr_workgroup_id_y 0
		.amdhsa_system_sgpr_workgroup_id_z 0
		.amdhsa_system_sgpr_workgroup_info 0
		.amdhsa_system_vgpr_workitem_id 0
		.amdhsa_next_free_vgpr 79
		.amdhsa_next_free_sgpr 78
		.amdhsa_accum_offset 80
		.amdhsa_reserve_vcc 1
		.amdhsa_float_round_mode_32 0
		.amdhsa_float_round_mode_16_64 0
		.amdhsa_float_denorm_mode_32 3
		.amdhsa_float_denorm_mode_16_64 3
		.amdhsa_dx10_clamp 1
		.amdhsa_ieee_mode 1
		.amdhsa_fp16_overflow 0
		.amdhsa_tg_split 0
		.amdhsa_exception_fp_ieee_invalid_op 0
		.amdhsa_exception_fp_denorm_src 0
		.amdhsa_exception_fp_ieee_div_zero 0
		.amdhsa_exception_fp_ieee_overflow 0
		.amdhsa_exception_fp_ieee_underflow 0
		.amdhsa_exception_fp_ieee_inexact 0
		.amdhsa_exception_int_div_zero 0
	.end_amdhsa_kernel
	.section	.text._ZN7rocprim6detail25device_scan_by_key_kernelILNS0_25lookback_scan_determinismE0ELb0ENS0_26wrapped_scan_by_key_configINS_14default_configEiiEEPiN6hipcub22TransformInputIteratorIiNS7_6CastOpIiEES6_lEEPliNS7_8EqualityENS7_3SumENS0_19lookback_scan_stateINS_5tupleIJibEEELb0ELb1EEEiEEvT2_T3_T4_T5_T6_T7_T8_mmmPKNSG_IJT9_bEEE,"axG",@progbits,_ZN7rocprim6detail25device_scan_by_key_kernelILNS0_25lookback_scan_determinismE0ELb0ENS0_26wrapped_scan_by_key_configINS_14default_configEiiEEPiN6hipcub22TransformInputIteratorIiNS7_6CastOpIiEES6_lEEPliNS7_8EqualityENS7_3SumENS0_19lookback_scan_stateINS_5tupleIJibEEELb0ELb1EEEiEEvT2_T3_T4_T5_T6_T7_T8_mmmPKNSG_IJT9_bEEE,comdat
.Lfunc_end42:
	.size	_ZN7rocprim6detail25device_scan_by_key_kernelILNS0_25lookback_scan_determinismE0ELb0ENS0_26wrapped_scan_by_key_configINS_14default_configEiiEEPiN6hipcub22TransformInputIteratorIiNS7_6CastOpIiEES6_lEEPliNS7_8EqualityENS7_3SumENS0_19lookback_scan_stateINS_5tupleIJibEEELb0ELb1EEEiEEvT2_T3_T4_T5_T6_T7_T8_mmmPKNSG_IJT9_bEEE, .Lfunc_end42-_ZN7rocprim6detail25device_scan_by_key_kernelILNS0_25lookback_scan_determinismE0ELb0ENS0_26wrapped_scan_by_key_configINS_14default_configEiiEEPiN6hipcub22TransformInputIteratorIiNS7_6CastOpIiEES6_lEEPliNS7_8EqualityENS7_3SumENS0_19lookback_scan_stateINS_5tupleIJibEEELb0ELb1EEEiEEvT2_T3_T4_T5_T6_T7_T8_mmmPKNSG_IJT9_bEEE
                                        ; -- End function
	.section	.AMDGPU.csdata,"",@progbits
; Kernel info:
; codeLenInByte = 15440
; NumSgprs: 84
; NumVgprs: 79
; NumAgprs: 0
; TotalNumVgprs: 79
; ScratchSize: 0
; MemoryBound: 0
; FloatMode: 240
; IeeeMode: 1
; LDSByteSize: 25600 bytes/workgroup (compile time only)
; SGPRBlocks: 10
; VGPRBlocks: 9
; NumSGPRsForWavesPerEU: 84
; NumVGPRsForWavesPerEU: 79
; AccumOffset: 80
; Occupancy: 2
; WaveLimiterHint : 1
; COMPUTE_PGM_RSRC2:SCRATCH_EN: 0
; COMPUTE_PGM_RSRC2:USER_SGPR: 2
; COMPUTE_PGM_RSRC2:TRAP_HANDLER: 0
; COMPUTE_PGM_RSRC2:TGID_X_EN: 1
; COMPUTE_PGM_RSRC2:TGID_Y_EN: 0
; COMPUTE_PGM_RSRC2:TGID_Z_EN: 0
; COMPUTE_PGM_RSRC2:TIDIG_COMP_CNT: 0
; COMPUTE_PGM_RSRC3_GFX90A:ACCUM_OFFSET: 19
; COMPUTE_PGM_RSRC3_GFX90A:TG_SPLIT: 0
	.section	.text._ZN7rocprim6detail31init_lookback_scan_state_kernelINS0_19lookback_scan_stateINS_5tupleIJ6__halfbEEELb1ELb1EEEEEvT_jjPNS7_10value_typeE,"axG",@progbits,_ZN7rocprim6detail31init_lookback_scan_state_kernelINS0_19lookback_scan_stateINS_5tupleIJ6__halfbEEELb1ELb1EEEEEvT_jjPNS7_10value_typeE,comdat
	.protected	_ZN7rocprim6detail31init_lookback_scan_state_kernelINS0_19lookback_scan_stateINS_5tupleIJ6__halfbEEELb1ELb1EEEEEvT_jjPNS7_10value_typeE ; -- Begin function _ZN7rocprim6detail31init_lookback_scan_state_kernelINS0_19lookback_scan_stateINS_5tupleIJ6__halfbEEELb1ELb1EEEEEvT_jjPNS7_10value_typeE
	.globl	_ZN7rocprim6detail31init_lookback_scan_state_kernelINS0_19lookback_scan_stateINS_5tupleIJ6__halfbEEELb1ELb1EEEEEvT_jjPNS7_10value_typeE
	.p2align	8
	.type	_ZN7rocprim6detail31init_lookback_scan_state_kernelINS0_19lookback_scan_stateINS_5tupleIJ6__halfbEEELb1ELb1EEEEEvT_jjPNS7_10value_typeE,@function
_ZN7rocprim6detail31init_lookback_scan_state_kernelINS0_19lookback_scan_stateINS_5tupleIJ6__halfbEEELb1ELb1EEEEEvT_jjPNS7_10value_typeE: ; @_ZN7rocprim6detail31init_lookback_scan_state_kernelINS0_19lookback_scan_stateINS_5tupleIJ6__halfbEEELb1ELb1EEEEEvT_jjPNS7_10value_typeE
; %bb.0:
	s_load_dword s3, s[0:1], 0x24
	s_load_dwordx2 s[8:9], s[0:1], 0x10
	s_load_dwordx4 s[4:7], s[0:1], 0x0
	s_waitcnt lgkmcnt(0)
	s_and_b32 s0, s3, 0xffff
	s_mul_i32 s2, s2, s0
	s_cmp_eq_u64 s[8:9], 0
	v_add_u32_e32 v0, s2, v0
	s_cbranch_scc1 .LBB43_9
; %bb.1:
	s_cmp_lt_u32 s7, s6
	s_cselect_b32 s0, s7, 0
	s_mov_b32 s3, 0
	v_cmp_eq_u32_e32 vcc, s0, v0
	s_and_saveexec_b64 s[0:1], vcc
	s_cbranch_execz .LBB43_8
; %bb.2:
	s_add_i32 s2, s7, 64
	s_lshl_b64 s[2:3], s[2:3], 3
	s_add_u32 s2, s4, s2
	s_addc_u32 s3, s5, s3
	v_mov_b32_e32 v2, 0
	global_load_dwordx2 v[4:5], v2, s[2:3] sc1
	s_waitcnt vmcnt(0)
	v_and_b32_e32 v3, 0xff, v5
	v_cmp_ne_u64_e32 vcc, 0, v[2:3]
	s_cbranch_vccnz .LBB43_7
; %bb.3:
	s_mov_b32 s7, 1
.LBB43_4:                               ; =>This Loop Header: Depth=1
                                        ;     Child Loop BB43_5 Depth 2
	s_max_u32 s10, s7, 1
.LBB43_5:                               ;   Parent Loop BB43_4 Depth=1
                                        ; =>  This Inner Loop Header: Depth=2
	s_add_i32 s10, s10, -1
	s_cmp_eq_u32 s10, 0
	s_sleep 1
	s_cbranch_scc0 .LBB43_5
; %bb.6:                                ;   in Loop: Header=BB43_4 Depth=1
	global_load_dwordx2 v[4:5], v2, s[2:3] sc1
	s_cmp_lt_u32 s7, 32
	s_cselect_b64 s[10:11], -1, 0
	s_cmp_lg_u64 s[10:11], 0
	s_addc_u32 s7, s7, 0
	s_waitcnt vmcnt(0)
	v_and_b32_e32 v3, 0xff, v5
	v_cmp_ne_u64_e32 vcc, 0, v[2:3]
	s_cbranch_vccz .LBB43_4
.LBB43_7:
	v_mov_b32_e32 v1, 0
	global_store_short v1, v4, s[8:9]
	global_store_byte_d16_hi v1, v4, s[8:9] offset:2
.LBB43_8:
	s_or_b64 exec, exec, s[0:1]
.LBB43_9:
	v_cmp_gt_u32_e32 vcc, s6, v0
	s_and_saveexec_b64 s[0:1], vcc
	s_cbranch_execnz .LBB43_12
; %bb.10:
	s_or_b64 exec, exec, s[0:1]
	v_cmp_gt_u32_e32 vcc, 64, v0
	s_and_saveexec_b64 s[0:1], vcc
	s_cbranch_execnz .LBB43_13
.LBB43_11:
	s_endpgm
.LBB43_12:
	v_add_u32_e32 v2, 64, v0
	v_mov_b32_e32 v3, 0
	v_lshl_add_u64 v[4:5], v[2:3], 3, s[4:5]
	v_mov_b32_e32 v2, v3
	global_store_dwordx2 v[4:5], v[2:3], off
	s_or_b64 exec, exec, s[0:1]
	v_cmp_gt_u32_e32 vcc, 64, v0
	s_and_saveexec_b64 s[0:1], vcc
	s_cbranch_execz .LBB43_11
.LBB43_13:
	v_mov_b32_e32 v1, 0
	v_lshl_add_u64 v[2:3], v[0:1], 3, s[4:5]
	v_mov_b32_e32 v5, 0xff
	v_mov_b32_e32 v4, v1
	global_store_dwordx2 v[2:3], v[4:5], off
	s_endpgm
	.section	.rodata,"a",@progbits
	.p2align	6, 0x0
	.amdhsa_kernel _ZN7rocprim6detail31init_lookback_scan_state_kernelINS0_19lookback_scan_stateINS_5tupleIJ6__halfbEEELb1ELb1EEEEEvT_jjPNS7_10value_typeE
		.amdhsa_group_segment_fixed_size 0
		.amdhsa_private_segment_fixed_size 0
		.amdhsa_kernarg_size 280
		.amdhsa_user_sgpr_count 2
		.amdhsa_user_sgpr_dispatch_ptr 0
		.amdhsa_user_sgpr_queue_ptr 0
		.amdhsa_user_sgpr_kernarg_segment_ptr 1
		.amdhsa_user_sgpr_dispatch_id 0
		.amdhsa_user_sgpr_kernarg_preload_length 0
		.amdhsa_user_sgpr_kernarg_preload_offset 0
		.amdhsa_user_sgpr_private_segment_size 0
		.amdhsa_uses_dynamic_stack 0
		.amdhsa_enable_private_segment 0
		.amdhsa_system_sgpr_workgroup_id_x 1
		.amdhsa_system_sgpr_workgroup_id_y 0
		.amdhsa_system_sgpr_workgroup_id_z 0
		.amdhsa_system_sgpr_workgroup_info 0
		.amdhsa_system_vgpr_workitem_id 0
		.amdhsa_next_free_vgpr 6
		.amdhsa_next_free_sgpr 12
		.amdhsa_accum_offset 8
		.amdhsa_reserve_vcc 1
		.amdhsa_float_round_mode_32 0
		.amdhsa_float_round_mode_16_64 0
		.amdhsa_float_denorm_mode_32 3
		.amdhsa_float_denorm_mode_16_64 3
		.amdhsa_dx10_clamp 1
		.amdhsa_ieee_mode 1
		.amdhsa_fp16_overflow 0
		.amdhsa_tg_split 0
		.amdhsa_exception_fp_ieee_invalid_op 0
		.amdhsa_exception_fp_denorm_src 0
		.amdhsa_exception_fp_ieee_div_zero 0
		.amdhsa_exception_fp_ieee_overflow 0
		.amdhsa_exception_fp_ieee_underflow 0
		.amdhsa_exception_fp_ieee_inexact 0
		.amdhsa_exception_int_div_zero 0
	.end_amdhsa_kernel
	.section	.text._ZN7rocprim6detail31init_lookback_scan_state_kernelINS0_19lookback_scan_stateINS_5tupleIJ6__halfbEEELb1ELb1EEEEEvT_jjPNS7_10value_typeE,"axG",@progbits,_ZN7rocprim6detail31init_lookback_scan_state_kernelINS0_19lookback_scan_stateINS_5tupleIJ6__halfbEEELb1ELb1EEEEEvT_jjPNS7_10value_typeE,comdat
.Lfunc_end43:
	.size	_ZN7rocprim6detail31init_lookback_scan_state_kernelINS0_19lookback_scan_stateINS_5tupleIJ6__halfbEEELb1ELb1EEEEEvT_jjPNS7_10value_typeE, .Lfunc_end43-_ZN7rocprim6detail31init_lookback_scan_state_kernelINS0_19lookback_scan_stateINS_5tupleIJ6__halfbEEELb1ELb1EEEEEvT_jjPNS7_10value_typeE
                                        ; -- End function
	.section	.AMDGPU.csdata,"",@progbits
; Kernel info:
; codeLenInByte = 328
; NumSgprs: 18
; NumVgprs: 6
; NumAgprs: 0
; TotalNumVgprs: 6
; ScratchSize: 0
; MemoryBound: 0
; FloatMode: 240
; IeeeMode: 1
; LDSByteSize: 0 bytes/workgroup (compile time only)
; SGPRBlocks: 2
; VGPRBlocks: 0
; NumSGPRsForWavesPerEU: 18
; NumVGPRsForWavesPerEU: 6
; AccumOffset: 8
; Occupancy: 8
; WaveLimiterHint : 0
; COMPUTE_PGM_RSRC2:SCRATCH_EN: 0
; COMPUTE_PGM_RSRC2:USER_SGPR: 2
; COMPUTE_PGM_RSRC2:TRAP_HANDLER: 0
; COMPUTE_PGM_RSRC2:TGID_X_EN: 1
; COMPUTE_PGM_RSRC2:TGID_Y_EN: 0
; COMPUTE_PGM_RSRC2:TGID_Z_EN: 0
; COMPUTE_PGM_RSRC2:TIDIG_COMP_CNT: 0
; COMPUTE_PGM_RSRC3_GFX90A:ACCUM_OFFSET: 1
; COMPUTE_PGM_RSRC3_GFX90A:TG_SPLIT: 0
	.section	.text._ZN7rocprim6detail31init_lookback_scan_state_kernelINS0_19lookback_scan_stateINS_5tupleIJ6__halfbEEELb0ELb1EEEEEvT_jjPNS7_10value_typeE,"axG",@progbits,_ZN7rocprim6detail31init_lookback_scan_state_kernelINS0_19lookback_scan_stateINS_5tupleIJ6__halfbEEELb0ELb1EEEEEvT_jjPNS7_10value_typeE,comdat
	.protected	_ZN7rocprim6detail31init_lookback_scan_state_kernelINS0_19lookback_scan_stateINS_5tupleIJ6__halfbEEELb0ELb1EEEEEvT_jjPNS7_10value_typeE ; -- Begin function _ZN7rocprim6detail31init_lookback_scan_state_kernelINS0_19lookback_scan_stateINS_5tupleIJ6__halfbEEELb0ELb1EEEEEvT_jjPNS7_10value_typeE
	.globl	_ZN7rocprim6detail31init_lookback_scan_state_kernelINS0_19lookback_scan_stateINS_5tupleIJ6__halfbEEELb0ELb1EEEEEvT_jjPNS7_10value_typeE
	.p2align	8
	.type	_ZN7rocprim6detail31init_lookback_scan_state_kernelINS0_19lookback_scan_stateINS_5tupleIJ6__halfbEEELb0ELb1EEEEEvT_jjPNS7_10value_typeE,@function
_ZN7rocprim6detail31init_lookback_scan_state_kernelINS0_19lookback_scan_stateINS_5tupleIJ6__halfbEEELb0ELb1EEEEEvT_jjPNS7_10value_typeE: ; @_ZN7rocprim6detail31init_lookback_scan_state_kernelINS0_19lookback_scan_stateINS_5tupleIJ6__halfbEEELb0ELb1EEEEEvT_jjPNS7_10value_typeE
; %bb.0:
	s_load_dword s3, s[0:1], 0x24
	s_load_dwordx2 s[8:9], s[0:1], 0x10
	s_load_dwordx4 s[4:7], s[0:1], 0x0
	s_waitcnt lgkmcnt(0)
	s_and_b32 s0, s3, 0xffff
	s_mul_i32 s2, s2, s0
	s_cmp_eq_u64 s[8:9], 0
	v_add_u32_e32 v0, s2, v0
	s_cbranch_scc1 .LBB44_6
; %bb.1:
	s_cmp_lt_u32 s7, s6
	s_cselect_b32 s0, s7, 0
	s_mov_b32 s3, 0
	v_cmp_eq_u32_e32 vcc, s0, v0
	s_and_saveexec_b64 s[0:1], vcc
	s_cbranch_execz .LBB44_5
; %bb.2:
	s_add_i32 s2, s7, 64
	s_lshl_b64 s[2:3], s[2:3], 3
	s_add_u32 s2, s4, s2
	s_addc_u32 s3, s5, s3
	v_mov_b32_e32 v4, 0
	global_load_dwordx2 v[2:3], v4, s[2:3] sc1
	s_waitcnt vmcnt(0)
	v_and_b32_e32 v5, 0xff, v3
	v_cmp_ne_u64_e32 vcc, 0, v[4:5]
	s_cbranch_vccnz .LBB44_4
.LBB44_3:                               ; =>This Inner Loop Header: Depth=1
	global_load_dwordx2 v[2:3], v4, s[2:3] sc1
	s_waitcnt vmcnt(0)
	v_and_b32_e32 v5, 0xff, v3
	v_cmp_eq_u64_e32 vcc, 0, v[4:5]
	s_cbranch_vccnz .LBB44_3
.LBB44_4:
	v_mov_b32_e32 v1, 0
	global_store_short v1, v2, s[8:9]
	global_store_byte_d16_hi v1, v2, s[8:9] offset:2
.LBB44_5:
	s_or_b64 exec, exec, s[0:1]
.LBB44_6:
	v_cmp_gt_u32_e32 vcc, s6, v0
	s_and_saveexec_b64 s[0:1], vcc
	s_cbranch_execnz .LBB44_9
; %bb.7:
	s_or_b64 exec, exec, s[0:1]
	v_cmp_gt_u32_e32 vcc, 64, v0
	s_and_saveexec_b64 s[0:1], vcc
	s_cbranch_execnz .LBB44_10
.LBB44_8:
	s_endpgm
.LBB44_9:
	v_add_u32_e32 v2, 64, v0
	v_mov_b32_e32 v3, 0
	v_lshl_add_u64 v[4:5], v[2:3], 3, s[4:5]
	v_mov_b32_e32 v2, v3
	global_store_dwordx2 v[4:5], v[2:3], off
	s_or_b64 exec, exec, s[0:1]
	v_cmp_gt_u32_e32 vcc, 64, v0
	s_and_saveexec_b64 s[0:1], vcc
	s_cbranch_execz .LBB44_8
.LBB44_10:
	v_mov_b32_e32 v1, 0
	v_lshl_add_u64 v[2:3], v[0:1], 3, s[4:5]
	v_mov_b32_e32 v5, 0xff
	v_mov_b32_e32 v4, v1
	global_store_dwordx2 v[2:3], v[4:5], off
	s_endpgm
	.section	.rodata,"a",@progbits
	.p2align	6, 0x0
	.amdhsa_kernel _ZN7rocprim6detail31init_lookback_scan_state_kernelINS0_19lookback_scan_stateINS_5tupleIJ6__halfbEEELb0ELb1EEEEEvT_jjPNS7_10value_typeE
		.amdhsa_group_segment_fixed_size 0
		.amdhsa_private_segment_fixed_size 0
		.amdhsa_kernarg_size 280
		.amdhsa_user_sgpr_count 2
		.amdhsa_user_sgpr_dispatch_ptr 0
		.amdhsa_user_sgpr_queue_ptr 0
		.amdhsa_user_sgpr_kernarg_segment_ptr 1
		.amdhsa_user_sgpr_dispatch_id 0
		.amdhsa_user_sgpr_kernarg_preload_length 0
		.amdhsa_user_sgpr_kernarg_preload_offset 0
		.amdhsa_user_sgpr_private_segment_size 0
		.amdhsa_uses_dynamic_stack 0
		.amdhsa_enable_private_segment 0
		.amdhsa_system_sgpr_workgroup_id_x 1
		.amdhsa_system_sgpr_workgroup_id_y 0
		.amdhsa_system_sgpr_workgroup_id_z 0
		.amdhsa_system_sgpr_workgroup_info 0
		.amdhsa_system_vgpr_workitem_id 0
		.amdhsa_next_free_vgpr 6
		.amdhsa_next_free_sgpr 10
		.amdhsa_accum_offset 8
		.amdhsa_reserve_vcc 1
		.amdhsa_float_round_mode_32 0
		.amdhsa_float_round_mode_16_64 0
		.amdhsa_float_denorm_mode_32 3
		.amdhsa_float_denorm_mode_16_64 3
		.amdhsa_dx10_clamp 1
		.amdhsa_ieee_mode 1
		.amdhsa_fp16_overflow 0
		.amdhsa_tg_split 0
		.amdhsa_exception_fp_ieee_invalid_op 0
		.amdhsa_exception_fp_denorm_src 0
		.amdhsa_exception_fp_ieee_div_zero 0
		.amdhsa_exception_fp_ieee_overflow 0
		.amdhsa_exception_fp_ieee_underflow 0
		.amdhsa_exception_fp_ieee_inexact 0
		.amdhsa_exception_int_div_zero 0
	.end_amdhsa_kernel
	.section	.text._ZN7rocprim6detail31init_lookback_scan_state_kernelINS0_19lookback_scan_stateINS_5tupleIJ6__halfbEEELb0ELb1EEEEEvT_jjPNS7_10value_typeE,"axG",@progbits,_ZN7rocprim6detail31init_lookback_scan_state_kernelINS0_19lookback_scan_stateINS_5tupleIJ6__halfbEEELb0ELb1EEEEEvT_jjPNS7_10value_typeE,comdat
.Lfunc_end44:
	.size	_ZN7rocprim6detail31init_lookback_scan_state_kernelINS0_19lookback_scan_stateINS_5tupleIJ6__halfbEEELb0ELb1EEEEEvT_jjPNS7_10value_typeE, .Lfunc_end44-_ZN7rocprim6detail31init_lookback_scan_state_kernelINS0_19lookback_scan_stateINS_5tupleIJ6__halfbEEELb0ELb1EEEEEvT_jjPNS7_10value_typeE
                                        ; -- End function
	.section	.AMDGPU.csdata,"",@progbits
; Kernel info:
; codeLenInByte = 288
; NumSgprs: 16
; NumVgprs: 6
; NumAgprs: 0
; TotalNumVgprs: 6
; ScratchSize: 0
; MemoryBound: 0
; FloatMode: 240
; IeeeMode: 1
; LDSByteSize: 0 bytes/workgroup (compile time only)
; SGPRBlocks: 1
; VGPRBlocks: 0
; NumSGPRsForWavesPerEU: 16
; NumVGPRsForWavesPerEU: 6
; AccumOffset: 8
; Occupancy: 8
; WaveLimiterHint : 0
; COMPUTE_PGM_RSRC2:SCRATCH_EN: 0
; COMPUTE_PGM_RSRC2:USER_SGPR: 2
; COMPUTE_PGM_RSRC2:TRAP_HANDLER: 0
; COMPUTE_PGM_RSRC2:TGID_X_EN: 1
; COMPUTE_PGM_RSRC2:TGID_Y_EN: 0
; COMPUTE_PGM_RSRC2:TGID_Z_EN: 0
; COMPUTE_PGM_RSRC2:TIDIG_COMP_CNT: 0
; COMPUTE_PGM_RSRC3_GFX90A:ACCUM_OFFSET: 1
; COMPUTE_PGM_RSRC3_GFX90A:TG_SPLIT: 0
	.section	.text._ZN7rocprim6detail25device_scan_by_key_kernelILNS0_25lookback_scan_determinismE0ELb0ENS0_26wrapped_scan_by_key_configINS_14default_configEi6__halfEEPiN6hipcub22TransformInputIteratorIS5_NS8_6CastOpIS5_EEPS5_lEESC_S5_NS8_8EqualityENS8_3SumENS0_19lookback_scan_stateINS_5tupleIJS5_bEEELb1ELb1EEES5_EEvT2_T3_T4_T5_T6_T7_T8_mmmPKNSH_IJT9_bEEE,"axG",@progbits,_ZN7rocprim6detail25device_scan_by_key_kernelILNS0_25lookback_scan_determinismE0ELb0ENS0_26wrapped_scan_by_key_configINS_14default_configEi6__halfEEPiN6hipcub22TransformInputIteratorIS5_NS8_6CastOpIS5_EEPS5_lEESC_S5_NS8_8EqualityENS8_3SumENS0_19lookback_scan_stateINS_5tupleIJS5_bEEELb1ELb1EEES5_EEvT2_T3_T4_T5_T6_T7_T8_mmmPKNSH_IJT9_bEEE,comdat
	.protected	_ZN7rocprim6detail25device_scan_by_key_kernelILNS0_25lookback_scan_determinismE0ELb0ENS0_26wrapped_scan_by_key_configINS_14default_configEi6__halfEEPiN6hipcub22TransformInputIteratorIS5_NS8_6CastOpIS5_EEPS5_lEESC_S5_NS8_8EqualityENS8_3SumENS0_19lookback_scan_stateINS_5tupleIJS5_bEEELb1ELb1EEES5_EEvT2_T3_T4_T5_T6_T7_T8_mmmPKNSH_IJT9_bEEE ; -- Begin function _ZN7rocprim6detail25device_scan_by_key_kernelILNS0_25lookback_scan_determinismE0ELb0ENS0_26wrapped_scan_by_key_configINS_14default_configEi6__halfEEPiN6hipcub22TransformInputIteratorIS5_NS8_6CastOpIS5_EEPS5_lEESC_S5_NS8_8EqualityENS8_3SumENS0_19lookback_scan_stateINS_5tupleIJS5_bEEELb1ELb1EEES5_EEvT2_T3_T4_T5_T6_T7_T8_mmmPKNSH_IJT9_bEEE
	.globl	_ZN7rocprim6detail25device_scan_by_key_kernelILNS0_25lookback_scan_determinismE0ELb0ENS0_26wrapped_scan_by_key_configINS_14default_configEi6__halfEEPiN6hipcub22TransformInputIteratorIS5_NS8_6CastOpIS5_EEPS5_lEESC_S5_NS8_8EqualityENS8_3SumENS0_19lookback_scan_stateINS_5tupleIJS5_bEEELb1ELb1EEES5_EEvT2_T3_T4_T5_T6_T7_T8_mmmPKNSH_IJT9_bEEE
	.p2align	8
	.type	_ZN7rocprim6detail25device_scan_by_key_kernelILNS0_25lookback_scan_determinismE0ELb0ENS0_26wrapped_scan_by_key_configINS_14default_configEi6__halfEEPiN6hipcub22TransformInputIteratorIS5_NS8_6CastOpIS5_EEPS5_lEESC_S5_NS8_8EqualityENS8_3SumENS0_19lookback_scan_stateINS_5tupleIJS5_bEEELb1ELb1EEES5_EEvT2_T3_T4_T5_T6_T7_T8_mmmPKNSH_IJT9_bEEE,@function
_ZN7rocprim6detail25device_scan_by_key_kernelILNS0_25lookback_scan_determinismE0ELb0ENS0_26wrapped_scan_by_key_configINS_14default_configEi6__halfEEPiN6hipcub22TransformInputIteratorIS5_NS8_6CastOpIS5_EEPS5_lEESC_S5_NS8_8EqualityENS8_3SumENS0_19lookback_scan_stateINS_5tupleIJS5_bEEELb1ELb1EEES5_EEvT2_T3_T4_T5_T6_T7_T8_mmmPKNSH_IJT9_bEEE: ; @_ZN7rocprim6detail25device_scan_by_key_kernelILNS0_25lookback_scan_determinismE0ELb0ENS0_26wrapped_scan_by_key_configINS_14default_configEi6__halfEEPiN6hipcub22TransformInputIteratorIS5_NS8_6CastOpIS5_EEPS5_lEESC_S5_NS8_8EqualityENS8_3SumENS0_19lookback_scan_stateINS_5tupleIJS5_bEEELb1ELb1EEES5_EEvT2_T3_T4_T5_T6_T7_T8_mmmPKNSH_IJT9_bEEE
; %bb.0:
	s_endpgm
	.section	.rodata,"a",@progbits
	.p2align	6, 0x0
	.amdhsa_kernel _ZN7rocprim6detail25device_scan_by_key_kernelILNS0_25lookback_scan_determinismE0ELb0ENS0_26wrapped_scan_by_key_configINS_14default_configEi6__halfEEPiN6hipcub22TransformInputIteratorIS5_NS8_6CastOpIS5_EEPS5_lEESC_S5_NS8_8EqualityENS8_3SumENS0_19lookback_scan_stateINS_5tupleIJS5_bEEELb1ELb1EEES5_EEvT2_T3_T4_T5_T6_T7_T8_mmmPKNSH_IJT9_bEEE
		.amdhsa_group_segment_fixed_size 0
		.amdhsa_private_segment_fixed_size 0
		.amdhsa_kernarg_size 80
		.amdhsa_user_sgpr_count 2
		.amdhsa_user_sgpr_dispatch_ptr 0
		.amdhsa_user_sgpr_queue_ptr 0
		.amdhsa_user_sgpr_kernarg_segment_ptr 1
		.amdhsa_user_sgpr_dispatch_id 0
		.amdhsa_user_sgpr_kernarg_preload_length 0
		.amdhsa_user_sgpr_kernarg_preload_offset 0
		.amdhsa_user_sgpr_private_segment_size 0
		.amdhsa_uses_dynamic_stack 0
		.amdhsa_enable_private_segment 0
		.amdhsa_system_sgpr_workgroup_id_x 1
		.amdhsa_system_sgpr_workgroup_id_y 0
		.amdhsa_system_sgpr_workgroup_id_z 0
		.amdhsa_system_sgpr_workgroup_info 0
		.amdhsa_system_vgpr_workitem_id 0
		.amdhsa_next_free_vgpr 1
		.amdhsa_next_free_sgpr 0
		.amdhsa_accum_offset 4
		.amdhsa_reserve_vcc 0
		.amdhsa_float_round_mode_32 0
		.amdhsa_float_round_mode_16_64 0
		.amdhsa_float_denorm_mode_32 3
		.amdhsa_float_denorm_mode_16_64 3
		.amdhsa_dx10_clamp 1
		.amdhsa_ieee_mode 1
		.amdhsa_fp16_overflow 0
		.amdhsa_tg_split 0
		.amdhsa_exception_fp_ieee_invalid_op 0
		.amdhsa_exception_fp_denorm_src 0
		.amdhsa_exception_fp_ieee_div_zero 0
		.amdhsa_exception_fp_ieee_overflow 0
		.amdhsa_exception_fp_ieee_underflow 0
		.amdhsa_exception_fp_ieee_inexact 0
		.amdhsa_exception_int_div_zero 0
	.end_amdhsa_kernel
	.section	.text._ZN7rocprim6detail25device_scan_by_key_kernelILNS0_25lookback_scan_determinismE0ELb0ENS0_26wrapped_scan_by_key_configINS_14default_configEi6__halfEEPiN6hipcub22TransformInputIteratorIS5_NS8_6CastOpIS5_EEPS5_lEESC_S5_NS8_8EqualityENS8_3SumENS0_19lookback_scan_stateINS_5tupleIJS5_bEEELb1ELb1EEES5_EEvT2_T3_T4_T5_T6_T7_T8_mmmPKNSH_IJT9_bEEE,"axG",@progbits,_ZN7rocprim6detail25device_scan_by_key_kernelILNS0_25lookback_scan_determinismE0ELb0ENS0_26wrapped_scan_by_key_configINS_14default_configEi6__halfEEPiN6hipcub22TransformInputIteratorIS5_NS8_6CastOpIS5_EEPS5_lEESC_S5_NS8_8EqualityENS8_3SumENS0_19lookback_scan_stateINS_5tupleIJS5_bEEELb1ELb1EEES5_EEvT2_T3_T4_T5_T6_T7_T8_mmmPKNSH_IJT9_bEEE,comdat
.Lfunc_end45:
	.size	_ZN7rocprim6detail25device_scan_by_key_kernelILNS0_25lookback_scan_determinismE0ELb0ENS0_26wrapped_scan_by_key_configINS_14default_configEi6__halfEEPiN6hipcub22TransformInputIteratorIS5_NS8_6CastOpIS5_EEPS5_lEESC_S5_NS8_8EqualityENS8_3SumENS0_19lookback_scan_stateINS_5tupleIJS5_bEEELb1ELb1EEES5_EEvT2_T3_T4_T5_T6_T7_T8_mmmPKNSH_IJT9_bEEE, .Lfunc_end45-_ZN7rocprim6detail25device_scan_by_key_kernelILNS0_25lookback_scan_determinismE0ELb0ENS0_26wrapped_scan_by_key_configINS_14default_configEi6__halfEEPiN6hipcub22TransformInputIteratorIS5_NS8_6CastOpIS5_EEPS5_lEESC_S5_NS8_8EqualityENS8_3SumENS0_19lookback_scan_stateINS_5tupleIJS5_bEEELb1ELb1EEES5_EEvT2_T3_T4_T5_T6_T7_T8_mmmPKNSH_IJT9_bEEE
                                        ; -- End function
	.section	.AMDGPU.csdata,"",@progbits
; Kernel info:
; codeLenInByte = 4
; NumSgprs: 6
; NumVgprs: 0
; NumAgprs: 0
; TotalNumVgprs: 0
; ScratchSize: 0
; MemoryBound: 0
; FloatMode: 240
; IeeeMode: 1
; LDSByteSize: 0 bytes/workgroup (compile time only)
; SGPRBlocks: 0
; VGPRBlocks: 0
; NumSGPRsForWavesPerEU: 6
; NumVGPRsForWavesPerEU: 1
; AccumOffset: 4
; Occupancy: 8
; WaveLimiterHint : 0
; COMPUTE_PGM_RSRC2:SCRATCH_EN: 0
; COMPUTE_PGM_RSRC2:USER_SGPR: 2
; COMPUTE_PGM_RSRC2:TRAP_HANDLER: 0
; COMPUTE_PGM_RSRC2:TGID_X_EN: 1
; COMPUTE_PGM_RSRC2:TGID_Y_EN: 0
; COMPUTE_PGM_RSRC2:TGID_Z_EN: 0
; COMPUTE_PGM_RSRC2:TIDIG_COMP_CNT: 0
; COMPUTE_PGM_RSRC3_GFX90A:ACCUM_OFFSET: 0
; COMPUTE_PGM_RSRC3_GFX90A:TG_SPLIT: 0
	.section	.text._ZN7rocprim6detail25device_scan_by_key_kernelILNS0_25lookback_scan_determinismE0ELb0ENS0_26wrapped_scan_by_key_configINS_14default_configEi6__halfEEPiN6hipcub22TransformInputIteratorIS5_NS8_6CastOpIS5_EEPS5_lEESC_S5_NS8_8EqualityENS8_3SumENS0_19lookback_scan_stateINS_5tupleIJS5_bEEELb0ELb1EEES5_EEvT2_T3_T4_T5_T6_T7_T8_mmmPKNSH_IJT9_bEEE,"axG",@progbits,_ZN7rocprim6detail25device_scan_by_key_kernelILNS0_25lookback_scan_determinismE0ELb0ENS0_26wrapped_scan_by_key_configINS_14default_configEi6__halfEEPiN6hipcub22TransformInputIteratorIS5_NS8_6CastOpIS5_EEPS5_lEESC_S5_NS8_8EqualityENS8_3SumENS0_19lookback_scan_stateINS_5tupleIJS5_bEEELb0ELb1EEES5_EEvT2_T3_T4_T5_T6_T7_T8_mmmPKNSH_IJT9_bEEE,comdat
	.protected	_ZN7rocprim6detail25device_scan_by_key_kernelILNS0_25lookback_scan_determinismE0ELb0ENS0_26wrapped_scan_by_key_configINS_14default_configEi6__halfEEPiN6hipcub22TransformInputIteratorIS5_NS8_6CastOpIS5_EEPS5_lEESC_S5_NS8_8EqualityENS8_3SumENS0_19lookback_scan_stateINS_5tupleIJS5_bEEELb0ELb1EEES5_EEvT2_T3_T4_T5_T6_T7_T8_mmmPKNSH_IJT9_bEEE ; -- Begin function _ZN7rocprim6detail25device_scan_by_key_kernelILNS0_25lookback_scan_determinismE0ELb0ENS0_26wrapped_scan_by_key_configINS_14default_configEi6__halfEEPiN6hipcub22TransformInputIteratorIS5_NS8_6CastOpIS5_EEPS5_lEESC_S5_NS8_8EqualityENS8_3SumENS0_19lookback_scan_stateINS_5tupleIJS5_bEEELb0ELb1EEES5_EEvT2_T3_T4_T5_T6_T7_T8_mmmPKNSH_IJT9_bEEE
	.globl	_ZN7rocprim6detail25device_scan_by_key_kernelILNS0_25lookback_scan_determinismE0ELb0ENS0_26wrapped_scan_by_key_configINS_14default_configEi6__halfEEPiN6hipcub22TransformInputIteratorIS5_NS8_6CastOpIS5_EEPS5_lEESC_S5_NS8_8EqualityENS8_3SumENS0_19lookback_scan_stateINS_5tupleIJS5_bEEELb0ELb1EEES5_EEvT2_T3_T4_T5_T6_T7_T8_mmmPKNSH_IJT9_bEEE
	.p2align	8
	.type	_ZN7rocprim6detail25device_scan_by_key_kernelILNS0_25lookback_scan_determinismE0ELb0ENS0_26wrapped_scan_by_key_configINS_14default_configEi6__halfEEPiN6hipcub22TransformInputIteratorIS5_NS8_6CastOpIS5_EEPS5_lEESC_S5_NS8_8EqualityENS8_3SumENS0_19lookback_scan_stateINS_5tupleIJS5_bEEELb0ELb1EEES5_EEvT2_T3_T4_T5_T6_T7_T8_mmmPKNSH_IJT9_bEEE,@function
_ZN7rocprim6detail25device_scan_by_key_kernelILNS0_25lookback_scan_determinismE0ELb0ENS0_26wrapped_scan_by_key_configINS_14default_configEi6__halfEEPiN6hipcub22TransformInputIteratorIS5_NS8_6CastOpIS5_EEPS5_lEESC_S5_NS8_8EqualityENS8_3SumENS0_19lookback_scan_stateINS_5tupleIJS5_bEEELb0ELb1EEES5_EEvT2_T3_T4_T5_T6_T7_T8_mmmPKNSH_IJT9_bEEE: ; @_ZN7rocprim6detail25device_scan_by_key_kernelILNS0_25lookback_scan_determinismE0ELb0ENS0_26wrapped_scan_by_key_configINS_14default_configEi6__halfEEPiN6hipcub22TransformInputIteratorIS5_NS8_6CastOpIS5_EEPS5_lEESC_S5_NS8_8EqualityENS8_3SumENS0_19lookback_scan_stateINS_5tupleIJS5_bEEELb0ELb1EEES5_EEvT2_T3_T4_T5_T6_T7_T8_mmmPKNSH_IJT9_bEEE
; %bb.0:
	s_load_dwordx4 s[4:7], s[0:1], 0x0
	s_load_dwordx8 s[76:83], s[0:1], 0x28
	s_mul_i32 s8, s2, 0x1800
	s_mov_b32 s9, 0
	s_lshl_b64 s[10:11], s[8:9], 2
	s_waitcnt lgkmcnt(0)
	s_add_u32 s56, s4, s10
	s_addc_u32 s57, s5, s11
	s_lshl_b64 s[94:95], s[8:9], 1
	s_add_u32 s54, s6, s94
	s_addc_u32 s55, s7, s95
	s_add_u32 s4, s2, s80
	s_addc_u32 s5, 0, s81
	s_add_u32 s6, s82, -1
	s_addc_u32 s7, s83, -1
	v_mov_b64_e32 v[2:3], s[6:7]
	v_cmp_ge_u64_e64 s[72:73], s[4:5], v[2:3]
	s_mov_b64 s[10:11], -1
	s_and_b64 vcc, exec, s[72:73]
	s_mul_i32 s33, s6, 0xffffe800
	s_cbranch_vccz .LBB46_124
; %bb.1:
	s_load_dword s3, s[56:57], 0x0
	s_add_i32 s64, s33, s78
	v_mov_b32_e32 v3, 0
	v_lshlrev_b32_e32 v2, 2, v0
	v_lshl_add_u64 v[4:5], s[56:57], 0, v[2:3]
	v_cmp_gt_u32_e64 s[4:5], s64, v0
	s_waitcnt lgkmcnt(0)
	v_mov_b32_e32 v1, s3
	s_and_saveexec_b64 s[6:7], s[4:5]
	s_cbranch_execz .LBB46_3
; %bb.2:
	global_load_dword v1, v[4:5], off
.LBB46_3:
	s_or_b64 exec, exec, s[6:7]
	v_or_b32_e32 v3, 0x100, v0
	v_cmp_gt_u32_e64 s[6:7], s64, v3
	v_mov_b32_e32 v3, s3
	s_and_saveexec_b64 s[8:9], s[6:7]
	s_cbranch_execz .LBB46_5
; %bb.4:
	global_load_dword v3, v[4:5], off offset:1024
.LBB46_5:
	s_or_b64 exec, exec, s[8:9]
	v_or_b32_e32 v6, 0x200, v0
	v_cmp_gt_u32_e64 s[8:9], s64, v6
	v_mov_b32_e32 v6, s3
	s_and_saveexec_b64 s[10:11], s[8:9]
	s_cbranch_execz .LBB46_7
; %bb.6:
	global_load_dword v6, v[4:5], off offset:2048
.LBB46_7:
	;; [unrolled: 9-line block ×3, first 2 shown]
	s_or_b64 exec, exec, s[12:13]
	v_or_b32_e32 v8, 0x400, v0
	v_cmp_gt_u32_e64 s[12:13], s64, v8
	v_mov_b32_e32 v8, s3
	s_and_saveexec_b64 s[14:15], s[12:13]
	s_cbranch_execz .LBB46_11
; %bb.10:
	v_add_co_u32_e32 v8, vcc, 0x1000, v4
	s_nop 1
	v_addc_co_u32_e32 v9, vcc, 0, v5, vcc
	global_load_dword v8, v[8:9], off
.LBB46_11:
	s_or_b64 exec, exec, s[14:15]
	v_or_b32_e32 v9, 0x500, v0
	v_cmp_gt_u32_e64 s[14:15], s64, v9
	v_mov_b32_e32 v9, s3
	s_and_saveexec_b64 s[16:17], s[14:15]
	s_cbranch_execz .LBB46_13
; %bb.12:
	v_add_co_u32_e32 v10, vcc, 0x1000, v4
	s_nop 1
	v_addc_co_u32_e32 v11, vcc, 0, v5, vcc
	global_load_dword v9, v[10:11], off offset:1024
.LBB46_13:
	s_or_b64 exec, exec, s[16:17]
	v_or_b32_e32 v10, 0x600, v0
	v_cmp_gt_u32_e64 s[16:17], s64, v10
	v_mov_b32_e32 v10, s3
	s_and_saveexec_b64 s[18:19], s[16:17]
	s_cbranch_execz .LBB46_15
; %bb.14:
	v_add_co_u32_e32 v10, vcc, 0x1000, v4
	s_nop 1
	v_addc_co_u32_e32 v11, vcc, 0, v5, vcc
	global_load_dword v10, v[10:11], off offset:2048
.LBB46_15:
	s_or_b64 exec, exec, s[18:19]
	v_or_b32_e32 v11, 0x700, v0
	v_cmp_gt_u32_e64 s[18:19], s64, v11
	v_mov_b32_e32 v11, s3
	s_and_saveexec_b64 s[20:21], s[18:19]
	s_cbranch_execz .LBB46_17
; %bb.16:
	v_add_co_u32_e32 v12, vcc, 0x1000, v4
	s_nop 1
	v_addc_co_u32_e32 v13, vcc, 0, v5, vcc
	global_load_dword v11, v[12:13], off offset:3072
.LBB46_17:
	s_or_b64 exec, exec, s[20:21]
	v_or_b32_e32 v12, 0x800, v0
	v_cmp_gt_u32_e64 s[20:21], s64, v12
	v_mov_b32_e32 v12, s3
	s_and_saveexec_b64 s[22:23], s[20:21]
	s_cbranch_execz .LBB46_19
; %bb.18:
	v_add_co_u32_e32 v12, vcc, 0x2000, v4
	s_nop 1
	v_addc_co_u32_e32 v13, vcc, 0, v5, vcc
	global_load_dword v12, v[12:13], off
.LBB46_19:
	s_or_b64 exec, exec, s[22:23]
	v_or_b32_e32 v13, 0x900, v0
	v_cmp_gt_u32_e64 s[22:23], s64, v13
	v_mov_b32_e32 v13, s3
	s_and_saveexec_b64 s[24:25], s[22:23]
	s_cbranch_execz .LBB46_21
; %bb.20:
	v_add_co_u32_e32 v14, vcc, 0x2000, v4
	s_nop 1
	v_addc_co_u32_e32 v15, vcc, 0, v5, vcc
	global_load_dword v13, v[14:15], off offset:1024
.LBB46_21:
	s_or_b64 exec, exec, s[24:25]
	v_or_b32_e32 v14, 0xa00, v0
	v_cmp_gt_u32_e64 s[24:25], s64, v14
	v_mov_b32_e32 v14, s3
	s_and_saveexec_b64 s[26:27], s[24:25]
	s_cbranch_execz .LBB46_23
; %bb.22:
	v_add_co_u32_e32 v14, vcc, 0x2000, v4
	s_nop 1
	v_addc_co_u32_e32 v15, vcc, 0, v5, vcc
	global_load_dword v14, v[14:15], off offset:2048
.LBB46_23:
	s_or_b64 exec, exec, s[26:27]
	v_or_b32_e32 v15, 0xb00, v0
	v_cmp_gt_u32_e64 s[26:27], s64, v15
	v_mov_b32_e32 v15, s3
	s_and_saveexec_b64 s[28:29], s[26:27]
	s_cbranch_execz .LBB46_25
; %bb.24:
	v_add_co_u32_e32 v16, vcc, 0x2000, v4
	s_nop 1
	v_addc_co_u32_e32 v17, vcc, 0, v5, vcc
	global_load_dword v15, v[16:17], off offset:3072
.LBB46_25:
	;; [unrolled: 48-line block ×5, first 2 shown]
	s_or_b64 exec, exec, s[58:59]
	s_sub_u32 s58, 0, s2
	s_subb_u32 s59, 0, 0
	s_cmp_eq_u64 s[58:59], s[80:81]
	s_movk_i32 s3, 0x5c
	s_cselect_b32 s58, 0, -4
	s_waitcnt vmcnt(0)
	ds_write2st64_b32 v2, v1, v3 offset1:4
	ds_write2st64_b32 v2, v6, v7 offset0:8 offset1:12
	ds_write2st64_b32 v2, v8, v9 offset0:16 offset1:20
	;; [unrolled: 1-line block ×11, first 2 shown]
	v_mad_u32_u24 v2, v0, s3, v2
	s_cselect_b32 s3, 0, -1
	s_add_u32 s58, s56, s58
	s_addc_u32 s59, s57, s3
	s_waitcnt lgkmcnt(0)
	s_barrier
	s_load_dword s3, s[58:59], 0x0
	ds_read2_b32 v[26:27], v2 offset0:7 offset1:12
	s_movk_i32 s58, 0xffa4
	v_mad_i32_i24 v1, v0, s58, v2
	v_cmp_ne_u32_e32 vcc, 0, v0
	s_waitcnt lgkmcnt(0)
	v_mov_b32_e32 v60, s3
	ds_read_b64 v[20:21], v2 offset:88
	ds_read2_b64 v[10:13], v2 offset0:9 offset1:10
	ds_read_b32 v58, v2 offset:68
	ds_read2_b32 v[22:23], v2 offset0:15 offset1:16
	ds_read2_b32 v[24:25], v2 offset0:13 offset1:14
	ds_read_b128 v[14:17], v2 offset:32
	ds_read2_b32 v[28:29], v2 offset0:5 offset1:6
	ds_read_b96 v[6:8], v2
	ds_read2_b32 v[30:31], v2 offset0:3 offset1:4
	s_waitcnt lgkmcnt(8)
	ds_write_b32 v1, v21 offset:24576
	s_waitcnt lgkmcnt(0)
	s_barrier
	s_and_saveexec_b64 s[58:59], vcc
	s_cbranch_execz .LBB46_51
; %bb.50:
	ds_read_b32 v60, v1 offset:24572
.LBB46_51:
	s_or_b64 exec, exec, s[58:59]
	v_lshlrev_b32_e32 v2, 1, v0
	v_mov_b32_e32 v3, 0
	v_lshl_add_u64 v[4:5], s[54:55], 0, v[2:3]
	s_waitcnt lgkmcnt(0)
	s_barrier
	s_waitcnt lgkmcnt(0)
                                        ; implicit-def: $vgpr3
	s_and_saveexec_b64 s[58:59], s[4:5]
	s_cbranch_execz .LBB46_199
; %bb.52:
	global_load_ushort v3, v[4:5], off
	s_or_b64 exec, exec, s[58:59]
                                        ; implicit-def: $vgpr9
	s_and_saveexec_b64 s[4:5], s[6:7]
	s_cbranch_execnz .LBB46_200
.LBB46_53:
	s_or_b64 exec, exec, s[4:5]
                                        ; implicit-def: $vgpr18
	s_and_saveexec_b64 s[4:5], s[8:9]
	s_cbranch_execz .LBB46_201
.LBB46_54:
	global_load_ushort v18, v[4:5], off offset:1024
	s_or_b64 exec, exec, s[4:5]
                                        ; implicit-def: $vgpr19
	s_and_saveexec_b64 s[4:5], s[10:11]
	s_cbranch_execnz .LBB46_202
.LBB46_55:
	s_or_b64 exec, exec, s[4:5]
                                        ; implicit-def: $vgpr32
	s_and_saveexec_b64 s[4:5], s[12:13]
	s_cbranch_execz .LBB46_203
.LBB46_56:
	global_load_ushort v32, v[4:5], off offset:2048
	s_or_b64 exec, exec, s[4:5]
                                        ; implicit-def: $vgpr33
	s_and_saveexec_b64 s[4:5], s[14:15]
	s_cbranch_execnz .LBB46_204
.LBB46_57:
	s_or_b64 exec, exec, s[4:5]
                                        ; implicit-def: $vgpr34
	s_and_saveexec_b64 s[4:5], s[16:17]
	s_cbranch_execz .LBB46_205
.LBB46_58:
	global_load_ushort v34, v[4:5], off offset:3072
	s_or_b64 exec, exec, s[4:5]
                                        ; implicit-def: $vgpr35
	s_and_saveexec_b64 s[4:5], s[18:19]
	s_cbranch_execnz .LBB46_206
.LBB46_59:
	s_or_b64 exec, exec, s[4:5]
                                        ; implicit-def: $vgpr36
	s_and_saveexec_b64 s[4:5], s[20:21]
	s_cbranch_execz .LBB46_207
.LBB46_60:
	v_add_co_u32_e32 v36, vcc, 0x1000, v4
	s_nop 1
	v_addc_co_u32_e32 v37, vcc, 0, v5, vcc
	global_load_ushort v36, v[36:37], off
	s_or_b64 exec, exec, s[4:5]
                                        ; implicit-def: $vgpr37
	s_and_saveexec_b64 s[4:5], s[22:23]
	s_cbranch_execnz .LBB46_208
.LBB46_61:
	s_or_b64 exec, exec, s[4:5]
                                        ; implicit-def: $vgpr38
	s_and_saveexec_b64 s[4:5], s[24:25]
	s_cbranch_execz .LBB46_209
.LBB46_62:
	v_add_co_u32_e32 v38, vcc, 0x1000, v4
	s_nop 1
	v_addc_co_u32_e32 v39, vcc, 0, v5, vcc
	global_load_ushort v38, v[38:39], off offset:1024
	s_or_b64 exec, exec, s[4:5]
                                        ; implicit-def: $vgpr39
	s_and_saveexec_b64 s[4:5], s[26:27]
	s_cbranch_execnz .LBB46_210
.LBB46_63:
	s_or_b64 exec, exec, s[4:5]
                                        ; implicit-def: $vgpr40
	s_and_saveexec_b64 s[4:5], s[28:29]
	s_cbranch_execz .LBB46_211
.LBB46_64:
	v_add_co_u32_e32 v40, vcc, 0x1000, v4
	s_nop 1
	v_addc_co_u32_e32 v41, vcc, 0, v5, vcc
	global_load_ushort v40, v[40:41], off offset:2048
	s_or_b64 exec, exec, s[4:5]
                                        ; implicit-def: $vgpr41
	s_and_saveexec_b64 s[4:5], s[30:31]
	s_cbranch_execnz .LBB46_212
.LBB46_65:
	s_or_b64 exec, exec, s[4:5]
                                        ; implicit-def: $vgpr42
	s_and_saveexec_b64 s[4:5], s[34:35]
	s_cbranch_execz .LBB46_213
.LBB46_66:
	v_add_co_u32_e32 v42, vcc, 0x1000, v4
	s_nop 1
	v_addc_co_u32_e32 v43, vcc, 0, v5, vcc
	global_load_ushort v42, v[42:43], off offset:3072
	s_or_b64 exec, exec, s[4:5]
                                        ; implicit-def: $vgpr43
	s_and_saveexec_b64 s[4:5], s[36:37]
	s_cbranch_execnz .LBB46_214
.LBB46_67:
	s_or_b64 exec, exec, s[4:5]
                                        ; implicit-def: $vgpr44
	s_and_saveexec_b64 s[4:5], s[38:39]
	s_cbranch_execz .LBB46_215
.LBB46_68:
	v_add_co_u32_e32 v44, vcc, 0x2000, v4
	s_nop 1
	v_addc_co_u32_e32 v45, vcc, 0, v5, vcc
	global_load_ushort v44, v[44:45], off
	s_or_b64 exec, exec, s[4:5]
                                        ; implicit-def: $vgpr45
	s_and_saveexec_b64 s[4:5], s[40:41]
	s_cbranch_execnz .LBB46_216
.LBB46_69:
	s_or_b64 exec, exec, s[4:5]
                                        ; implicit-def: $vgpr46
	s_and_saveexec_b64 s[4:5], s[42:43]
	s_cbranch_execz .LBB46_217
.LBB46_70:
	v_add_co_u32_e32 v46, vcc, 0x2000, v4
	s_nop 1
	v_addc_co_u32_e32 v47, vcc, 0, v5, vcc
	global_load_ushort v46, v[46:47], off offset:1024
	s_or_b64 exec, exec, s[4:5]
                                        ; implicit-def: $vgpr47
	s_and_saveexec_b64 s[4:5], s[44:45]
	s_cbranch_execnz .LBB46_218
.LBB46_71:
	s_or_b64 exec, exec, s[4:5]
                                        ; implicit-def: $vgpr48
	s_and_saveexec_b64 s[4:5], s[46:47]
	s_cbranch_execz .LBB46_219
.LBB46_72:
	v_add_co_u32_e32 v48, vcc, 0x2000, v4
	s_nop 1
	v_addc_co_u32_e32 v49, vcc, 0, v5, vcc
	global_load_ushort v48, v[48:49], off offset:2048
	s_or_b64 exec, exec, s[4:5]
                                        ; implicit-def: $vgpr49
	s_and_saveexec_b64 s[4:5], s[48:49]
	s_cbranch_execnz .LBB46_220
.LBB46_73:
	s_or_b64 exec, exec, s[4:5]
                                        ; implicit-def: $vgpr50
	s_and_saveexec_b64 s[4:5], s[50:51]
	s_cbranch_execz .LBB46_75
.LBB46_74:
	v_add_co_u32_e32 v50, vcc, 0x2000, v4
	s_nop 1
	v_addc_co_u32_e32 v51, vcc, 0, v5, vcc
	global_load_ushort v50, v[50:51], off offset:3072
.LBB46_75:
	s_or_b64 exec, exec, s[4:5]
	v_mul_u32_u24_e32 v59, 24, v0
                                        ; implicit-def: $vgpr51
	s_and_saveexec_b64 s[4:5], s[52:53]
	s_cbranch_execz .LBB46_77
; %bb.76:
	v_add_co_u32_e32 v4, vcc, 0x2000, v4
	s_nop 1
	v_addc_co_u32_e32 v5, vcc, 0, v5, vcc
	global_load_ushort v51, v[4:5], off offset:3584
.LBB46_77:
	s_or_b64 exec, exec, s[4:5]
	v_sub_u32_e32 v2, v1, v2
	s_waitcnt vmcnt(0)
	ds_write_b16 v2, v3
	ds_write_b16 v2, v9 offset:512
	ds_write_b16 v2, v18 offset:1024
	;; [unrolled: 1-line block ×23, first 2 shown]
	v_cmp_gt_u32_e32 vcc, s64, v59
	s_mov_b64 s[10:11], 0
	s_mov_b32 s3, 0
	v_mov_b32_e32 v32, 0
	v_mov_b32_e32 v53, 0
	;; [unrolled: 1-line block ×4, first 2 shown]
	s_mov_b64 s[8:9], 0
	v_mov_b32_e32 v38, 0
	v_mov_b32_e32 v40, 0
	v_mov_b32_e32 v42, 0
	v_mov_b32_e32 v43, 0
	v_mov_b32_e32 v45, 0
	v_mov_b32_e32 v46, 0
	v_mov_b32_e32 v48, 0
	v_mov_b32_e32 v51, 0
	v_mov_b32_e32 v55, 0
	v_mov_b32_e32 v57, 0
	v_mov_b32_e32 v47, 0
	v_mov_b32_e32 v44, 0
	v_mov_b32_e32 v41, 0
	v_mov_b32_e32 v34, 0
	v_mov_b32_e32 v33, 0
	v_mov_b32_e32 v36, 0
	v_mov_b32_e32 v35, 0
	v_mov_b32_e32 v39, 0
	v_mov_b32_e32 v37, 0
	s_waitcnt lgkmcnt(0)
	s_barrier
	s_waitcnt lgkmcnt(0)
                                        ; implicit-def: $sgpr6_sgpr7
                                        ; implicit-def: $vgpr18
                                        ; implicit-def: $vgpr9
                                        ; implicit-def: $vgpr5
                                        ; implicit-def: $vgpr49
                                        ; implicit-def: $vgpr50
                                        ; implicit-def: $vgpr52
                                        ; implicit-def: $vgpr54
                                        ; implicit-def: $vgpr56
	s_and_saveexec_b64 s[12:13], vcc
	s_cbranch_execz .LBB46_123
; %bb.78:
	v_mad_u32_u24 v1, v0, 46, v2
	ds_read_u16 v1, v1
	v_cmp_ne_u32_e32 vcc, v60, v6
	v_or_b32_e32 v3, 1, v59
	s_mov_b64 s[4:5], 0
	v_cndmask_b32_e64 v19, 0, 1, vcc
	v_cmp_gt_u32_e32 vcc, s64, v3
	v_mov_b32_e32 v32, 0
	v_mov_b32_e32 v53, 0
	;; [unrolled: 1-line block ×21, first 2 shown]
                                        ; implicit-def: $sgpr6_sgpr7
                                        ; implicit-def: $vgpr18
                                        ; implicit-def: $vgpr9
                                        ; implicit-def: $vgpr5
                                        ; implicit-def: $vgpr49
                                        ; implicit-def: $vgpr50
                                        ; implicit-def: $vgpr52
                                        ; implicit-def: $vgpr54
                                        ; implicit-def: $vgpr56
	s_and_saveexec_b64 s[14:15], vcc
	s_cbranch_execz .LBB46_122
; %bb.79:
	v_mul_u32_u24_e32 v3, 46, v0
	v_add_u32_e32 v60, v2, v3
	ds_read_b128 v[2:5], v60 offset:2
	v_or_b32_e32 v9, 2, v59
	v_cmp_ne_u32_e32 vcc, v6, v7
	v_mov_b32_e32 v32, 0
	v_mov_b32_e32 v53, 0
	v_cndmask_b32_e64 v34, 0, 1, vcc
	v_cmp_gt_u32_e32 vcc, s64, v9
	s_waitcnt lgkmcnt(0)
	v_and_b32_e32 v57, 0xffff, v2
	v_mov_b32_e32 v33, 0
	v_mov_b32_e32 v38, 0
	;; [unrolled: 1-line block ×17, first 2 shown]
                                        ; implicit-def: $sgpr6_sgpr7
                                        ; implicit-def: $vgpr18
                                        ; implicit-def: $vgpr9
                                        ; implicit-def: $vgpr49
                                        ; implicit-def: $vgpr50
                                        ; implicit-def: $vgpr52
                                        ; implicit-def: $vgpr54
                                        ; implicit-def: $vgpr56
	s_and_saveexec_b64 s[16:17], vcc
	s_cbranch_execz .LBB46_121
; %bb.80:
	v_or_b32_e32 v6, 3, v59
	v_cmp_ne_u32_e32 vcc, v7, v8
	v_mov_b32_e32 v32, 0
	v_mov_b32_e32 v53, 0
	v_cndmask_b32_e64 v33, 0, 1, vcc
	v_cmp_gt_u32_e32 vcc, s64, v6
	v_mov_b32_e32 v36, 0
	v_mov_b32_e32 v38, 0
	;; [unrolled: 1-line block ×16, first 2 shown]
                                        ; implicit-def: $sgpr6_sgpr7
                                        ; implicit-def: $vgpr18
                                        ; implicit-def: $vgpr9
                                        ; implicit-def: $vgpr49
                                        ; implicit-def: $vgpr50
                                        ; implicit-def: $vgpr52
                                        ; implicit-def: $vgpr54
                                        ; implicit-def: $vgpr56
	s_and_saveexec_b64 s[18:19], vcc
	s_cbranch_execz .LBB46_120
; %bb.81:
	v_or_b32_e32 v6, 4, v59
	v_cmp_ne_u32_e32 vcc, v8, v30
	v_and_b32_e32 v55, 0xffff, v3
	v_mov_b32_e32 v32, 0
	v_cndmask_b32_e64 v35, 0, 1, vcc
	v_cmp_gt_u32_e32 vcc, s64, v6
	v_mov_b32_e32 v53, 0
	v_mov_b32_e32 v36, 0
	v_mov_b32_e32 v38, 0
	v_mov_b32_e32 v40, 0
	v_mov_b32_e32 v42, 0
	v_mov_b32_e32 v43, 0
	v_mov_b32_e32 v45, 0
	v_mov_b32_e32 v46, 0
	v_mov_b32_e32 v48, 0
	v_mov_b32_e32 v51, 0
	v_mov_b32_e32 v47, 0
	v_mov_b32_e32 v44, 0
	v_mov_b32_e32 v41, 0
	v_mov_b32_e32 v39, 0
	v_mov_b32_e32 v37, 0
                                        ; implicit-def: $sgpr6_sgpr7
                                        ; implicit-def: $vgpr18
                                        ; implicit-def: $vgpr9
                                        ; implicit-def: $vgpr49
                                        ; implicit-def: $vgpr50
                                        ; implicit-def: $vgpr52
                                        ; implicit-def: $vgpr54
                                        ; implicit-def: $vgpr56
	s_and_saveexec_b64 s[20:21], vcc
	s_cbranch_execz .LBB46_119
; %bb.82:
	v_or_b32_e32 v6, 5, v59
	v_cmp_ne_u32_e64 s[8:9], v30, v31
	v_cmp_ne_u32_e32 vcc, v28, v29
	v_cmp_ne_u32_e64 s[4:5], v29, v26
	v_cmp_ne_u32_e64 s[6:7], v31, v28
	v_cndmask_b32_e64 v53, 0, 1, s[8:9]
	v_cmp_gt_u32_e64 s[8:9], s64, v6
	s_mov_b64 s[24:25], 0
	v_mov_b32_e32 v32, 0
	v_mov_b32_e32 v47, 0
	;; [unrolled: 1-line block ×15, first 2 shown]
                                        ; implicit-def: $sgpr26_sgpr27
                                        ; implicit-def: $vgpr18
                                        ; implicit-def: $vgpr9
                                        ; implicit-def: $vgpr49
                                        ; implicit-def: $vgpr50
                                        ; implicit-def: $vgpr52
                                        ; implicit-def: $vgpr54
                                        ; implicit-def: $vgpr56
	s_and_saveexec_b64 s[22:23], s[8:9]
	s_cbranch_execz .LBB46_118
; %bb.83:
	v_cndmask_b32_e64 v6, 0, 1, s[6:7]
	v_cndmask_b32_e64 v7, 0, 1, s[4:5]
	v_lshlrev_b16_e32 v6, 8, v6
	v_lshlrev_b16_e32 v7, 8, v7
	v_cndmask_b32_e64 v8, 0, 1, vcc
	v_or_b32_e32 v6, v53, v6
	v_or_b32_sdwa v7, v8, v7 dst_sel:WORD_1 dst_unused:UNUSED_PAD src0_sel:DWORD src1_sel:DWORD
	v_and_b32_e32 v51, 0xffff, v4
	v_or_b32_sdwa v49, v6, v7 dst_sel:DWORD dst_unused:UNUSED_PAD src0_sel:WORD_0 src1_sel:DWORD
	v_or_b32_e32 v6, 6, v59
	v_and_b32_e32 v53, 0xffff, v49
	v_cmp_gt_u32_e32 vcc, s64, v6
	s_mov_b64 s[4:5], 0
	v_mov_b32_e32 v32, 0
	v_mov_b32_e32 v47, 0
	;; [unrolled: 1-line block ×14, first 2 shown]
                                        ; implicit-def: $sgpr6_sgpr7
                                        ; implicit-def: $vgpr18
                                        ; implicit-def: $vgpr9
                                        ; implicit-def: $vgpr50
                                        ; implicit-def: $vgpr52
                                        ; implicit-def: $vgpr54
                                        ; implicit-def: $vgpr56
	s_and_saveexec_b64 s[24:25], vcc
	s_cbranch_execz .LBB46_117
; %bb.84:
	v_or_b32_e32 v6, 7, v59
	v_cmp_gt_u32_e32 vcc, s64, v6
	v_and_b32_e32 v53, 0xffffff, v49
	v_mov_b32_e32 v32, 0
	v_mov_b32_e32 v47, 0
	;; [unrolled: 1-line block ×14, first 2 shown]
                                        ; implicit-def: $sgpr6_sgpr7
                                        ; implicit-def: $vgpr18
                                        ; implicit-def: $vgpr9
                                        ; implicit-def: $vgpr50
                                        ; implicit-def: $vgpr52
                                        ; implicit-def: $vgpr54
                                        ; implicit-def: $vgpr56
	s_and_saveexec_b64 s[26:27], vcc
	s_cbranch_execz .LBB46_116
; %bb.85:
	v_add_u32_e32 v6, 8, v59
	v_cmp_gt_u32_e32 vcc, s64, v6
	v_and_b32_e32 v48, 0xffff, v5
	v_mov_b32_e32 v32, 0
	v_mov_b32_e32 v47, 0
	;; [unrolled: 1-line block ×13, first 2 shown]
                                        ; implicit-def: $sgpr6_sgpr7
                                        ; implicit-def: $vgpr18
                                        ; implicit-def: $vgpr9
                                        ; implicit-def: $vgpr50
                                        ; implicit-def: $vgpr52
                                        ; implicit-def: $vgpr54
                                        ; implicit-def: $vgpr56
	s_and_saveexec_b64 s[28:29], vcc
	s_cbranch_execz .LBB46_115
; %bb.86:
	v_add_u32_e32 v6, 9, v59
	v_cmp_ne_u32_e32 vcc, v26, v14
	v_mov_b32_e32 v32, 0
	v_mov_b32_e32 v47, 0
	v_cndmask_b32_e64 v37, 0, 1, vcc
	v_cmp_gt_u32_e32 vcc, s64, v6
	v_mov_b32_e32 v36, 0
	v_mov_b32_e32 v38, 0
	;; [unrolled: 1-line block ×10, first 2 shown]
                                        ; implicit-def: $sgpr6_sgpr7
                                        ; implicit-def: $vgpr18
                                        ; implicit-def: $vgpr9
                                        ; implicit-def: $vgpr50
                                        ; implicit-def: $vgpr52
                                        ; implicit-def: $vgpr54
                                        ; implicit-def: $vgpr56
	s_and_saveexec_b64 s[30:31], vcc
	s_cbranch_execz .LBB46_114
; %bb.87:
	ds_read_b128 v[6:9], v60 offset:18
	v_add_u32_e32 v18, 10, v59
	v_cmp_ne_u32_e64 s[8:9], v14, v15
	v_cmp_ne_u32_e32 vcc, v16, v17
	v_cmp_ne_u32_e64 s[4:5], v17, v27
	v_cmp_ne_u32_e64 s[6:7], v15, v16
	v_cndmask_b32_e64 v47, 0, 1, s[8:9]
	v_cmp_gt_u32_e64 s[8:9], s64, v18
	s_waitcnt lgkmcnt(0)
	v_and_b32_e32 v46, 0xffff, v6
	s_mov_b64 s[36:37], 0
	v_mov_b32_e32 v32, 0
	v_mov_b32_e32 v44, 0
	;; [unrolled: 1-line block ×10, first 2 shown]
                                        ; implicit-def: $sgpr38_sgpr39
                                        ; implicit-def: $vgpr18
                                        ; implicit-def: $vgpr50
                                        ; implicit-def: $vgpr52
                                        ; implicit-def: $vgpr54
                                        ; implicit-def: $vgpr56
	s_and_saveexec_b64 s[34:35], s[8:9]
	s_cbranch_execz .LBB46_113
; %bb.88:
	v_cndmask_b32_e64 v14, 0, 1, s[6:7]
	v_cndmask_b32_e64 v15, 0, 1, s[4:5]
	v_lshlrev_b16_e32 v14, 8, v14
	v_lshlrev_b16_e32 v15, 8, v15
	v_cndmask_b32_e64 v16, 0, 1, vcc
	v_or_b32_e32 v14, v47, v14
	v_or_b32_sdwa v15, v16, v15 dst_sel:WORD_1 dst_unused:UNUSED_PAD src0_sel:DWORD src1_sel:DWORD
	s_mov_b64 s[4:5], 0
	v_or_b32_sdwa v50, v14, v15 dst_sel:DWORD dst_unused:UNUSED_PAD src0_sel:WORD_0 src1_sel:DWORD
	v_add_u32_e32 v14, 11, v59
	v_and_b32_e32 v47, 0xffff, v50
	v_cmp_gt_u32_e32 vcc, s64, v14
	v_mov_b32_e32 v32, 0
	v_mov_b32_e32 v44, 0
	;; [unrolled: 1-line block ×10, first 2 shown]
                                        ; implicit-def: $sgpr6_sgpr7
                                        ; implicit-def: $vgpr18
                                        ; implicit-def: $vgpr52
                                        ; implicit-def: $vgpr54
                                        ; implicit-def: $vgpr56
	s_and_saveexec_b64 s[36:37], vcc
	s_cbranch_execz .LBB46_112
; %bb.89:
	v_add_u32_e32 v14, 12, v59
	v_cmp_gt_u32_e32 vcc, s64, v14
	v_and_b32_e32 v47, 0xffffff, v50
	v_and_b32_e32 v45, 0xffff, v7
	v_mov_b32_e32 v32, 0
	v_mov_b32_e32 v44, 0
	v_mov_b32_e32 v36, 0
	v_mov_b32_e32 v38, 0
	v_mov_b32_e32 v40, 0
	v_mov_b32_e32 v42, 0
	v_mov_b32_e32 v43, 0
	v_mov_b32_e32 v41, 0
	v_mov_b32_e32 v39, 0
                                        ; implicit-def: $sgpr6_sgpr7
                                        ; implicit-def: $vgpr18
                                        ; implicit-def: $vgpr52
                                        ; implicit-def: $vgpr54
                                        ; implicit-def: $vgpr56
	s_and_saveexec_b64 s[38:39], vcc
	s_cbranch_execz .LBB46_111
; %bb.90:
	v_add_u32_e32 v14, 13, v59
	v_cmp_gt_u32_e32 vcc, s64, v14
	v_mov_b32_e32 v32, 0
	v_mov_b32_e32 v44, 0
	;; [unrolled: 1-line block ×9, first 2 shown]
                                        ; implicit-def: $sgpr6_sgpr7
                                        ; implicit-def: $vgpr18
                                        ; implicit-def: $vgpr52
                                        ; implicit-def: $vgpr54
                                        ; implicit-def: $vgpr56
	s_and_saveexec_b64 s[40:41], vcc
	s_cbranch_execz .LBB46_110
; %bb.91:
	v_add_u32_e32 v14, 14, v59
	v_cmp_ne_u32_e32 vcc, v27, v24
	v_and_b32_e32 v43, 0xffff, v8
	v_mov_b32_e32 v32, 0
	v_cndmask_b32_e64 v39, 0, 1, vcc
	v_cmp_gt_u32_e32 vcc, s64, v14
	v_mov_b32_e32 v44, 0
	v_mov_b32_e32 v36, 0
	;; [unrolled: 1-line block ×6, first 2 shown]
                                        ; implicit-def: $sgpr6_sgpr7
                                        ; implicit-def: $vgpr18
                                        ; implicit-def: $vgpr52
                                        ; implicit-def: $vgpr54
                                        ; implicit-def: $vgpr56
	s_and_saveexec_b64 s[42:43], vcc
	s_cbranch_execz .LBB46_109
; %bb.92:
	v_add_u32_e32 v14, 15, v59
	v_cmp_ne_u32_e64 s[8:9], v24, v25
	v_cmp_ne_u32_e32 vcc, v22, v23
	v_cmp_ne_u32_e64 s[4:5], v23, v58
	v_cmp_ne_u32_e64 s[6:7], v25, v22
	v_cndmask_b32_e64 v44, 0, 1, s[8:9]
	v_cmp_gt_u32_e64 s[8:9], s64, v14
	s_mov_b64 s[46:47], 0
	v_mov_b32_e32 v32, 0
	v_mov_b32_e32 v41, 0
	;; [unrolled: 1-line block ×6, first 2 shown]
                                        ; implicit-def: $sgpr48_sgpr49
                                        ; implicit-def: $vgpr18
                                        ; implicit-def: $vgpr52
                                        ; implicit-def: $vgpr54
                                        ; implicit-def: $vgpr56
	s_and_saveexec_b64 s[44:45], s[8:9]
	s_cbranch_execz .LBB46_108
; %bb.93:
	v_cndmask_b32_e64 v14, 0, 1, s[6:7]
	v_cndmask_b32_e64 v15, 0, 1, s[4:5]
	v_lshlrev_b16_e32 v14, 8, v14
	v_lshlrev_b16_e32 v15, 8, v15
	v_cndmask_b32_e64 v16, 0, 1, vcc
	v_or_b32_e32 v14, v44, v14
	v_or_b32_sdwa v15, v16, v15 dst_sel:WORD_1 dst_unused:UNUSED_PAD src0_sel:DWORD src1_sel:DWORD
	v_and_b32_e32 v42, 0xffff, v9
	v_or_b32_sdwa v52, v14, v15 dst_sel:DWORD dst_unused:UNUSED_PAD src0_sel:WORD_0 src1_sel:DWORD
	v_add_u32_e32 v14, 16, v59
	v_and_b32_e32 v44, 0xffff, v52
	v_cmp_gt_u32_e32 vcc, s64, v14
	s_mov_b64 s[4:5], 0
	v_mov_b32_e32 v32, 0
	v_mov_b32_e32 v41, 0
	;; [unrolled: 1-line block ×5, first 2 shown]
                                        ; implicit-def: $sgpr6_sgpr7
                                        ; implicit-def: $vgpr18
                                        ; implicit-def: $vgpr54
                                        ; implicit-def: $vgpr56
	s_and_saveexec_b64 s[46:47], vcc
	s_cbranch_execz .LBB46_107
; %bb.94:
	v_add_u32_e32 v14, 17, v59
	v_cmp_gt_u32_e32 vcc, s64, v14
	v_and_b32_e32 v44, 0xffffff, v52
	v_mov_b32_e32 v32, 0
	v_mov_b32_e32 v41, 0
	;; [unrolled: 1-line block ×5, first 2 shown]
                                        ; implicit-def: $sgpr6_sgpr7
                                        ; implicit-def: $vgpr18
                                        ; implicit-def: $vgpr54
                                        ; implicit-def: $vgpr56
	s_and_saveexec_b64 s[48:49], vcc
	s_cbranch_execz .LBB46_106
; %bb.95:
	ds_read_b96 v[16:18], v60 offset:34
	v_add_u32_e32 v14, 18, v59
	v_mov_b32_e32 v32, 0
	v_cmp_gt_u32_e32 vcc, s64, v14
	v_mov_b32_e32 v41, 0
	s_waitcnt lgkmcnt(0)
	v_and_b32_e32 v40, 0xffff, v16
	v_mov_b32_e32 v36, 0
	v_mov_b32_e32 v38, 0
                                        ; implicit-def: $sgpr6_sgpr7
                                        ; implicit-def: $vgpr54
                                        ; implicit-def: $vgpr56
	s_and_saveexec_b64 s[50:51], vcc
	s_cbranch_execz .LBB46_105
; %bb.96:
	v_add_u32_e32 v14, 19, v59
	v_cmp_ne_u32_e32 vcc, v58, v10
	v_mov_b32_e32 v32, 0
	v_mov_b32_e32 v41, 0
	v_cndmask_b32_e64 v36, 0, 1, vcc
	v_cmp_gt_u32_e32 vcc, s64, v14
	v_mov_b32_e32 v38, 0
                                        ; implicit-def: $sgpr6_sgpr7
                                        ; implicit-def: $vgpr54
                                        ; implicit-def: $vgpr56
	s_and_saveexec_b64 s[52:53], vcc
	s_cbranch_execz .LBB46_104
; %bb.97:
	v_add_u32_e32 v14, 20, v59
	v_cmp_ne_u32_e64 s[8:9], v10, v11
	v_cmp_ne_u32_e32 vcc, v12, v13
	v_cmp_ne_u32_e64 s[4:5], v13, v20
	v_cmp_ne_u32_e64 s[6:7], v11, v12
	v_cndmask_b32_e64 v41, 0, 1, s[8:9]
	v_cmp_gt_u32_e64 s[8:9], s64, v14
	v_and_b32_e32 v38, 0xffff, v17
	s_mov_b64 s[60:61], 0
	v_mov_b32_e32 v32, 0
                                        ; implicit-def: $sgpr62_sgpr63
                                        ; implicit-def: $vgpr54
                                        ; implicit-def: $vgpr56
	s_and_saveexec_b64 s[58:59], s[8:9]
	s_cbranch_execz .LBB46_103
; %bb.98:
	v_cndmask_b32_e64 v10, 0, 1, s[6:7]
	v_cndmask_b32_e64 v11, 0, 1, s[4:5]
	v_lshlrev_b16_e32 v10, 8, v10
	v_lshlrev_b16_e32 v11, 8, v11
	v_cndmask_b32_e64 v12, 0, 1, vcc
	v_or_b32_e32 v10, v41, v10
	v_or_b32_sdwa v11, v12, v11 dst_sel:WORD_1 dst_unused:UNUSED_PAD src0_sel:DWORD src1_sel:DWORD
	s_mov_b64 s[4:5], 0
	v_or_b32_sdwa v54, v10, v11 dst_sel:DWORD dst_unused:UNUSED_PAD src0_sel:WORD_0 src1_sel:DWORD
	v_add_u32_e32 v10, 21, v59
	v_and_b32_e32 v41, 0xffff, v54
	v_cmp_gt_u32_e32 vcc, s64, v10
	v_mov_b32_e32 v32, 0
                                        ; implicit-def: $sgpr8_sgpr9
                                        ; implicit-def: $vgpr56
	s_and_saveexec_b64 s[6:7], vcc
	s_cbranch_execz .LBB46_102
; %bb.99:
	v_add_u32_e32 v10, 22, v59
	v_cmp_gt_u32_e32 vcc, s64, v10
	v_and_b32_e32 v41, 0xffffff, v54
	v_and_b32_e32 v32, 0xffff, v18
                                        ; implicit-def: $sgpr8_sgpr9
                                        ; implicit-def: $vgpr56
	s_and_saveexec_b64 s[60:61], vcc
	s_xor_b64 s[60:61], exec, s[60:61]
	s_cbranch_execz .LBB46_101
; %bb.100:
	ds_read_u16 v56, v60 offset:46
	v_add_u32_e32 v10, 23, v59
	v_cmp_ne_u32_e32 vcc, v20, v21
	v_cmp_gt_u32_e64 s[4:5], s64, v10
	s_and_b64 s[8:9], vcc, exec
	s_and_b64 s[4:5], s[4:5], exec
	v_mov_b32_e32 v32, v18
	v_mov_b32_e32 v41, v54
.LBB46_101:
	s_or_b64 exec, exec, s[60:61]
	s_and_b64 s[8:9], s[8:9], exec
	s_and_b64 s[4:5], s[4:5], exec
.LBB46_102:
	s_or_b64 exec, exec, s[6:7]
	s_and_b64 s[62:63], s[8:9], exec
	s_and_b64 s[60:61], s[4:5], exec
	v_mov_b32_e32 v38, v17
.LBB46_103:
	s_or_b64 exec, exec, s[58:59]
	s_and_b64 s[6:7], s[62:63], exec
	s_and_b64 s[4:5], s[60:61], exec
.LBB46_104:
	s_or_b64 exec, exec, s[52:53]
	s_and_b64 s[6:7], s[6:7], exec
	s_and_b64 s[4:5], s[4:5], exec
	v_mov_b32_e32 v40, v16
.LBB46_105:
	s_or_b64 exec, exec, s[50:51]
	s_and_b64 s[6:7], s[6:7], exec
	s_and_b64 s[4:5], s[4:5], exec
	v_mov_b32_e32 v44, v52
.LBB46_106:
	s_or_b64 exec, exec, s[48:49]
	s_and_b64 s[6:7], s[6:7], exec
	s_and_b64 s[4:5], s[4:5], exec
	v_mov_b32_e32 v42, v9
.LBB46_107:
	s_or_b64 exec, exec, s[46:47]
	s_and_b64 s[48:49], s[6:7], exec
	s_and_b64 s[46:47], s[4:5], exec
.LBB46_108:
	s_or_b64 exec, exec, s[44:45]
	s_and_b64 s[6:7], s[48:49], exec
	s_and_b64 s[4:5], s[46:47], exec
	v_mov_b32_e32 v43, v8
.LBB46_109:
	s_or_b64 exec, exec, s[42:43]
	s_and_b64 s[6:7], s[6:7], exec
	s_and_b64 s[4:5], s[4:5], exec
.LBB46_110:
	s_or_b64 exec, exec, s[40:41]
	s_and_b64 s[6:7], s[6:7], exec
	s_and_b64 s[4:5], s[4:5], exec
	v_mov_b32_e32 v45, v7
	v_mov_b32_e32 v47, v50
.LBB46_111:
	s_or_b64 exec, exec, s[38:39]
	s_and_b64 s[6:7], s[6:7], exec
	s_and_b64 s[4:5], s[4:5], exec
.LBB46_112:
	s_or_b64 exec, exec, s[36:37]
	s_and_b64 s[38:39], s[6:7], exec
	s_and_b64 s[36:37], s[4:5], exec
	v_mov_b32_e32 v46, v6
.LBB46_113:
	s_or_b64 exec, exec, s[34:35]
	s_and_b64 s[6:7], s[38:39], exec
	s_and_b64 s[4:5], s[36:37], exec
.LBB46_114:
	s_or_b64 exec, exec, s[30:31]
	s_and_b64 s[6:7], s[6:7], exec
	s_and_b64 s[4:5], s[4:5], exec
	v_mov_b32_e32 v48, v5
.LBB46_115:
	s_or_b64 exec, exec, s[28:29]
	s_and_b64 s[6:7], s[6:7], exec
	s_and_b64 s[4:5], s[4:5], exec
	v_mov_b32_e32 v53, v49
.LBB46_116:
	s_or_b64 exec, exec, s[26:27]
	s_and_b64 s[6:7], s[6:7], exec
	s_and_b64 s[4:5], s[4:5], exec
	v_mov_b32_e32 v51, v4
.LBB46_117:
	s_or_b64 exec, exec, s[24:25]
	s_and_b64 s[26:27], s[6:7], exec
	s_and_b64 s[24:25], s[4:5], exec
.LBB46_118:
	s_or_b64 exec, exec, s[22:23]
	s_and_b64 s[6:7], s[26:27], exec
	s_and_b64 s[4:5], s[24:25], exec
	v_mov_b32_e32 v55, v3
.LBB46_119:
	s_or_b64 exec, exec, s[20:21]
	s_and_b64 s[6:7], s[6:7], exec
	s_and_b64 s[4:5], s[4:5], exec
.LBB46_120:
	s_or_b64 exec, exec, s[18:19]
	s_and_b64 s[6:7], s[6:7], exec
	s_and_b64 s[4:5], s[4:5], exec
	v_mov_b32_e32 v57, v2
.LBB46_121:
	s_or_b64 exec, exec, s[16:17]
	s_and_b64 s[6:7], s[6:7], exec
	s_and_b64 s[4:5], s[4:5], exec
.LBB46_122:
	s_or_b64 exec, exec, s[14:15]
	s_and_b64 s[6:7], s[6:7], exec
	s_and_b64 s[8:9], s[4:5], exec
.LBB46_123:
	s_or_b64 exec, exec, s[12:13]
	s_mov_b32 s12, 0
	s_and_b64 vcc, exec, s[10:11]
	v_cmp_ne_u32_e64 s[4:5], 0, v0
	s_cbranch_vccnz .LBB46_125
	s_branch .LBB46_128
.LBB46_124:
	s_mov_b64 s[8:9], 0
                                        ; implicit-def: $sgpr6_sgpr7
                                        ; implicit-def: $vgpr18
                                        ; implicit-def: $vgpr9
                                        ; implicit-def: $vgpr5
                                        ; implicit-def: $vgpr49
                                        ; implicit-def: $vgpr50
                                        ; implicit-def: $vgpr52
                                        ; implicit-def: $vgpr54
                                        ; implicit-def: $vgpr56
                                        ; implicit-def: $vgpr19
                                        ; implicit-def: $vgpr1
                                        ; implicit-def: $vgpr34
                                        ; implicit-def: $vgpr33
                                        ; implicit-def: $vgpr36
                                        ; implicit-def: $vgpr35
                                        ; implicit-def: $vgpr39
                                        ; implicit-def: $vgpr37
                                        ; implicit-def: $vgpr32
                                        ; implicit-def: $vgpr38
                                        ; implicit-def: $vgpr40
                                        ; implicit-def: $vgpr42
                                        ; implicit-def: $vgpr43
                                        ; implicit-def: $vgpr45
                                        ; implicit-def: $vgpr46
                                        ; implicit-def: $vgpr48
                                        ; implicit-def: $vgpr51
                                        ; implicit-def: $vgpr55
                                        ; implicit-def: $vgpr57
                                        ; implicit-def: $vgpr53
                                        ; implicit-def: $vgpr47
                                        ; implicit-def: $vgpr44
                                        ; implicit-def: $vgpr41
                                        ; implicit-def: $sgpr12
                                        ; implicit-def: $sgpr3
	s_and_b64 vcc, exec, s[10:11]
	v_cmp_ne_u32_e64 s[4:5], 0, v0
	s_cbranch_vccz .LBB46_128
.LBB46_125:
	v_mov_b32_e32 v15, 0
	v_lshlrev_b32_e32 v14, 2, v0
	v_lshl_add_u64 v[2:3], s[56:57], 0, v[14:15]
	v_add_co_u32_e32 v4, vcc, 0x1000, v2
	global_load_dword v8, v14, s[56:57]
	global_load_dword v9, v14, s[56:57] offset:1024
	global_load_dword v10, v14, s[56:57] offset:2048
	;; [unrolled: 1-line block ×3, first 2 shown]
	v_addc_co_u32_e32 v5, vcc, 0, v3, vcc
	v_add_co_u32_e32 v6, vcc, 0x2000, v2
	s_movk_i32 s7, 0x5c
	s_nop 0
	v_addc_co_u32_e32 v7, vcc, 0, v3, vcc
	global_load_dword v12, v[4:5], off
	global_load_dword v13, v[4:5], off offset:1024
	global_load_dword v16, v[4:5], off offset:2048
	;; [unrolled: 1-line block ×3, first 2 shown]
	global_load_dword v18, v[6:7], off
	global_load_dword v19, v[6:7], off offset:1024
	global_load_dword v20, v[6:7], off offset:2048
	;; [unrolled: 1-line block ×3, first 2 shown]
	v_add_co_u32_e32 v4, vcc, 0x3000, v2
	s_sub_u32 s6, 0, s2
	s_nop 0
	v_addc_co_u32_e32 v5, vcc, 0, v3, vcc
	v_add_co_u32_e32 v6, vcc, 0x4000, v2
	v_mad_u32_u24 v30, v0, s7, v14
	s_nop 0
	v_addc_co_u32_e32 v7, vcc, 0, v3, vcc
	v_add_co_u32_e32 v2, vcc, 0x5000, v2
	global_load_dword v22, v[4:5], off
	global_load_dword v23, v[4:5], off offset:1024
	global_load_dword v24, v[4:5], off offset:2048
	;; [unrolled: 1-line block ×3, first 2 shown]
	global_load_dword v26, v[6:7], off
	global_load_dword v27, v[6:7], off offset:1024
	global_load_dword v28, v[6:7], off offset:2048
	global_load_dword v29, v[6:7], off offset:3072
	v_addc_co_u32_e32 v3, vcc, 0, v3, vcc
	global_load_dword v4, v[2:3], off
	global_load_dword v5, v[2:3], off offset:1024
	global_load_dword v6, v[2:3], off offset:2048
	;; [unrolled: 1-line block ×3, first 2 shown]
	s_subb_u32 s7, 0, 0
	s_cmp_eq_u64 s[6:7], s[80:81]
	s_cselect_b32 s6, 0, -4
	s_cselect_b32 s7, 0, -1
	s_add_u32 s6, s56, s6
	s_addc_u32 s7, s57, s7
	s_movk_i32 s9, 0xffa4
	s_movk_i32 s8, 0x1000
	;; [unrolled: 1-line block ×3, first 2 shown]
	s_waitcnt lgkmcnt(0)
	v_mad_i32_i24 v1, v0, s9, v30
	s_waitcnt vmcnt(22)
	ds_write2st64_b32 v14, v8, v9 offset1:4
	s_waitcnt vmcnt(20)
	ds_write2st64_b32 v14, v10, v11 offset0:8 offset1:12
	s_waitcnt vmcnt(18)
	ds_write2st64_b32 v14, v12, v13 offset0:16 offset1:20
	;; [unrolled: 2-line block ×11, first 2 shown]
	s_waitcnt lgkmcnt(0)
	s_barrier
	s_load_dword s6, s[6:7], 0x0
	ds_read2_b32 v[16:17], v30 offset0:7 offset1:12
	ds_read_b64 v[26:27], v30 offset:88
	ds_read2_b64 v[6:9], v30 offset0:9 offset1:10
	ds_read_b32 v28, v30 offset:68
	ds_read2_b32 v[24:25], v30 offset0:15 offset1:16
	ds_read2_b32 v[22:23], v30 offset0:13 offset1:14
	ds_read_b128 v[2:5], v30 offset:32
	ds_read2_b32 v[20:21], v30 offset0:5 offset1:6
	ds_read_b96 v[10:12], v30
	ds_read2_b32 v[18:19], v30 offset0:3 offset1:4
	s_waitcnt lgkmcnt(0)
	ds_write_b32 v1, v27 offset:24576
	s_waitcnt lgkmcnt(0)
	v_mov_b32_e32 v13, s6
	s_barrier
	s_and_saveexec_b64 s[6:7], s[4:5]
	s_cbranch_execz .LBB46_127
; %bb.126:
	ds_read_b32 v13, v1 offset:24572
.LBB46_127:
	s_or_b64 exec, exec, s[6:7]
	v_cmp_ne_u32_e32 vcc, v7, v8
	v_cmp_ne_u32_e64 s[6:7], v26, v27
	s_waitcnt lgkmcnt(0)
	v_cndmask_b32_e64 v14, 0, 1, vcc
	v_cmp_ne_u32_e32 vcc, v6, v7
	v_lshlrev_b16_e32 v14, 8, v14
	s_barrier
	v_cndmask_b32_e64 v7, 0, 1, vcc
	v_or_b32_e32 v7, v7, v14
	v_lshlrev_b32_e32 v14, 1, v0
	v_lshl_add_u64 v[30:31], s[54:55], 0, v[14:15]
	v_add_co_u32_e32 v32, vcc, s8, v30
	s_nop 1
	v_addc_co_u32_e32 v33, vcc, 0, v31, vcc
	v_add_co_u32_e32 v30, vcc, s3, v30
	global_load_ushort v15, v14, s[54:55]
	s_nop 0
	v_addc_co_u32_e32 v31, vcc, 0, v31, vcc
	global_load_ushort v27, v14, s[54:55] offset:512
	global_load_ushort v29, v14, s[54:55] offset:1024
	;; [unrolled: 1-line block ×7, first 2 shown]
	global_load_ushort v43, v[30:31], off offset:-4096
	global_load_ushort v44, v[32:33], off offset:512
	global_load_ushort v45, v[32:33], off offset:1024
	;; [unrolled: 1-line block ×7, first 2 shown]
                                        ; kill: killed $vgpr32 killed $vgpr33
                                        ; kill: killed $sgpr54 killed $sgpr55
	s_nop 0
	global_load_ushort v32, v[30:31], off
	global_load_ushort v55, v[30:31], off offset:512
	global_load_ushort v56, v[30:31], off offset:1024
	;; [unrolled: 1-line block ×7, first 2 shown]
	v_cmp_ne_u32_e32 vcc, v9, v26
	v_sub_u32_e32 v1, v1, v14
	s_mov_b64 s[8:9], -1
	v_cndmask_b32_e64 v26, 0, 1, vcc
	v_cmp_ne_u32_e32 vcc, v8, v9
	v_lshlrev_b16_e32 v26, 8, v26
                                        ; implicit-def: $sgpr12
                                        ; implicit-def: $sgpr3
	s_waitcnt vmcnt(23)
	ds_write_b16 v1, v15
	s_waitcnt vmcnt(22)
	ds_write_b16 v1, v27 offset:512
	s_waitcnt vmcnt(21)
	ds_write_b16 v1, v29 offset:1024
	;; [unrolled: 2-line block ×23, first 2 shown]
	v_cndmask_b32_e64 v8, 0, 1, vcc
	v_cmp_ne_u32_e32 vcc, v28, v6
	v_or_b32_sdwa v8, v8, v26 dst_sel:WORD_1 dst_unused:UNUSED_PAD src0_sel:DWORD src1_sel:DWORD
	s_waitcnt lgkmcnt(0)
	v_cndmask_b32_e64 v36, 0, 1, vcc
	v_cmp_ne_u32_e32 vcc, v23, v24
	v_or_b32_sdwa v54, v7, v8 dst_sel:DWORD dst_unused:UNUSED_PAD src0_sel:WORD_0 src1_sel:DWORD
	s_barrier
	v_cndmask_b32_e64 v6, 0, 1, vcc
	v_cmp_ne_u32_e32 vcc, v22, v23
	v_lshlrev_b16_e32 v6, 8, v6
	s_nop 0
	v_cndmask_b32_e64 v7, 0, 1, vcc
	v_cmp_ne_u32_e32 vcc, v25, v28
	v_or_b32_e32 v6, v7, v6
                                        ; implicit-def: $vgpr32
                                        ; implicit-def: $vgpr38
                                        ; implicit-def: $vgpr40
                                        ; implicit-def: $vgpr42
                                        ; implicit-def: $vgpr43
                                        ; implicit-def: $vgpr45
                                        ; implicit-def: $vgpr46
                                        ; implicit-def: $vgpr48
                                        ; implicit-def: $vgpr51
                                        ; implicit-def: $vgpr55
                                        ; implicit-def: $vgpr57
                                        ; implicit-def: $vgpr53
                                        ; implicit-def: $vgpr47
                                        ; implicit-def: $vgpr44
                                        ; implicit-def: $vgpr41
	s_nop 0
	v_cndmask_b32_e64 v7, 0, 1, vcc
	v_cmp_ne_u32_e32 vcc, v24, v25
	v_lshlrev_b16_e32 v7, 8, v7
	s_nop 0
	v_cndmask_b32_e64 v8, 0, 1, vcc
	v_cmp_ne_u32_e32 vcc, v17, v22
	v_or_b32_sdwa v7, v8, v7 dst_sel:WORD_1 dst_unused:UNUSED_PAD src0_sel:DWORD src1_sel:DWORD
	s_nop 0
	v_cndmask_b32_e64 v39, 0, 1, vcc
	v_cmp_ne_u32_e32 vcc, v3, v4
	v_or_b32_sdwa v52, v6, v7 dst_sel:DWORD dst_unused:UNUSED_PAD src0_sel:WORD_0 src1_sel:DWORD
	s_nop 0
	v_cndmask_b32_e64 v6, 0, 1, vcc
	v_cmp_ne_u32_e32 vcc, v2, v3
	v_lshlrev_b16_e32 v6, 8, v6
	s_nop 0
	v_cndmask_b32_e64 v3, 0, 1, vcc
	v_cmp_ne_u32_e32 vcc, v5, v17
	v_or_b32_e32 v3, v3, v6
	s_nop 0
	v_cndmask_b32_e64 v6, 0, 1, vcc
	v_cmp_ne_u32_e32 vcc, v4, v5
	v_lshlrev_b16_e32 v6, 8, v6
	s_nop 0
	v_cndmask_b32_e64 v4, 0, 1, vcc
	v_cmp_ne_u32_e32 vcc, v16, v2
	v_or_b32_sdwa v4, v4, v6 dst_sel:WORD_1 dst_unused:UNUSED_PAD src0_sel:DWORD src1_sel:DWORD
	s_nop 0
	v_cndmask_b32_e64 v37, 0, 1, vcc
	v_cmp_ne_u32_e32 vcc, v19, v20
	v_or_b32_sdwa v50, v3, v4 dst_sel:DWORD dst_unused:UNUSED_PAD src0_sel:WORD_0 src1_sel:DWORD
	s_nop 0
	v_cndmask_b32_e64 v2, 0, 1, vcc
	v_cmp_ne_u32_e32 vcc, v18, v19
	v_lshlrev_b16_e32 v2, 8, v2
	s_nop 0
	v_cndmask_b32_e64 v3, 0, 1, vcc
	v_cmp_ne_u32_e32 vcc, v21, v16
	v_or_b32_e32 v2, v3, v2
	s_nop 0
	v_cndmask_b32_e64 v3, 0, 1, vcc
	v_cmp_ne_u32_e32 vcc, v20, v21
	v_lshlrev_b16_e32 v3, 8, v3
	s_nop 0
	v_cndmask_b32_e64 v4, 0, 1, vcc
	v_cmp_ne_u32_e32 vcc, v12, v18
	v_or_b32_sdwa v3, v4, v3 dst_sel:WORD_1 dst_unused:UNUSED_PAD src0_sel:DWORD src1_sel:DWORD
	s_nop 0
	v_cndmask_b32_e64 v35, 0, 1, vcc
	v_cmp_ne_u32_e32 vcc, v11, v12
	v_mad_u32_u24 v12, v0, 46, v1
	v_or_b32_sdwa v49, v2, v3 dst_sel:DWORD dst_unused:UNUSED_PAD src0_sel:WORD_0 src1_sel:DWORD
	ds_read_u16 v1, v12
	ds_read_b128 v[2:5], v12 offset:2
	ds_read_b128 v[6:9], v12 offset:18
	ds_read_b96 v[16:18], v12 offset:34
	ds_read_u16 v56, v12 offset:46
	v_cndmask_b32_e64 v33, 0, 1, vcc
	v_cmp_ne_u32_e32 vcc, v10, v11
	s_nop 1
	v_cndmask_b32_e64 v34, 0, 1, vcc
	v_cmp_ne_u32_e32 vcc, v13, v10
	s_nop 1
	v_cndmask_b32_e64 v19, 0, 1, vcc
.LBB46_128:
	v_mov_b32_e32 v25, s3
	v_mov_b32_e32 v12, s12
	s_and_saveexec_b64 s[4:5], s[8:9]
	s_cbranch_execz .LBB46_130
; %bb.129:
	v_cndmask_b32_e64 v25, 0, 1, s[6:7]
	s_waitcnt lgkmcnt(0)
	v_mov_b32_e32 v12, v56
	v_mov_b32_e32 v41, v54
	;; [unrolled: 1-line block ×16, first 2 shown]
.LBB46_130:
	s_or_b64 exec, exec, s[4:5]
	v_and_b32_e32 v52, 1, v34
	v_and_b32_e32 v30, 1, v39
	;; [unrolled: 1-line block ×4, first 2 shown]
	s_cmp_lg_u32 s2, 0
	v_cmp_eq_u32_e32 vcc, 1, v52
	v_lshrrev_b32_e32 v24, 16, v57
	v_lshrrev_b32_e32 v23, 16, v55
	;; [unrolled: 1-line block ×7, first 2 shown]
	s_waitcnt lgkmcnt(1)
	v_lshrrev_b32_e32 v18, 16, v45
	v_cmp_eq_u32_e64 s[52:53], 1, v30
	v_lshrrev_b32_e32 v17, 16, v43
	v_lshrrev_b32_e32 v31, 8, v44
	;; [unrolled: 1-line block ×4, first 2 shown]
	v_cmp_eq_u32_e64 s[54:55], 1, v28
	v_lshrrev_b32_e32 v29, 8, v41
	v_lshrrev_b32_e32 v14, 16, v38
	;; [unrolled: 1-line block ×3, first 2 shown]
	v_cmp_eq_u32_e64 s[48:49], 1, v27
	v_mbcnt_lo_u32_b32 v26, -1, 0
	s_waitcnt lgkmcnt(0)
	s_barrier
	s_cbranch_scc0 .LBB46_221
; %bb.131:
	v_mov_b32_e32 v2, 0
	v_and_b32_e32 v4, 1, v33
	v_add_f16_e32 v3, v57, v1
	v_cmp_eq_u16_sdwa s[8:9], v34, v2 src0_sel:BYTE_0 src1_sel:DWORD
	v_cmp_eq_u32_e64 s[56:57], 1, v4
	v_and_b32_e32 v4, 1, v35
	v_cndmask_b32_e64 v3, v57, v3, s[8:9]
	v_cmp_eq_u32_e64 s[58:59], 1, v4
	v_and_b32_e32 v4, 1, v53
	s_movk_i32 s3, 0xff
	v_add_f16_e32 v3, v3, v24
	v_cmp_eq_u16_sdwa s[10:11], v33, v2 src0_sel:BYTE_0 src1_sel:DWORD
	v_cmp_eq_u32_e64 s[60:61], 1, v4
	v_and_b32_e32 v4, 0x100, v53
	v_cndmask_b32_e64 v3, v24, v3, s[10:11]
	v_cmp_ne_u32_e64 s[62:63], 0, v4
	v_and_b32_sdwa v4, v53, s3 dst_sel:DWORD dst_unused:UNUSED_PAD src0_sel:WORD_1 src1_sel:DWORD
	v_add_f16_e32 v3, v3, v55
	v_cmp_eq_u16_sdwa s[98:99], v35, v2 src0_sel:BYTE_0 src1_sel:DWORD
	v_cmp_eq_u16_e64 s[14:15], 0, v4
	v_and_b32_e32 v4, 0x10000, v53
	v_cndmask_b32_e64 v3, v55, v3, s[98:99]
	v_cmp_ne_u32_e64 s[64:65], 0, v4
	v_and_b32_e32 v4, 0x1000000, v53
	v_add_f16_e32 v3, v3, v23
	v_cmp_eq_u16_sdwa s[96:97], v53, v2 src0_sel:BYTE_0 src1_sel:DWORD
	v_cmp_ne_u32_e64 s[66:67], 0, v4
	v_and_b32_e32 v4, 1, v37
	v_cndmask_b32_e64 v3, v23, v3, s[96:97]
	v_cmp_eq_u32_e64 s[68:69], 1, v4
	v_and_b32_e32 v4, 1, v47
	v_add_f16_e32 v3, v3, v51
	v_cmp_eq_u16_sdwa s[12:13], v50, v2 src0_sel:BYTE_0 src1_sel:DWORD
	v_cmp_eq_u32_e64 s[70:71], 1, v4
	v_and_b32_e32 v4, 0x100, v47
	v_cndmask_b32_e64 v3, v51, v3, s[12:13]
	v_cmp_ne_u32_e64 s[74:75], 0, v4
	v_and_b32_sdwa v4, v47, s3 dst_sel:DWORD dst_unused:UNUSED_PAD src0_sel:WORD_1 src1_sel:DWORD
	s_mov_b64 s[4:5], s[76:77]
	v_add_f16_e32 v3, v3, v22
	v_cmp_eq_u16_e64 s[24:25], 0, v4
	v_and_b32_e32 v4, 0x10000, v47
	s_mov_b32 s6, s78
	v_cndmask_b32_e64 v3, v22, v3, s[14:15]
	v_cmp_ne_u32_e64 s[76:77], 0, v4
	v_and_b32_e32 v4, 0x1000000, v47
	v_add_f16_e32 v3, v3, v48
	v_cmp_eq_u16_sdwa s[16:17], v53, v2 src0_sel:BYTE_3 src1_sel:DWORD
	v_cmp_ne_u32_e64 s[78:79], 0, v4
	v_and_b32_e32 v4, 1, v44
	v_cndmask_b32_e64 v3, v48, v3, s[16:17]
	v_cmp_eq_u32_e64 s[80:81], 1, v4
	v_and_b32_e32 v4, 0x100, v44
	v_add_f16_e32 v3, v3, v21
	v_cmp_eq_u16_sdwa s[18:19], v37, v2 src0_sel:BYTE_0 src1_sel:DWORD
	v_cmp_ne_u32_e64 s[82:83], 0, v4
	v_and_b32_sdwa v4, v44, s3 dst_sel:DWORD dst_unused:UNUSED_PAD src0_sel:WORD_1 src1_sel:DWORD
	v_cndmask_b32_e64 v3, v21, v3, s[18:19]
	v_cmp_eq_u16_e64 s[36:37], 0, v4
	v_and_b32_e32 v4, 0x10000, v44
	v_add_f16_e32 v3, v3, v46
	v_cmp_eq_u16_sdwa s[20:21], v47, v2 src0_sel:BYTE_0 src1_sel:DWORD
	v_cmp_ne_u32_e64 s[84:85], 0, v4
	v_and_b32_e32 v4, 0x1000000, v44
	v_cndmask_b32_e64 v3, v46, v3, s[20:21]
	v_cmp_ne_u32_e64 s[86:87], 0, v4
	v_and_b32_e32 v4, 1, v41
	v_add_f16_e32 v3, v3, v20
	v_cmp_eq_u16_sdwa s[22:23], v49, v2 src0_sel:BYTE_0 src1_sel:DWORD
	v_cmp_eq_u32_e64 s[88:89], 1, v4
	v_and_b32_e32 v4, 0x100, v41
	v_cndmask_b32_e64 v3, v20, v3, s[22:23]
	v_cmp_ne_u32_e64 s[90:91], 0, v4
	v_and_b32_sdwa v4, v41, s3 dst_sel:DWORD dst_unused:UNUSED_PAD src0_sel:WORD_1 src1_sel:DWORD
	v_add_f16_e32 v3, v3, v45
	v_cmp_eq_u16_e64 s[46:47], 0, v4
	v_and_b32_e32 v4, 0x10000, v41
	v_cndmask_b32_e64 v3, v45, v3, s[24:25]
	v_cmp_ne_u32_e64 s[50:51], 0, v4
	v_and_b32_e32 v4, 0x1000000, v41
	v_add_f16_e32 v3, v3, v18
	v_cmp_eq_u16_sdwa s[26:27], v47, v2 src0_sel:BYTE_3 src1_sel:DWORD
	v_cmp_ne_u32_e64 s[92:93], 0, v4
	s_or_b64 s[92:93], s[48:49], s[92:93]
	v_cndmask_b32_e64 v3, v18, v3, s[26:27]
	v_add_f16_e32 v3, v3, v43
	v_cmp_eq_u16_sdwa s[28:29], v39, v2 src0_sel:BYTE_0 src1_sel:DWORD
	s_or_b64 s[92:93], s[92:93], s[50:51]
	s_or_b64 s[90:91], s[92:93], s[90:91]
	v_cndmask_b32_e64 v3, v43, v3, s[28:29]
	v_add_f16_e32 v3, v3, v17
	v_cmp_eq_u16_sdwa s[30:31], v44, v2 src0_sel:BYTE_0 src1_sel:DWORD
	s_or_b64 s[88:89], s[90:91], s[88:89]
	;; [unrolled: 5-line block ×3, first 2 shown]
	s_or_b64 s[54:55], s[54:55], s[84:85]
	v_cndmask_b32_e64 v3, v42, v3, s[34:35]
	v_add_f16_e32 v3, v3, v16
	s_or_b64 s[54:55], s[54:55], s[82:83]
	v_cndmask_b32_e64 v3, v16, v3, s[36:37]
	s_or_b64 s[54:55], s[54:55], s[80:81]
	v_add_f16_e32 v3, v3, v40
	v_cmp_eq_u16_sdwa s[38:39], v44, v2 src0_sel:BYTE_3 src1_sel:DWORD
	s_or_b64 s[52:53], s[54:55], s[52:53]
	s_or_b64 s[52:53], s[52:53], s[78:79]
	v_cndmask_b32_e64 v3, v40, v3, s[38:39]
	v_add_f16_e32 v3, v3, v15
	v_cmp_eq_u16_sdwa s[40:41], v36, v2 src0_sel:BYTE_0 src1_sel:DWORD
	s_or_b64 s[52:53], s[52:53], s[76:77]
	s_or_b64 s[52:53], s[52:53], s[74:75]
	v_cndmask_b32_e64 v3, v15, v3, s[40:41]
	v_add_f16_e32 v3, v3, v38
	v_cmp_eq_u16_sdwa s[42:43], v41, v2 src0_sel:BYTE_0 src1_sel:DWORD
	;; [unrolled: 5-line block ×3, first 2 shown]
	s_or_b64 s[52:53], s[52:53], s[66:67]
	s_or_b64 s[52:53], s[52:53], s[64:65]
	v_cndmask_b32_e64 v3, v14, v3, s[44:45]
	v_add_f16_e32 v3, v3, v32
	s_or_b64 s[52:53], s[52:53], s[62:63]
	v_cndmask_b32_e64 v3, v32, v3, s[46:47]
	s_or_b64 s[52:53], s[52:53], s[60:61]
	v_add_f16_e32 v3, v3, v13
	v_cmp_eq_u16_sdwa s[48:49], v41, v2 src0_sel:BYTE_3 src1_sel:DWORD
	s_or_b64 s[52:53], s[52:53], s[58:59]
	s_or_b64 s[52:53], s[52:53], s[56:57]
	v_cndmask_b32_e64 v3, v13, v3, s[48:49]
	v_add_f16_e32 v3, v3, v12
	v_cmp_eq_u16_sdwa s[50:51], v25, v2 src0_sel:BYTE_0 src1_sel:DWORD
	s_or_b64 s[52:53], s[52:53], vcc
	v_mbcnt_hi_u32_b32 v5, -1, v26
	v_cndmask_b32_e64 v2, v12, v3, s[50:51]
	v_cndmask_b32_e64 v3, v19, 1, s[52:53]
	v_and_b32_e32 v8, 0xff, v3
	v_and_b32_e32 v4, 0xffff, v2
	;; [unrolled: 1-line block ×3, first 2 shown]
	v_lshl_or_b32 v4, v8, 16, v4
	v_cmp_ne_u32_e32 vcc, 0, v7
	s_nop 0
	v_mov_b32_dpp v6, v4 row_shr:1 row_mask:0xf bank_mask:0xf
	s_and_saveexec_b64 s[52:53], vcc
; %bb.132:
	v_add_f16_e32 v4, v2, v6
	v_cmp_eq_u16_e32 vcc, 0, v8
	v_and_b32_e32 v3, 1, v3
	s_nop 0
	v_cndmask_b32_e32 v2, v2, v4, vcc
	v_mov_b32_e32 v4, 1
	v_and_b32_sdwa v4, v6, v4 dst_sel:DWORD dst_unused:UNUSED_PAD src0_sel:WORD_1 src1_sel:DWORD
	v_cmp_eq_u32_e32 vcc, 1, v3
	s_nop 1
	v_cndmask_b32_e64 v3, v4, 1, vcc
	v_lshlrev_b32_e32 v4, 16, v3
	v_or_b32_sdwa v4, v4, v2 dst_sel:DWORD dst_unused:UNUSED_PAD src0_sel:DWORD src1_sel:WORD_0
; %bb.133:
	s_or_b64 exec, exec, s[52:53]
	v_lshrrev_b32_e32 v6, 16, v4
	v_mov_b32_dpp v8, v4 row_shr:2 row_mask:0xf bank_mask:0xf
	v_cmp_lt_u32_e32 vcc, 1, v7
	s_and_saveexec_b64 s[52:53], vcc
	s_cbranch_execz .LBB46_135
; %bb.134:
	s_mov_b32 s3, 0x10000
	v_add_f16_e32 v3, v2, v8
	v_cmp_gt_u32_e32 vcc, s3, v4
	s_nop 1
	v_cndmask_b32_e32 v2, v2, v3, vcc
	v_and_b32_e32 v3, 0x10000, v4
	v_mov_b32_e32 v4, 1
	v_and_b32_sdwa v4, v8, v4 dst_sel:DWORD dst_unused:UNUSED_PAD src0_sel:WORD_1 src1_sel:DWORD
	v_cmp_ne_u32_e32 vcc, 0, v3
	s_nop 1
	v_cndmask_b32_e64 v3, v4, 1, vcc
	v_lshlrev_b32_e32 v4, 16, v3
	v_or_b32_sdwa v4, v4, v2 dst_sel:DWORD dst_unused:UNUSED_PAD src0_sel:DWORD src1_sel:WORD_0
	v_mov_b32_e32 v6, v3
.LBB46_135:
	s_or_b64 exec, exec, s[52:53]
	v_mov_b32_dpp v8, v4 row_shr:4 row_mask:0xf bank_mask:0xf
	v_cmp_lt_u32_e32 vcc, 3, v7
	s_and_saveexec_b64 s[52:53], vcc
	s_load_dwordx2 s[62:63], s[0:1], 0x48
	s_mov_b32 s78, s6
	s_mov_b64 s[76:77], s[4:5]
; %bb.136:
	v_add_f16_e32 v3, v2, v8
	v_cmp_eq_u16_e32 vcc, 0, v6
	v_mov_b32_e32 v4, 1
	v_and_b32_sdwa v4, v8, v4 dst_sel:DWORD dst_unused:UNUSED_PAD src0_sel:WORD_1 src1_sel:DWORD
	v_cndmask_b32_e32 v2, v2, v3, vcc
	v_and_b32_e32 v3, 1, v6
	v_cmp_eq_u32_e32 vcc, 1, v3
	s_nop 1
	v_cndmask_b32_e64 v3, v4, 1, vcc
	v_lshlrev_b32_e32 v4, 16, v3
	v_or_b32_sdwa v4, v4, v2 dst_sel:DWORD dst_unused:UNUSED_PAD src0_sel:DWORD src1_sel:WORD_0
	v_mov_b32_e32 v6, v3
; %bb.137:
	s_or_b64 exec, exec, s[52:53]
	v_mov_b32_dpp v8, v4 row_shr:8 row_mask:0xf bank_mask:0xf
	v_cmp_lt_u32_e32 vcc, 7, v7
	s_and_saveexec_b64 s[52:53], vcc
; %bb.138:
	v_add_f16_e32 v3, v2, v8
	v_cmp_eq_u16_e32 vcc, 0, v6
	v_mov_b32_e32 v4, 1
	v_and_b32_sdwa v4, v8, v4 dst_sel:DWORD dst_unused:UNUSED_PAD src0_sel:WORD_1 src1_sel:DWORD
	v_cndmask_b32_e32 v2, v2, v3, vcc
	v_and_b32_e32 v3, 1, v6
	v_cmp_eq_u32_e32 vcc, 1, v3
	s_nop 1
	v_cndmask_b32_e64 v3, v4, 1, vcc
	v_lshlrev_b32_e32 v4, 16, v3
	v_or_b32_sdwa v4, v4, v2 dst_sel:DWORD dst_unused:UNUSED_PAD src0_sel:DWORD src1_sel:WORD_0
	v_mov_b32_e32 v6, v3
; %bb.139:
	s_or_b64 exec, exec, s[52:53]
	v_and_b32_e32 v8, 16, v5
	v_mov_b32_dpp v7, v4 row_bcast:15 row_mask:0xf bank_mask:0xf
	v_cmp_ne_u32_e32 vcc, 0, v8
	s_and_saveexec_b64 s[52:53], vcc
; %bb.140:
	v_add_f16_e32 v3, v2, v7
	v_cmp_eq_u16_e32 vcc, 0, v6
	v_mov_b32_e32 v4, 1
	v_and_b32_sdwa v4, v7, v4 dst_sel:DWORD dst_unused:UNUSED_PAD src0_sel:WORD_1 src1_sel:DWORD
	v_cndmask_b32_e32 v2, v2, v3, vcc
	v_and_b32_e32 v3, 1, v6
	v_cmp_eq_u32_e32 vcc, 1, v3
	s_nop 1
	v_cndmask_b32_e64 v3, v4, 1, vcc
	v_lshlrev_b32_e32 v4, 16, v3
	v_or_b32_sdwa v4, v4, v2 dst_sel:DWORD dst_unused:UNUSED_PAD src0_sel:DWORD src1_sel:WORD_0
	v_mov_b32_e32 v6, v3
; %bb.141:
	s_or_b64 exec, exec, s[52:53]
	v_mov_b32_dpp v4, v4 row_bcast:31 row_mask:0xf bank_mask:0xf
	v_cmp_lt_u32_e32 vcc, 31, v5
	s_and_saveexec_b64 s[52:53], vcc
; %bb.142:
	v_and_b32_e32 v3, 1, v6
	v_mov_b32_e32 v8, 1
	v_add_f16_e32 v7, v2, v4
	v_and_b32_sdwa v4, v4, v8 dst_sel:DWORD dst_unused:UNUSED_PAD src0_sel:WORD_1 src1_sel:DWORD
	v_cmp_eq_u32_e32 vcc, 1, v3
	s_nop 1
	v_cndmask_b32_e64 v3, v4, 1, vcc
	v_cmp_eq_u16_e32 vcc, 0, v6
	s_nop 1
	v_cndmask_b32_e32 v2, v2, v7, vcc
; %bb.143:
	s_or_b64 exec, exec, s[52:53]
	v_or_b32_e32 v6, 63, v0
	v_lshrrev_b32_e32 v4, 6, v0
	v_cmp_eq_u32_e32 vcc, v6, v0
	s_and_saveexec_b64 s[52:53], vcc
	s_cbranch_execz .LBB46_145
; %bb.144:
	v_lshlrev_b32_e32 v6, 2, v4
	ds_write_b16 v6, v2
	ds_write_b8 v6, v3 offset:2
.LBB46_145:
	s_or_b64 exec, exec, s[52:53]
	v_cmp_gt_u32_e32 vcc, 4, v0
	s_waitcnt lgkmcnt(0)
	s_barrier
	s_and_saveexec_b64 s[52:53], vcc
	s_cbranch_execz .LBB46_151
; %bb.146:
	v_lshlrev_b32_e32 v6, 2, v0
	ds_read_b32 v8, v6
	v_and_b32_e32 v10, 3, v5
	v_cmp_ne_u32_e32 vcc, 0, v10
	s_waitcnt lgkmcnt(0)
	v_lshrrev_b32_e32 v9, 16, v8
	v_mov_b32_dpp v11, v8 row_shr:1 row_mask:0xf bank_mask:0xf
	v_mov_b32_e32 v7, v8
	s_and_saveexec_b64 s[54:55], vcc
	s_cbranch_execz .LBB46_148
; %bb.147:
	v_mov_b32_e32 v7, 0
	v_add_f16_e32 v56, v8, v11
	v_cmp_eq_u16_sdwa vcc, v9, v7 src0_sel:BYTE_0 src1_sel:DWORD
	v_and_b32_e32 v54, 0xff000000, v8
	v_mov_b32_e32 v9, 1
	v_cndmask_b32_e32 v7, v8, v56, vcc
	v_and_b32_e32 v8, 0x10000, v8
	v_and_b32_sdwa v9, v11, v9 dst_sel:DWORD dst_unused:UNUSED_PAD src0_sel:WORD_1 src1_sel:DWORD
	v_cmp_ne_u32_e32 vcc, 0, v8
	v_and_b32_e32 v11, 0xffff, v7
	s_nop 0
	v_cndmask_b32_e64 v9, v9, 1, vcc
	v_lshlrev_b32_e32 v8, 16, v9
	v_or3_b32 v8, v8, v54, v11
.LBB46_148:
	s_or_b64 exec, exec, s[54:55]
	s_nop 0
	v_mov_b32_dpp v11, v8 row_shr:2 row_mask:0xf bank_mask:0xf
	v_cmp_lt_u32_e32 vcc, 1, v10
	s_and_saveexec_b64 s[54:55], vcc
; %bb.149:
	v_and_b32_e32 v9, 0xff0000, v8
	v_add_f16_e32 v10, v7, v11
	v_cmp_eq_u32_e32 vcc, 0, v9
	v_and_b32_e32 v8, 0x10000, v8
	v_mov_b32_e32 v9, 1
	v_cndmask_b32_e32 v7, v7, v10, vcc
	v_and_b32_sdwa v9, v11, v9 dst_sel:DWORD dst_unused:UNUSED_PAD src0_sel:WORD_1 src1_sel:DWORD
	v_cmp_eq_u32_e32 vcc, 0, v8
	s_nop 1
	v_cndmask_b32_e32 v9, 1, v9, vcc
; %bb.150:
	s_or_b64 exec, exec, s[54:55]
	ds_write_b16 v6, v7
	ds_write_b8 v6, v9 offset:2
.LBB46_151:
	s_or_b64 exec, exec, s[52:53]
	v_cmp_gt_u32_e32 vcc, 64, v0
	v_cmp_lt_u32_e64 s[52:53], 63, v0
	v_mov_b32_e32 v54, 0
	v_mov_b32_e32 v56, 0
	s_waitcnt lgkmcnt(0)
	s_barrier
	s_and_saveexec_b64 s[54:55], s[52:53]
	s_cbranch_execz .LBB46_153
; %bb.152:
	v_lshl_add_u32 v4, v4, 2, -4
	ds_read_u16 v54, v4
	ds_read_u8 v56, v4 offset:2
	v_mov_b32_e32 v6, 0
	v_and_b32_e32 v7, 1, v3
	v_cmp_eq_u16_sdwa s[52:53], v3, v6 src0_sel:BYTE_0 src1_sel:DWORD
	s_waitcnt lgkmcnt(1)
	v_add_f16_e32 v4, v2, v54
	v_cndmask_b32_e64 v2, v2, v4, s[52:53]
	v_cmp_eq_u32_e64 s[52:53], 1, v7
	s_waitcnt lgkmcnt(0)
	s_nop 0
	v_cndmask_b32_e64 v3, v56, 1, s[52:53]
.LBB46_153:
	s_or_b64 exec, exec, s[54:55]
	v_and_b32_e32 v3, 0xff, v3
	v_and_b32_e32 v2, 0xffff, v2
	v_lshl_or_b32 v2, v3, 16, v2
	v_add_u32_e32 v3, -1, v5
	v_and_b32_e32 v4, 64, v5
	v_cmp_lt_i32_e64 s[52:53], v3, v4
	s_nop 1
	v_cndmask_b32_e64 v3, v3, v5, s[52:53]
	v_lshlrev_b32_e32 v3, 2, v3
	ds_bpermute_b32 v58, v3, v2
	v_cmp_eq_u32_e64 s[52:53], 0, v5
	s_and_saveexec_b64 s[54:55], vcc
	s_cbranch_execz .LBB46_196
; %bb.154:
	v_mov_b32_e32 v9, 0
	ds_read_b32 v2, v9 offset:12
	s_and_saveexec_b64 s[56:57], s[52:53]
	s_cbranch_execz .LBB46_156
; %bb.155:
	s_add_i32 s58, s2, 64
	s_mov_b32 s59, 0
	s_lshl_b64 s[58:59], s[58:59], 3
	s_add_u32 s58, s76, s58
	s_addc_u32 s59, s77, s59
	v_mov_b32_e32 v3, 1
	s_waitcnt lgkmcnt(0)
	global_store_dwordx2 v9, v[2:3], s[58:59] sc1
.LBB46_156:
	s_or_b64 exec, exec, s[56:57]
	v_xad_u32 v4, v5, -1, s2
	v_add_u32_e32 v8, 64, v4
	v_lshl_add_u64 v[10:11], v[8:9], 3, s[76:77]
	global_load_dwordx2 v[6:7], v[10:11], off sc1
	s_waitcnt vmcnt(0)
	v_cmp_eq_u16_sdwa s[58:59], v7, v9 src0_sel:BYTE_0 src1_sel:DWORD
	s_and_saveexec_b64 s[56:57], s[58:59]
	s_cbranch_execz .LBB46_160
; %bb.157:
	s_mov_b64 s[58:59], 0
	v_mov_b32_e32 v3, 0
.LBB46_158:                             ; =>This Inner Loop Header: Depth=1
	global_load_dwordx2 v[6:7], v[10:11], off sc1
	s_waitcnt vmcnt(0)
	v_cmp_ne_u16_sdwa s[60:61], v7, v3 src0_sel:BYTE_0 src1_sel:DWORD
	s_or_b64 s[58:59], s[60:61], s[58:59]
	s_andn2_b64 exec, exec, s[58:59]
	s_cbranch_execnz .LBB46_158
; %bb.159:
	s_or_b64 exec, exec, s[58:59]
.LBB46_160:
	s_or_b64 exec, exec, s[56:57]
	v_mov_b32_e32 v3, 2
	v_cmp_eq_u16_sdwa s[56:57], v7, v3 src0_sel:BYTE_0 src1_sel:DWORD
	v_lshlrev_b64 v[8:9], v5, -1
	v_and_b32_e32 v11, 63, v5
	v_and_b32_e32 v3, s57, v9
	v_or_b32_e32 v3, 0x80000000, v3
	v_and_b32_e32 v10, s56, v8
	v_ffbl_b32_e32 v3, v3
	v_add_u32_e32 v3, 32, v3
	v_ffbl_b32_e32 v10, v10
	v_cmp_ne_u32_e32 vcc, 63, v11
	v_min_u32_e32 v10, v10, v3
	v_and_b32_e32 v69, 0xffffff, v6
	v_addc_co_u32_e32 v3, vcc, 0, v5, vcc
	v_lshlrev_b32_e32 v3, 2, v3
	ds_bpermute_b32 v60, v3, v69
	v_add_u32_e32 v59, 1, v5
	v_lshrrev_b32_e32 v74, 16, v6
	v_cmp_le_u32_e32 vcc, v59, v10
	v_bfe_u32 v68, v6, 16, 8
	s_and_saveexec_b64 s[56:57], vcc
	s_cbranch_execz .LBB46_162
; %bb.161:
	v_and_b32_e32 v61, 0xff0000, v6
	s_waitcnt lgkmcnt(0)
	v_add_f16_e32 v62, v6, v60
	v_cmp_eq_u32_e32 vcc, 0, v61
	v_and_b32_e32 v61, 0x10000, v61
	s_nop 0
	v_cndmask_b32_e32 v6, v6, v62, vcc
	v_mov_b32_e32 v62, 1
	v_and_b32_sdwa v60, v60, v62 dst_sel:DWORD dst_unused:UNUSED_PAD src0_sel:WORD_1 src1_sel:DWORD
	v_cmp_ne_u32_e32 vcc, 0, v61
	s_nop 1
	v_cndmask_b32_e64 v74, v60, 1, vcc
	v_lshlrev_b32_e32 v60, 16, v74
	v_or_b32_sdwa v69, v60, v6 dst_sel:DWORD dst_unused:UNUSED_PAD src0_sel:DWORD src1_sel:WORD_0
	v_mov_b32_e32 v68, v74
.LBB46_162:
	s_or_b64 exec, exec, s[56:57]
	v_cmp_gt_u32_e32 vcc, 62, v11
	v_add_u32_e32 v61, 2, v5
	s_waitcnt lgkmcnt(0)
	v_cndmask_b32_e64 v60, 0, 1, vcc
	v_lshlrev_b32_e32 v60, 1, v60
	v_add_lshl_u32 v60, v60, v5, 2
	ds_bpermute_b32 v62, v60, v69
	v_cmp_le_u32_e32 vcc, v61, v10
	s_and_saveexec_b64 s[56:57], vcc
	s_cbranch_execz .LBB46_164
; %bb.163:
	s_waitcnt lgkmcnt(0)
	v_add_f16_e32 v63, v6, v62
	v_cmp_eq_u16_e32 vcc, 0, v68
	v_mov_b32_e32 v64, 1
	v_and_b32_sdwa v62, v62, v64 dst_sel:DWORD dst_unused:UNUSED_PAD src0_sel:WORD_1 src1_sel:DWORD
	v_cndmask_b32_e32 v6, v6, v63, vcc
	v_and_b32_e32 v63, 1, v68
	v_cmp_eq_u32_e32 vcc, 1, v63
	s_nop 1
	v_cndmask_b32_e64 v74, v62, 1, vcc
	v_lshlrev_b32_e32 v62, 16, v74
	v_or_b32_sdwa v69, v62, v6 dst_sel:DWORD dst_unused:UNUSED_PAD src0_sel:DWORD src1_sel:WORD_0
	v_mov_b32_e32 v68, v74
.LBB46_164:
	s_or_b64 exec, exec, s[56:57]
	v_cmp_gt_u32_e32 vcc, 60, v11
	v_add_u32_e32 v63, 4, v5
	s_waitcnt lgkmcnt(0)
	v_cndmask_b32_e64 v62, 0, 1, vcc
	v_lshlrev_b32_e32 v62, 2, v62
	v_add_lshl_u32 v62, v62, v5, 2
	ds_bpermute_b32 v64, v62, v69
	v_cmp_le_u32_e32 vcc, v63, v10
	s_and_saveexec_b64 s[56:57], vcc
	s_cbranch_execz .LBB46_166
; %bb.165:
	s_waitcnt lgkmcnt(0)
	v_add_f16_e32 v65, v6, v64
	v_cmp_eq_u16_e32 vcc, 0, v68
	v_mov_b32_e32 v66, 1
	v_and_b32_sdwa v64, v64, v66 dst_sel:DWORD dst_unused:UNUSED_PAD src0_sel:WORD_1 src1_sel:DWORD
	v_cndmask_b32_e32 v6, v6, v65, vcc
	v_and_b32_e32 v65, 1, v68
	v_cmp_eq_u32_e32 vcc, 1, v65
	s_nop 1
	v_cndmask_b32_e64 v74, v64, 1, vcc
	v_lshlrev_b32_e32 v64, 16, v74
	v_or_b32_sdwa v69, v64, v6 dst_sel:DWORD dst_unused:UNUSED_PAD src0_sel:DWORD src1_sel:WORD_0
	v_mov_b32_e32 v68, v74
.LBB46_166:
	s_or_b64 exec, exec, s[56:57]
	v_cmp_gt_u32_e32 vcc, 56, v11
	v_add_u32_e32 v65, 8, v5
	s_waitcnt lgkmcnt(0)
	v_cndmask_b32_e64 v64, 0, 1, vcc
	v_lshlrev_b32_e32 v64, 3, v64
	v_add_lshl_u32 v64, v64, v5, 2
	ds_bpermute_b32 v66, v64, v69
	v_cmp_le_u32_e32 vcc, v65, v10
	s_and_saveexec_b64 s[56:57], vcc
	s_cbranch_execz .LBB46_168
; %bb.167:
	s_waitcnt lgkmcnt(0)
	v_add_f16_e32 v67, v6, v66
	v_cmp_eq_u16_e32 vcc, 0, v68
	s_nop 1
	v_cndmask_b32_e32 v6, v6, v67, vcc
	v_and_b32_e32 v67, 1, v68
	v_mov_b32_e32 v68, 1
	v_and_b32_sdwa v66, v66, v68 dst_sel:DWORD dst_unused:UNUSED_PAD src0_sel:WORD_1 src1_sel:DWORD
	v_cmp_eq_u32_e32 vcc, 1, v67
	s_nop 1
	v_cndmask_b32_e64 v74, v66, 1, vcc
	v_lshlrev_b32_e32 v66, 16, v74
	v_or_b32_sdwa v69, v66, v6 dst_sel:DWORD dst_unused:UNUSED_PAD src0_sel:DWORD src1_sel:WORD_0
	v_mov_b32_e32 v68, v74
.LBB46_168:
	s_or_b64 exec, exec, s[56:57]
	v_cmp_gt_u32_e32 vcc, 48, v11
	v_add_u32_e32 v67, 16, v5
	s_waitcnt lgkmcnt(0)
	v_cndmask_b32_e64 v66, 0, 1, vcc
	v_lshlrev_b32_e32 v66, 4, v66
	v_add_lshl_u32 v66, v66, v5, 2
	ds_bpermute_b32 v70, v66, v69
	v_cmp_le_u32_e32 vcc, v67, v10
	s_and_saveexec_b64 s[56:57], vcc
	s_cbranch_execz .LBB46_170
; %bb.169:
	s_waitcnt lgkmcnt(0)
	v_add_f16_e32 v69, v6, v70
	v_cmp_eq_u16_e32 vcc, 0, v68
	v_and_b32_e32 v68, 1, v68
	s_nop 0
	v_cndmask_b32_e32 v6, v6, v69, vcc
	v_mov_b32_e32 v69, 1
	v_and_b32_sdwa v69, v70, v69 dst_sel:DWORD dst_unused:UNUSED_PAD src0_sel:WORD_1 src1_sel:DWORD
	v_cmp_eq_u32_e32 vcc, 1, v68
	s_nop 1
	v_cndmask_b32_e64 v74, v69, 1, vcc
	v_lshlrev_b32_e32 v68, 16, v74
	v_or_b32_sdwa v69, v68, v6 dst_sel:DWORD dst_unused:UNUSED_PAD src0_sel:DWORD src1_sel:WORD_0
	v_mov_b32_e32 v68, v74
.LBB46_170:
	s_or_b64 exec, exec, s[56:57]
	v_cmp_gt_u32_e32 vcc, 32, v11
	v_add_u32_e32 v71, 32, v5
	s_nop 0
	v_cndmask_b32_e64 v11, 0, 1, vcc
	v_lshlrev_b32_e32 v11, 5, v11
	s_waitcnt lgkmcnt(0)
	v_add_lshl_u32 v70, v11, v5, 2
	ds_bpermute_b32 v11, v70, v69
	v_cmp_le_u32_e32 vcc, v71, v10
	s_and_saveexec_b64 s[56:57], vcc
	s_cbranch_execz .LBB46_172
; %bb.171:
	s_waitcnt lgkmcnt(0)
	v_add_f16_e32 v5, v6, v11
	v_cmp_eq_u16_e32 vcc, 0, v68
	v_mov_b32_e32 v10, 1
	v_and_b32_sdwa v10, v11, v10 dst_sel:DWORD dst_unused:UNUSED_PAD src0_sel:WORD_1 src1_sel:DWORD
	v_cndmask_b32_e32 v6, v6, v5, vcc
	v_and_b32_e32 v5, 1, v68
	v_cmp_eq_u32_e32 vcc, 1, v5
	s_nop 1
	v_cndmask_b32_e64 v74, v10, 1, vcc
.LBB46_172:
	s_or_b64 exec, exec, s[56:57]
	v_mov_b32_e32 v5, 0
	v_mov_b32_e32 v72, 2
	;; [unrolled: 1-line block ×3, first 2 shown]
	s_branch .LBB46_174
.LBB46_173:                             ;   in Loop: Header=BB46_174 Depth=1
                                        ; implicit-def: $vgpr74
                                        ; implicit-def: $vgpr6
	s_cbranch_execnz .LBB46_192
.LBB46_174:                             ; =>This Loop Header: Depth=1
                                        ;     Child Loop BB46_177 Depth 2
	v_cmp_ne_u16_sdwa s[56:57], v7, v72 src0_sel:BYTE_0 src1_sel:DWORD
	v_mov_b32_e32 v68, v74
	v_mov_b32_e32 v69, v6
	v_cndmask_b32_e64 v7, 0, 1, s[56:57]
	;;#ASMSTART
	;;#ASMEND
	s_nop 0
	v_cmp_ne_u32_e32 vcc, 0, v7
	s_cmp_lg_u64 vcc, exec
	s_cbranch_scc1 .LBB46_173
; %bb.175:                              ;   in Loop: Header=BB46_174 Depth=1
	s_waitcnt lgkmcnt(0)
	v_lshl_add_u64 v[10:11], v[4:5], 3, s[76:77]
	global_load_dwordx2 v[6:7], v[10:11], off sc1
	s_waitcnt vmcnt(0)
	v_cmp_eq_u16_sdwa s[58:59], v7, v5 src0_sel:BYTE_0 src1_sel:DWORD
	s_and_saveexec_b64 s[56:57], s[58:59]
	s_cbranch_execz .LBB46_179
; %bb.176:                              ;   in Loop: Header=BB46_174 Depth=1
	s_mov_b64 s[58:59], 0
.LBB46_177:                             ;   Parent Loop BB46_174 Depth=1
                                        ; =>  This Inner Loop Header: Depth=2
	global_load_dwordx2 v[6:7], v[10:11], off sc1
	s_waitcnt vmcnt(0)
	v_cmp_ne_u16_sdwa s[60:61], v7, v5 src0_sel:BYTE_0 src1_sel:DWORD
	s_or_b64 s[58:59], s[60:61], s[58:59]
	s_andn2_b64 exec, exec, s[58:59]
	s_cbranch_execnz .LBB46_177
; %bb.178:                              ;   in Loop: Header=BB46_174 Depth=1
	s_or_b64 exec, exec, s[58:59]
.LBB46_179:                             ;   in Loop: Header=BB46_174 Depth=1
	s_or_b64 exec, exec, s[56:57]
	v_cmp_eq_u16_sdwa s[56:57], v7, v72 src0_sel:BYTE_0 src1_sel:DWORD
	v_and_b32_e32 v75, 0xffffff, v6
	ds_bpermute_b32 v76, v3, v75
	v_and_b32_e32 v10, s57, v9
	v_or_b32_e32 v10, 0x80000000, v10
	v_and_b32_e32 v11, s56, v8
	v_ffbl_b32_e32 v10, v10
	v_add_u32_e32 v10, 32, v10
	v_ffbl_b32_e32 v11, v11
	v_min_u32_e32 v10, v11, v10
	v_lshrrev_b32_e32 v11, 16, v6
	v_cmp_le_u32_e32 vcc, v59, v10
	v_bfe_u32 v74, v6, 16, 8
	s_and_saveexec_b64 s[56:57], vcc
	s_cbranch_execz .LBB46_181
; %bb.180:                              ;   in Loop: Header=BB46_174 Depth=1
	v_and_b32_e32 v11, 0xff0000, v6
	s_waitcnt lgkmcnt(0)
	v_add_f16_e32 v74, v6, v76
	v_cmp_eq_u32_e32 vcc, 0, v11
	v_and_b32_e32 v11, 0x10000, v11
	s_nop 0
	v_cndmask_b32_e32 v6, v6, v74, vcc
	v_and_b32_sdwa v74, v76, v73 dst_sel:DWORD dst_unused:UNUSED_PAD src0_sel:WORD_1 src1_sel:DWORD
	v_cmp_ne_u32_e32 vcc, 0, v11
	s_nop 1
	v_cndmask_b32_e64 v11, v74, 1, vcc
	v_lshlrev_b32_e32 v74, 16, v11
	v_or_b32_sdwa v75, v74, v6 dst_sel:DWORD dst_unused:UNUSED_PAD src0_sel:DWORD src1_sel:WORD_0
	v_mov_b32_e32 v74, v11
.LBB46_181:                             ;   in Loop: Header=BB46_174 Depth=1
	s_or_b64 exec, exec, s[56:57]
	s_waitcnt lgkmcnt(0)
	ds_bpermute_b32 v76, v60, v75
	v_cmp_le_u32_e32 vcc, v61, v10
	s_and_saveexec_b64 s[56:57], vcc
	s_cbranch_execz .LBB46_183
; %bb.182:                              ;   in Loop: Header=BB46_174 Depth=1
	s_waitcnt lgkmcnt(0)
	v_add_f16_e32 v11, v6, v76
	v_cmp_eq_u16_e32 vcc, 0, v74
	s_nop 1
	v_cndmask_b32_e32 v6, v6, v11, vcc
	v_and_b32_e32 v11, 1, v74
	v_and_b32_sdwa v74, v76, v73 dst_sel:DWORD dst_unused:UNUSED_PAD src0_sel:WORD_1 src1_sel:DWORD
	v_cmp_eq_u32_e32 vcc, 1, v11
	s_nop 1
	v_cndmask_b32_e64 v11, v74, 1, vcc
	v_lshlrev_b32_e32 v74, 16, v11
	v_or_b32_sdwa v75, v74, v6 dst_sel:DWORD dst_unused:UNUSED_PAD src0_sel:DWORD src1_sel:WORD_0
	v_mov_b32_e32 v74, v11
.LBB46_183:                             ;   in Loop: Header=BB46_174 Depth=1
	s_or_b64 exec, exec, s[56:57]
	s_waitcnt lgkmcnt(0)
	ds_bpermute_b32 v76, v62, v75
	v_cmp_le_u32_e32 vcc, v63, v10
	s_and_saveexec_b64 s[56:57], vcc
	s_cbranch_execz .LBB46_185
; %bb.184:                              ;   in Loop: Header=BB46_174 Depth=1
	s_waitcnt lgkmcnt(0)
	v_add_f16_e32 v11, v6, v76
	v_cmp_eq_u16_e32 vcc, 0, v74
	s_nop 1
	v_cndmask_b32_e32 v6, v6, v11, vcc
	v_and_b32_e32 v11, 1, v74
	v_and_b32_sdwa v74, v76, v73 dst_sel:DWORD dst_unused:UNUSED_PAD src0_sel:WORD_1 src1_sel:DWORD
	v_cmp_eq_u32_e32 vcc, 1, v11
	s_nop 1
	v_cndmask_b32_e64 v11, v74, 1, vcc
	v_lshlrev_b32_e32 v74, 16, v11
	v_or_b32_sdwa v75, v74, v6 dst_sel:DWORD dst_unused:UNUSED_PAD src0_sel:DWORD src1_sel:WORD_0
	v_mov_b32_e32 v74, v11
.LBB46_185:                             ;   in Loop: Header=BB46_174 Depth=1
	;; [unrolled: 21-line block ×4, first 2 shown]
	s_or_b64 exec, exec, s[56:57]
	ds_bpermute_b32 v75, v70, v75
	v_cmp_le_u32_e32 vcc, v71, v10
	s_and_saveexec_b64 s[56:57], vcc
	s_cbranch_execz .LBB46_191
; %bb.190:                              ;   in Loop: Header=BB46_174 Depth=1
	s_waitcnt lgkmcnt(0)
	v_add_f16_e32 v10, v6, v75
	v_cmp_eq_u16_e32 vcc, 0, v74
	v_lshrrev_b32_e32 v11, 16, v75
	s_nop 0
	v_cndmask_b32_e32 v6, v6, v10, vcc
	v_and_b32_e32 v10, 1, v74
	v_cmp_eq_u32_e32 vcc, 1, v10
	s_nop 1
	v_cndmask_b32_e64 v11, v11, 1, vcc
.LBB46_191:                             ;   in Loop: Header=BB46_174 Depth=1
	s_or_b64 exec, exec, s[56:57]
	v_add_f16_e32 v6, v69, v6
	v_cmp_eq_u16_sdwa vcc, v68, v5 src0_sel:BYTE_0 src1_sel:DWORD
	v_and_b32_e32 v10, 1, v68
	v_and_b32_e32 v11, 1, v11
	v_cndmask_b32_e32 v6, v69, v6, vcc
	v_cmp_eq_u32_e32 vcc, 1, v10
	v_subrev_u32_e32 v4, 64, v4
	s_nop 0
	v_cndmask_b32_e64 v74, v11, 1, vcc
	s_branch .LBB46_174
.LBB46_192:
	s_and_saveexec_b64 s[56:57], s[52:53]
	s_cbranch_execz .LBB46_194
; %bb.193:
	v_and_b32_e32 v3, 0xff0000, v2
	v_add_f16_e32 v4, v2, v69
	v_cmp_eq_u32_e32 vcc, 0, v3
	s_mov_b32 s3, 0
	s_add_i32 s2, s2, 64
	v_cndmask_b32_e32 v3, v2, v4, vcc
	v_and_b32_e32 v2, 0x10000, v2
	v_mov_b32_e32 v4, 1
	v_and_b32_sdwa v4, v68, v4 dst_sel:WORD_1 dst_unused:UNUSED_PAD src0_sel:DWORD src1_sel:DWORD
	v_mov_b32_e32 v5, 0x10000
	v_cmp_eq_u32_e32 vcc, 0, v2
	s_lshl_b64 s[2:3], s[2:3], 3
	s_add_u32 s2, s76, s2
	v_cndmask_b32_e32 v2, v5, v4, vcc
	s_addc_u32 s3, s77, s3
	v_mov_b32_e32 v4, 0
	v_or_b32_sdwa v2, v2, v3 dst_sel:DWORD dst_unused:UNUSED_PAD src0_sel:DWORD src1_sel:WORD_0
	v_mov_b32_e32 v3, 2
	global_store_dwordx2 v4, v[2:3], s[2:3] sc1
.LBB46_194:
	s_or_b64 exec, exec, s[56:57]
	v_cmp_eq_u32_e32 vcc, 0, v0
	s_and_b64 exec, exec, vcc
	s_cbranch_execz .LBB46_196
; %bb.195:
	v_mov_b32_e32 v2, 0
	ds_write_b16 v2, v69 offset:12
	ds_write_b8 v2, v68 offset:14
.LBB46_196:
	s_or_b64 exec, exec, s[54:55]
	v_mov_b32_e32 v2, 0
	s_waitcnt lgkmcnt(0)
	s_barrier
	ds_read_b32 v3, v2 offset:12
	v_cmp_ne_u32_e32 vcc, 0, v0
	v_mov_b32_e32 v4, v1
	v_mov_b32_e32 v5, v19
	s_and_saveexec_b64 s[2:3], vcc
; %bb.197:
	v_lshrrev_b32_e32 v4, 16, v58
	v_cndmask_b32_e64 v5, v58, v54, s[52:53]
	v_cndmask_b32_e64 v6, v4, v56, s[52:53]
	v_add_f16_e32 v4, v1, v5
	v_cmp_eq_u16_sdwa vcc, v19, v2 src0_sel:BYTE_0 src1_sel:DWORD
	v_and_b32_e32 v5, 1, v19
	v_and_b32_e32 v6, 1, v6
	v_cndmask_b32_e32 v4, v1, v4, vcc
	v_cmp_eq_u32_e32 vcc, 1, v5
	s_nop 1
	v_cndmask_b32_e64 v5, v6, 1, vcc
; %bb.198:
	s_or_b64 exec, exec, s[2:3]
	s_waitcnt lgkmcnt(0)
	v_add_f16_e32 v3, v4, v3
	v_cmp_eq_u16_sdwa vcc, v5, v2 src0_sel:BYTE_0 src1_sel:DWORD
	s_nop 1
	v_cndmask_b32_e32 v72, v4, v3, vcc
	v_add_f16_e32 v2, v57, v72
	v_cndmask_b32_e64 v6, v57, v2, s[8:9]
	v_add_f16_e32 v2, v6, v24
	v_cndmask_b32_e64 v7, v24, v2, s[10:11]
	;; [unrolled: 2-line block ×23, first 2 shown]
	s_branch .LBB46_253
.LBB46_199:
	s_or_b64 exec, exec, s[58:59]
                                        ; implicit-def: $vgpr9
	s_and_saveexec_b64 s[4:5], s[6:7]
	s_cbranch_execz .LBB46_53
.LBB46_200:
	global_load_ushort v9, v[4:5], off offset:512
	s_or_b64 exec, exec, s[4:5]
                                        ; implicit-def: $vgpr18
	s_and_saveexec_b64 s[4:5], s[8:9]
	s_cbranch_execnz .LBB46_54
.LBB46_201:
	s_or_b64 exec, exec, s[4:5]
                                        ; implicit-def: $vgpr19
	s_and_saveexec_b64 s[4:5], s[10:11]
	s_cbranch_execz .LBB46_55
.LBB46_202:
	global_load_ushort v19, v[4:5], off offset:1536
	s_or_b64 exec, exec, s[4:5]
                                        ; implicit-def: $vgpr32
	s_and_saveexec_b64 s[4:5], s[12:13]
	s_cbranch_execnz .LBB46_56
.LBB46_203:
	s_or_b64 exec, exec, s[4:5]
                                        ; implicit-def: $vgpr33
	s_and_saveexec_b64 s[4:5], s[14:15]
	s_cbranch_execz .LBB46_57
.LBB46_204:
	global_load_ushort v33, v[4:5], off offset:2560
	s_or_b64 exec, exec, s[4:5]
                                        ; implicit-def: $vgpr34
	s_and_saveexec_b64 s[4:5], s[16:17]
	s_cbranch_execnz .LBB46_58
.LBB46_205:
	s_or_b64 exec, exec, s[4:5]
                                        ; implicit-def: $vgpr35
	s_and_saveexec_b64 s[4:5], s[18:19]
	s_cbranch_execz .LBB46_59
.LBB46_206:
	global_load_ushort v35, v[4:5], off offset:3584
	s_or_b64 exec, exec, s[4:5]
                                        ; implicit-def: $vgpr36
	s_and_saveexec_b64 s[4:5], s[20:21]
	s_cbranch_execnz .LBB46_60
.LBB46_207:
	s_or_b64 exec, exec, s[4:5]
                                        ; implicit-def: $vgpr37
	s_and_saveexec_b64 s[4:5], s[22:23]
	s_cbranch_execz .LBB46_61
.LBB46_208:
	v_add_co_u32_e32 v38, vcc, 0x1000, v4
	s_nop 1
	v_addc_co_u32_e32 v39, vcc, 0, v5, vcc
	global_load_ushort v37, v[38:39], off offset:512
	s_or_b64 exec, exec, s[4:5]
                                        ; implicit-def: $vgpr38
	s_and_saveexec_b64 s[4:5], s[24:25]
	s_cbranch_execnz .LBB46_62
.LBB46_209:
	s_or_b64 exec, exec, s[4:5]
                                        ; implicit-def: $vgpr39
	s_and_saveexec_b64 s[4:5], s[26:27]
	s_cbranch_execz .LBB46_63
.LBB46_210:
	v_add_co_u32_e32 v40, vcc, 0x1000, v4
	s_nop 1
	v_addc_co_u32_e32 v41, vcc, 0, v5, vcc
	global_load_ushort v39, v[40:41], off offset:1536
	s_or_b64 exec, exec, s[4:5]
                                        ; implicit-def: $vgpr40
	s_and_saveexec_b64 s[4:5], s[28:29]
	s_cbranch_execnz .LBB46_64
.LBB46_211:
	s_or_b64 exec, exec, s[4:5]
                                        ; implicit-def: $vgpr41
	s_and_saveexec_b64 s[4:5], s[30:31]
	s_cbranch_execz .LBB46_65
.LBB46_212:
	v_add_co_u32_e32 v42, vcc, 0x1000, v4
	s_nop 1
	v_addc_co_u32_e32 v43, vcc, 0, v5, vcc
	global_load_ushort v41, v[42:43], off offset:2560
	s_or_b64 exec, exec, s[4:5]
                                        ; implicit-def: $vgpr42
	s_and_saveexec_b64 s[4:5], s[34:35]
	s_cbranch_execnz .LBB46_66
.LBB46_213:
	s_or_b64 exec, exec, s[4:5]
                                        ; implicit-def: $vgpr43
	s_and_saveexec_b64 s[4:5], s[36:37]
	s_cbranch_execz .LBB46_67
.LBB46_214:
	v_add_co_u32_e32 v44, vcc, 0x1000, v4
	s_nop 1
	v_addc_co_u32_e32 v45, vcc, 0, v5, vcc
	global_load_ushort v43, v[44:45], off offset:3584
	s_or_b64 exec, exec, s[4:5]
                                        ; implicit-def: $vgpr44
	s_and_saveexec_b64 s[4:5], s[38:39]
	s_cbranch_execnz .LBB46_68
.LBB46_215:
	s_or_b64 exec, exec, s[4:5]
                                        ; implicit-def: $vgpr45
	s_and_saveexec_b64 s[4:5], s[40:41]
	s_cbranch_execz .LBB46_69
.LBB46_216:
	v_add_co_u32_e32 v46, vcc, 0x2000, v4
	s_nop 1
	v_addc_co_u32_e32 v47, vcc, 0, v5, vcc
	global_load_ushort v45, v[46:47], off offset:512
	s_or_b64 exec, exec, s[4:5]
                                        ; implicit-def: $vgpr46
	s_and_saveexec_b64 s[4:5], s[42:43]
	s_cbranch_execnz .LBB46_70
.LBB46_217:
	s_or_b64 exec, exec, s[4:5]
                                        ; implicit-def: $vgpr47
	s_and_saveexec_b64 s[4:5], s[44:45]
	s_cbranch_execz .LBB46_71
.LBB46_218:
	v_add_co_u32_e32 v48, vcc, 0x2000, v4
	s_nop 1
	v_addc_co_u32_e32 v49, vcc, 0, v5, vcc
	global_load_ushort v47, v[48:49], off offset:1536
	s_or_b64 exec, exec, s[4:5]
                                        ; implicit-def: $vgpr48
	s_and_saveexec_b64 s[4:5], s[46:47]
	s_cbranch_execnz .LBB46_72
.LBB46_219:
	s_or_b64 exec, exec, s[4:5]
                                        ; implicit-def: $vgpr49
	s_and_saveexec_b64 s[4:5], s[48:49]
	s_cbranch_execz .LBB46_73
.LBB46_220:
	v_add_co_u32_e32 v50, vcc, 0x2000, v4
	s_nop 1
	v_addc_co_u32_e32 v51, vcc, 0, v5, vcc
	global_load_ushort v49, v[50:51], off offset:2560
	s_or_b64 exec, exec, s[4:5]
                                        ; implicit-def: $vgpr50
	s_and_saveexec_b64 s[4:5], s[50:51]
	s_cbranch_execz .LBB46_75
	s_branch .LBB46_74
.LBB46_221:
	s_load_dwordx2 s[62:63], s[0:1], 0x48
                                        ; implicit-def: $vgpr73
                                        ; implicit-def: $vgpr71
                                        ; implicit-def: $vgpr72
                                        ; implicit-def: $vgpr70
                                        ; implicit-def: $vgpr69
                                        ; implicit-def: $vgpr6
                                        ; implicit-def: $vgpr68
                                        ; implicit-def: $vgpr67
                                        ; implicit-def: $vgpr7
                                        ; implicit-def: $vgpr66
                                        ; implicit-def: $vgpr64
                                        ; implicit-def: $vgpr8
                                        ; implicit-def: $vgpr65
                                        ; implicit-def: $vgpr63
                                        ; implicit-def: $vgpr9
                                        ; implicit-def: $vgpr62
                                        ; implicit-def: $vgpr61
                                        ; implicit-def: $vgpr10
                                        ; implicit-def: $vgpr60
                                        ; implicit-def: $vgpr59
                                        ; implicit-def: $vgpr11
                                        ; implicit-def: $vgpr58
                                        ; implicit-def: $vgpr54
                                        ; implicit-def: $vgpr56
	s_cbranch_execz .LBB46_253
; %bb.222:
	s_waitcnt lgkmcnt(0)
	s_cmp_lg_u64 s[62:63], 0
	s_cselect_b64 s[2:3], -1, 0
	v_cmp_eq_u32_e32 vcc, 0, v0
	v_cmp_ne_u32_e64 s[4:5], 0, v0
	s_and_b64 s[2:3], vcc, s[2:3]
	s_and_saveexec_b64 s[6:7], s[2:3]
	s_cbranch_execz .LBB46_226
; %bb.223:
	v_mov_b32_e32 v3, 0
	global_load_ubyte v2, v3, s[62:63] offset:2
	v_cmp_eq_u16_sdwa s[8:9], v19, v3 src0_sel:BYTE_0 src1_sel:DWORD
	s_and_saveexec_b64 s[2:3], s[8:9]
	s_cbranch_execz .LBB46_225
; %bb.224:
	global_load_ushort v3, v3, s[62:63]
	s_waitcnt vmcnt(0)
	v_add_f16_e32 v1, v3, v1
.LBB46_225:
	s_or_b64 exec, exec, s[2:3]
	v_and_b32_e32 v3, 1, v19
	s_waitcnt vmcnt(0)
	v_and_b32_e32 v2, 1, v2
	v_cmp_eq_u32_e64 s[2:3], 1, v3
	s_nop 1
	v_cndmask_b32_e64 v19, v2, 1, s[2:3]
.LBB46_226:
	s_or_b64 exec, exec, s[6:7]
	v_mov_b32_e32 v3, 0
	v_add_f16_e32 v2, v57, v1
	v_cmp_eq_u16_sdwa s[8:9], v34, v3 src0_sel:BYTE_0 src1_sel:DWORD
	v_cmp_eq_u16_sdwa s[10:11], v33, v3 src0_sel:BYTE_0 src1_sel:DWORD
	;; [unrolled: 1-line block ×3, first 2 shown]
	v_cndmask_b32_e64 v6, v57, v2, s[8:9]
	v_add_f16_e32 v2, v6, v24
	v_cndmask_b32_e64 v7, v24, v2, s[10:11]
	v_add_f16_e32 v2, v7, v55
	;; [unrolled: 2-line block ×3, first 2 shown]
	v_cmp_eq_u16_sdwa s[14:15], v53, v3 src0_sel:BYTE_0 src1_sel:DWORD
	s_movk_i32 s6, 0xff
	v_cmp_eq_u16_sdwa s[16:17], v50, v3 src0_sel:BYTE_0 src1_sel:DWORD
	v_cndmask_b32_e64 v9, v23, v2, s[14:15]
	v_add_f16_e32 v2, v9, v51
	v_cndmask_b32_e64 v10, v51, v2, s[16:17]
	v_and_b32_sdwa v2, v53, s6 dst_sel:DWORD dst_unused:UNUSED_PAD src0_sel:WORD_1 src1_sel:DWORD
	v_add_f16_e32 v4, v10, v22
	v_cmp_eq_u16_e64 s[18:19], 0, v2
	v_cmp_eq_u16_sdwa s[20:21], v53, v3 src0_sel:BYTE_3 src1_sel:DWORD
	v_cmp_eq_u16_sdwa s[22:23], v37, v3 src0_sel:BYTE_0 src1_sel:DWORD
	v_cndmask_b32_e64 v11, v22, v4, s[18:19]
	v_add_f16_e32 v2, v11, v48
	v_cndmask_b32_e64 v56, v48, v2, s[20:21]
	v_add_f16_e32 v2, v56, v21
	;; [unrolled: 2-line block ×3, first 2 shown]
	v_cmp_eq_u16_sdwa s[24:25], v47, v3 src0_sel:BYTE_0 src1_sel:DWORD
	v_cmp_eq_u16_sdwa s[26:27], v49, v3 src0_sel:BYTE_0 src1_sel:DWORD
	v_cmp_eq_u16_sdwa s[30:31], v47, v3 src0_sel:BYTE_3 src1_sel:DWORD
	v_cndmask_b32_e64 v58, v46, v2, s[24:25]
	v_add_f16_e32 v2, v58, v20
	v_cndmask_b32_e64 v59, v20, v2, s[26:27]
	v_and_b32_sdwa v2, v47, s6 dst_sel:DWORD dst_unused:UNUSED_PAD src0_sel:WORD_1 src1_sel:DWORD
	v_add_f16_e32 v4, v59, v45
	v_cmp_eq_u16_e64 s[28:29], 0, v2
	v_cmp_eq_u16_sdwa s[34:35], v39, v3 src0_sel:BYTE_0 src1_sel:DWORD
	v_cmp_eq_u16_sdwa s[36:37], v44, v3 src0_sel:BYTE_0 src1_sel:DWORD
	v_cndmask_b32_e64 v60, v45, v4, s[28:29]
	v_add_f16_e32 v2, v60, v18
	v_cndmask_b32_e64 v61, v18, v2, s[30:31]
	v_add_f16_e32 v2, v61, v43
	;; [unrolled: 2-line block ×4, first 2 shown]
	v_cmp_eq_u16_sdwa s[38:39], v31, v3 src0_sel:BYTE_0 src1_sel:DWORD
	v_cmp_eq_u16_sdwa s[42:43], v44, v3 src0_sel:BYTE_3 src1_sel:DWORD
	v_cmp_eq_u16_sdwa s[44:45], v36, v3 src0_sel:BYTE_0 src1_sel:DWORD
	v_cndmask_b32_e64 v65, v42, v2, s[38:39]
	v_and_b32_sdwa v2, v44, s6 dst_sel:DWORD dst_unused:UNUSED_PAD src0_sel:WORD_1 src1_sel:DWORD
	v_add_f16_e32 v4, v65, v16
	v_cmp_eq_u16_e64 s[40:41], 0, v2
	v_cmp_eq_u16_sdwa s[46:47], v41, v3 src0_sel:BYTE_0 src1_sel:DWORD
	v_cmp_eq_u16_sdwa s[48:49], v29, v3 src0_sel:BYTE_0 src1_sel:DWORD
	v_cndmask_b32_e64 v64, v16, v4, s[40:41]
	v_add_f16_e32 v2, v64, v40
	v_cndmask_b32_e64 v66, v40, v2, s[42:43]
	v_add_f16_e32 v2, v66, v15
	;; [unrolled: 2-line block ×4, first 2 shown]
	v_cndmask_b32_e64 v69, v14, v2, s[48:49]
	v_and_b32_sdwa v2, v41, s6 dst_sel:DWORD dst_unused:UNUSED_PAD src0_sel:WORD_1 src1_sel:DWORD
	v_cmp_eq_u16_sdwa s[52:53], v41, v3 src0_sel:BYTE_3 src1_sel:DWORD
	v_cmp_eq_u16_sdwa s[6:7], v25, v3 src0_sel:BYTE_0 src1_sel:DWORD
	v_or_b32_e32 v3, v41, v44
	v_or3_b32 v3, v3, v47, v53
	v_lshrrev_b16_e32 v25, 7, v3
	v_and_b32_e32 v5, 1, v3
	v_and_b32_e32 v25, 2, v25
	v_cmp_eq_u32_e64 s[56:57], 1, v28
	v_or_b32_e32 v5, v5, v25
	v_lshrrev_b32_e32 v25, 23, v3
	v_mov_b32_e32 v28, 1
	v_and_b32_e32 v25, 2, v25
	v_and_b32_sdwa v3, v3, v28 dst_sel:DWORD dst_unused:UNUSED_PAD src0_sel:WORD_1 src1_sel:DWORD
	v_or_b32_e32 v3, v3, v25
	v_lshlrev_b16_e32 v3, 2, v3
	v_or_b32_e32 v3, v5, v3
	v_cmp_eq_u32_e64 s[58:59], 1, v27
	v_cmp_ne_u16_e64 s[60:61], 0, v3
	v_or_b32_e32 v3, v37, v35
	v_add_f16_e32 v4, v69, v32
	v_cmp_eq_u16_e64 s[50:51], 0, v2
	s_or_b64 s[58:59], s[60:61], s[58:59]
	v_or_b32_e32 v3, v3, v33
	v_cmp_eq_u32_e64 s[2:3], 1, v30
	v_cndmask_b32_e64 v70, v32, v4, s[50:51]
	s_or_b64 s[56:57], s[58:59], s[56:57]
	v_and_b32_e32 v3, 1, v3
	v_add_f16_e32 v2, v70, v13
	s_or_b64 s[56:57], s[56:57], s[2:3]
	v_cmp_eq_u32_e64 s[2:3], 1, v3
	v_cmp_eq_u32_e64 s[54:55], 1, v52
	v_cndmask_b32_e64 v71, v13, v2, s[52:53]
	s_or_b64 s[2:3], s[56:57], s[2:3]
	v_add_f16_e32 v2, v71, v12
	s_or_b64 s[2:3], s[2:3], s[54:55]
	v_cndmask_b32_e64 v4, v12, v2, s[6:7]
	v_cndmask_b32_e64 v5, v19, 1, s[2:3]
	v_mbcnt_hi_u32_b32 v3, -1, v26
	v_and_b32_e32 v29, 0xff, v5
	v_and_b32_e32 v25, 0xffff, v4
	;; [unrolled: 1-line block ×3, first 2 shown]
	v_lshl_or_b32 v25, v29, 16, v25
	v_cmp_ne_u32_e64 s[2:3], 0, v27
	s_nop 0
	v_mov_b32_dpp v26, v25 row_shr:1 row_mask:0xf bank_mask:0xf
	s_and_saveexec_b64 s[54:55], s[2:3]
; %bb.227:
	v_add_f16_e32 v25, v4, v26
	v_cmp_eq_u16_e64 s[2:3], 0, v29
	v_and_b32_e32 v5, 1, v5
	s_nop 0
	v_cndmask_b32_e64 v4, v4, v25, s[2:3]
	v_and_b32_sdwa v25, v26, v28 dst_sel:DWORD dst_unused:UNUSED_PAD src0_sel:WORD_1 src1_sel:DWORD
	v_cmp_eq_u32_e64 s[2:3], 1, v5
	s_nop 1
	v_cndmask_b32_e64 v5, v25, 1, s[2:3]
	v_lshlrev_b32_e32 v25, 16, v5
	v_or_b32_sdwa v25, v25, v4 dst_sel:DWORD dst_unused:UNUSED_PAD src0_sel:DWORD src1_sel:WORD_0
; %bb.228:
	s_or_b64 exec, exec, s[54:55]
	v_lshrrev_b32_e32 v26, 16, v25
	v_mov_b32_dpp v28, v25 row_shr:2 row_mask:0xf bank_mask:0xf
	v_cmp_lt_u32_e64 s[2:3], 1, v27
	s_and_saveexec_b64 s[54:55], s[2:3]
	s_cbranch_execz .LBB46_230
; %bb.229:
	s_mov_b32 s2, 0x10000
	v_add_f16_e32 v5, v4, v28
	v_cmp_gt_u32_e64 s[2:3], s2, v25
	s_nop 1
	v_cndmask_b32_e64 v4, v4, v5, s[2:3]
	v_and_b32_e32 v5, 0x10000, v25
	v_mov_b32_e32 v25, 1
	v_and_b32_sdwa v25, v28, v25 dst_sel:DWORD dst_unused:UNUSED_PAD src0_sel:WORD_1 src1_sel:DWORD
	v_cmp_ne_u32_e64 s[2:3], 0, v5
	s_nop 1
	v_cndmask_b32_e64 v5, v25, 1, s[2:3]
	v_lshlrev_b32_e32 v25, 16, v5
	v_or_b32_sdwa v25, v25, v4 dst_sel:DWORD dst_unused:UNUSED_PAD src0_sel:DWORD src1_sel:WORD_0
	v_mov_b32_e32 v26, v5
.LBB46_230:
	s_or_b64 exec, exec, s[54:55]
	v_mov_b32_dpp v28, v25 row_shr:4 row_mask:0xf bank_mask:0xf
	v_cmp_lt_u32_e64 s[2:3], 3, v27
	s_and_saveexec_b64 s[54:55], s[2:3]
; %bb.231:
	v_add_f16_e32 v5, v4, v28
	v_cmp_eq_u16_e64 s[2:3], 0, v26
	v_mov_b32_e32 v25, 1
	v_and_b32_sdwa v25, v28, v25 dst_sel:DWORD dst_unused:UNUSED_PAD src0_sel:WORD_1 src1_sel:DWORD
	v_cndmask_b32_e64 v4, v4, v5, s[2:3]
	v_and_b32_e32 v5, 1, v26
	v_cmp_eq_u32_e64 s[2:3], 1, v5
	s_nop 1
	v_cndmask_b32_e64 v5, v25, 1, s[2:3]
	v_lshlrev_b32_e32 v25, 16, v5
	v_or_b32_sdwa v25, v25, v4 dst_sel:DWORD dst_unused:UNUSED_PAD src0_sel:DWORD src1_sel:WORD_0
	v_mov_b32_e32 v26, v5
; %bb.232:
	s_or_b64 exec, exec, s[54:55]
	v_mov_b32_dpp v28, v25 row_shr:8 row_mask:0xf bank_mask:0xf
	v_cmp_lt_u32_e64 s[2:3], 7, v27
	s_and_saveexec_b64 s[54:55], s[2:3]
; %bb.233:
	v_add_f16_e32 v5, v4, v28
	v_cmp_eq_u16_e64 s[2:3], 0, v26
	v_mov_b32_e32 v25, 1
	v_and_b32_sdwa v25, v28, v25 dst_sel:DWORD dst_unused:UNUSED_PAD src0_sel:WORD_1 src1_sel:DWORD
	v_cndmask_b32_e64 v4, v4, v5, s[2:3]
	v_and_b32_e32 v5, 1, v26
	v_cmp_eq_u32_e64 s[2:3], 1, v5
	s_nop 1
	v_cndmask_b32_e64 v5, v25, 1, s[2:3]
	v_lshlrev_b32_e32 v25, 16, v5
	v_or_b32_sdwa v25, v25, v4 dst_sel:DWORD dst_unused:UNUSED_PAD src0_sel:DWORD src1_sel:WORD_0
	v_mov_b32_e32 v26, v5
; %bb.234:
	s_or_b64 exec, exec, s[54:55]
	v_and_b32_e32 v28, 16, v3
	v_mov_b32_dpp v27, v25 row_bcast:15 row_mask:0xf bank_mask:0xf
	v_cmp_ne_u32_e64 s[2:3], 0, v28
	s_and_saveexec_b64 s[54:55], s[2:3]
; %bb.235:
	v_add_f16_e32 v5, v4, v27
	v_cmp_eq_u16_e64 s[2:3], 0, v26
	v_mov_b32_e32 v25, 1
	v_and_b32_sdwa v25, v27, v25 dst_sel:DWORD dst_unused:UNUSED_PAD src0_sel:WORD_1 src1_sel:DWORD
	v_cndmask_b32_e64 v4, v4, v5, s[2:3]
	v_and_b32_e32 v5, 1, v26
	v_cmp_eq_u32_e64 s[2:3], 1, v5
	s_nop 1
	v_cndmask_b32_e64 v5, v25, 1, s[2:3]
	v_lshlrev_b32_e32 v25, 16, v5
	v_or_b32_sdwa v25, v25, v4 dst_sel:DWORD dst_unused:UNUSED_PAD src0_sel:DWORD src1_sel:WORD_0
	v_mov_b32_e32 v26, v5
; %bb.236:
	s_or_b64 exec, exec, s[54:55]
	v_mov_b32_dpp v25, v25 row_bcast:31 row_mask:0xf bank_mask:0xf
	v_cmp_lt_u32_e64 s[2:3], 31, v3
	s_and_saveexec_b64 s[54:55], s[2:3]
; %bb.237:
	v_and_b32_e32 v5, 1, v26
	v_mov_b32_e32 v28, 1
	v_add_f16_e32 v27, v4, v25
	v_and_b32_sdwa v25, v25, v28 dst_sel:DWORD dst_unused:UNUSED_PAD src0_sel:WORD_1 src1_sel:DWORD
	v_cmp_eq_u32_e64 s[2:3], 1, v5
	s_nop 1
	v_cndmask_b32_e64 v5, v25, 1, s[2:3]
	v_cmp_eq_u16_e64 s[2:3], 0, v26
	s_nop 1
	v_cndmask_b32_e64 v4, v4, v27, s[2:3]
; %bb.238:
	s_or_b64 exec, exec, s[54:55]
	v_or_b32_e32 v26, 63, v0
	v_lshrrev_b32_e32 v25, 6, v0
	v_cmp_eq_u32_e64 s[2:3], v26, v0
	s_and_saveexec_b64 s[54:55], s[2:3]
	s_cbranch_execz .LBB46_240
; %bb.239:
	v_lshlrev_b32_e32 v26, 2, v25
	ds_write_b16 v26, v4
	ds_write_b8 v26, v5 offset:2
.LBB46_240:
	s_or_b64 exec, exec, s[54:55]
	v_cmp_gt_u32_e64 s[2:3], 4, v0
	s_waitcnt lgkmcnt(0)
	s_barrier
	s_and_saveexec_b64 s[54:55], s[2:3]
	s_cbranch_execz .LBB46_246
; %bb.241:
	v_lshlrev_b32_e32 v26, 2, v0
	ds_read_b32 v28, v26
	v_and_b32_e32 v30, 3, v3
	v_cmp_ne_u32_e64 s[2:3], 0, v30
	s_waitcnt lgkmcnt(0)
	v_lshrrev_b32_e32 v29, 16, v28
	v_mov_b32_dpp v31, v28 row_shr:1 row_mask:0xf bank_mask:0xf
	v_mov_b32_e32 v27, v28
	s_and_saveexec_b64 s[56:57], s[2:3]
	s_cbranch_execz .LBB46_243
; %bb.242:
	v_mov_b32_e32 v27, 0
	v_add_f16_e32 v34, v28, v31
	v_cmp_eq_u16_sdwa s[2:3], v29, v27 src0_sel:BYTE_0 src1_sel:DWORD
	v_and_b32_e32 v33, 0xff000000, v28
	v_mov_b32_e32 v29, 1
	v_cndmask_b32_e64 v27, v28, v34, s[2:3]
	v_and_b32_e32 v28, 0x10000, v28
	v_and_b32_sdwa v29, v31, v29 dst_sel:DWORD dst_unused:UNUSED_PAD src0_sel:WORD_1 src1_sel:DWORD
	v_cmp_ne_u32_e64 s[2:3], 0, v28
	v_and_b32_e32 v31, 0xffff, v27
	s_nop 0
	v_cndmask_b32_e64 v29, v29, 1, s[2:3]
	v_lshlrev_b32_e32 v28, 16, v29
	v_or3_b32 v28, v28, v33, v31
.LBB46_243:
	s_or_b64 exec, exec, s[56:57]
	s_nop 0
	v_mov_b32_dpp v31, v28 row_shr:2 row_mask:0xf bank_mask:0xf
	v_cmp_lt_u32_e64 s[2:3], 1, v30
	s_and_saveexec_b64 s[56:57], s[2:3]
; %bb.244:
	v_and_b32_e32 v29, 0xff0000, v28
	v_add_f16_e32 v30, v27, v31
	v_cmp_eq_u32_e64 s[2:3], 0, v29
	v_and_b32_e32 v28, 0x10000, v28
	v_mov_b32_e32 v29, 1
	v_cndmask_b32_e64 v27, v27, v30, s[2:3]
	v_and_b32_sdwa v29, v31, v29 dst_sel:DWORD dst_unused:UNUSED_PAD src0_sel:WORD_1 src1_sel:DWORD
	v_cmp_eq_u32_e64 s[2:3], 0, v28
	s_nop 1
	v_cndmask_b32_e64 v29, 1, v29, s[2:3]
; %bb.245:
	s_or_b64 exec, exec, s[56:57]
	ds_write_b16 v26, v27
	ds_write_b8 v26, v29 offset:2
.LBB46_246:
	s_or_b64 exec, exec, s[54:55]
	v_cmp_lt_u32_e64 s[2:3], 63, v0
	v_mov_b32_e32 v26, 0
	s_waitcnt lgkmcnt(0)
	s_barrier
	s_and_saveexec_b64 s[54:55], s[2:3]
	s_cbranch_execz .LBB46_248
; %bb.247:
	v_lshl_add_u32 v25, v25, 2, -4
	ds_read_u16 v26, v25
	ds_read_u8 v25, v25 offset:2
	v_mov_b32_e32 v27, 0
	v_and_b32_e32 v28, 1, v5
	v_cmp_eq_u16_sdwa s[2:3], v5, v27 src0_sel:BYTE_0 src1_sel:DWORD
	s_waitcnt lgkmcnt(1)
	v_add_f16_e32 v29, v4, v26
	v_cndmask_b32_e64 v4, v4, v29, s[2:3]
	v_cmp_eq_u32_e64 s[2:3], 1, v28
	s_waitcnt lgkmcnt(0)
	s_nop 0
	v_cndmask_b32_e64 v5, v25, 1, s[2:3]
.LBB46_248:
	s_or_b64 exec, exec, s[54:55]
	v_and_b32_e32 v5, 0xff, v5
	v_and_b32_e32 v4, 0xffff, v4
	v_lshl_or_b32 v4, v5, 16, v4
	v_add_u32_e32 v5, -1, v3
	v_and_b32_e32 v25, 64, v3
	v_cmp_lt_i32_e64 s[2:3], v5, v25
	s_nop 1
	v_cndmask_b32_e64 v5, v5, v3, s[2:3]
	v_lshlrev_b32_e32 v5, 2, v5
	ds_bpermute_b32 v4, v5, v4
	s_and_saveexec_b64 s[54:55], s[4:5]
	s_cbranch_execz .LBB46_250
; %bb.249:
	v_cmp_eq_u32_e64 s[2:3], 0, v3
	v_mov_b32_e32 v3, 0
	s_waitcnt lgkmcnt(0)
	v_cndmask_b32_e64 v2, v4, v26, s[2:3]
	v_add_f16_e32 v2, v2, v1
	v_cmp_eq_u16_sdwa s[2:3], v19, v3 src0_sel:BYTE_0 src1_sel:DWORD
	s_nop 1
	v_cndmask_b32_e64 v1, v1, v2, s[2:3]
	v_add_f16_e32 v2, v57, v1
	v_cndmask_b32_e64 v6, v57, v2, s[8:9]
	v_add_f16_e32 v2, v6, v24
	;; [unrolled: 2-line block ×23, first 2 shown]
.LBB46_250:
	s_or_b64 exec, exec, s[54:55]
	s_and_saveexec_b64 s[2:3], vcc
	s_cbranch_execz .LBB46_252
; %bb.251:
	v_mov_b32_e32 v3, 0
	s_waitcnt lgkmcnt(0)
	ds_read_u8 v4, v3 offset:14
	ds_read_u16 v5, v3 offset:12
	s_waitcnt lgkmcnt(1)
	v_lshlrev_b32_e32 v4, 16, v4
	s_waitcnt lgkmcnt(0)
	v_or_b32_e32 v4, v4, v5
	v_mov_b32_e32 v5, 2
	global_store_dwordx2 v3, v[4:5], s[76:77] offset:512 sc1
.LBB46_252:
	s_or_b64 exec, exec, s[2:3]
	v_cndmask_b32_e64 v73, v12, v2, s[6:7]
	v_mov_b32_e32 v72, v1
.LBB46_253:
	s_load_dwordx2 s[0:1], s[0:1], 0x18
	v_mul_u32_u24_e32 v1, 24, v0
	v_lshlrev_b32_e32 v12, 1, v1
	v_lshlrev_b32_e32 v2, 1, v0
	s_waitcnt lgkmcnt(0)
	s_add_u32 s0, s0, s94
	s_addc_u32 s1, s1, s95
	s_and_b64 vcc, exec, s[72:73]
	s_cbranch_vccz .LBB46_301
; %bb.254:
	s_mov_b32 s2, 0x5040100
	v_perm_b32 v17, v56, v11, s2
	v_perm_b32 v16, v10, v9, s2
	;; [unrolled: 1-line block ×4, first 2 shown]
	s_barrier
	ds_write_b128 v12, v[14:17]
	v_perm_b32 v17, v65, v63, s2
	v_perm_b32 v16, v62, v61, s2
	;; [unrolled: 1-line block ×4, first 2 shown]
	ds_write_b128 v12, v[14:17] offset:16
	v_perm_b32 v17, v73, v71, s2
	v_perm_b32 v16, v70, v69, s2
	;; [unrolled: 1-line block ×4, first 2 shown]
	s_movk_i32 s2, 0xffd2
	v_mad_i32_i24 v3, v0, s2, v12
	ds_write_b128 v12, v[14:17] offset:32
	s_waitcnt lgkmcnt(0)
	s_barrier
	ds_read_u16 v34, v3 offset:512
	ds_read_u16 v33, v3 offset:1024
	;; [unrolled: 1-line block ×23, first 2 shown]
	s_add_i32 s33, s33, s78
	v_mov_b32_e32 v3, 0
	v_lshl_add_u64 v[4:5], s[0:1], 0, v[2:3]
	v_cmp_gt_u32_e32 vcc, s33, v0
	s_and_saveexec_b64 s[2:3], vcc
	s_cbranch_execz .LBB46_256
; %bb.255:
	v_mul_i32_i24_e32 v35, 0xffffffd2, v0
	v_add_u32_e32 v35, v12, v35
	ds_read_u16 v35, v35
	s_waitcnt lgkmcnt(0)
	global_store_short v[4:5], v35, off
.LBB46_256:
	s_or_b64 exec, exec, s[2:3]
	v_or_b32_e32 v35, 0x100, v0
	v_cmp_gt_u32_e32 vcc, s33, v35
	s_and_saveexec_b64 s[2:3], vcc
	s_cbranch_execz .LBB46_258
; %bb.257:
	s_waitcnt lgkmcnt(14)
	global_store_short v[4:5], v34, off offset:512
.LBB46_258:
	s_or_b64 exec, exec, s[2:3]
	s_waitcnt lgkmcnt(14)
	v_or_b32_e32 v34, 0x200, v0
	v_cmp_gt_u32_e32 vcc, s33, v34
	s_and_saveexec_b64 s[2:3], vcc
	s_cbranch_execz .LBB46_260
; %bb.259:
	global_store_short v[4:5], v33, off offset:1024
.LBB46_260:
	s_or_b64 exec, exec, s[2:3]
	v_or_b32_e32 v33, 0x300, v0
	v_cmp_gt_u32_e32 vcc, s33, v33
	s_and_saveexec_b64 s[2:3], vcc
	s_cbranch_execz .LBB46_262
; %bb.261:
	global_store_short v[4:5], v32, off offset:1536
.LBB46_262:
	s_or_b64 exec, exec, s[2:3]
	;; [unrolled: 8-line block ×6, first 2 shown]
	v_or_b32_e32 v28, 0x800, v0
	v_cmp_gt_u32_e32 vcc, s33, v28
	s_and_saveexec_b64 s[2:3], vcc
	s_cbranch_execz .LBB46_272
; %bb.271:
	v_add_co_u32_e32 v28, vcc, 0x1000, v4
	s_nop 1
	v_addc_co_u32_e32 v29, vcc, 0, v5, vcc
	global_store_short v[28:29], v27, off
.LBB46_272:
	s_or_b64 exec, exec, s[2:3]
	v_or_b32_e32 v27, 0x900, v0
	v_cmp_gt_u32_e32 vcc, s33, v27
	s_and_saveexec_b64 s[2:3], vcc
	s_cbranch_execz .LBB46_274
; %bb.273:
	v_add_co_u32_e32 v28, vcc, 0x1000, v4
	s_nop 1
	v_addc_co_u32_e32 v29, vcc, 0, v5, vcc
	global_store_short v[28:29], v26, off offset:512
.LBB46_274:
	s_or_b64 exec, exec, s[2:3]
	v_or_b32_e32 v26, 0xa00, v0
	v_cmp_gt_u32_e32 vcc, s33, v26
	s_and_saveexec_b64 s[2:3], vcc
	s_cbranch_execz .LBB46_276
; %bb.275:
	v_add_co_u32_e32 v26, vcc, 0x1000, v4
	s_nop 1
	v_addc_co_u32_e32 v27, vcc, 0, v5, vcc
	s_waitcnt lgkmcnt(13)
	global_store_short v[26:27], v25, off offset:1024
.LBB46_276:
	s_or_b64 exec, exec, s[2:3]
	s_waitcnt lgkmcnt(13)
	v_or_b32_e32 v25, 0xb00, v0
	v_cmp_gt_u32_e32 vcc, s33, v25
	s_and_saveexec_b64 s[2:3], vcc
	s_cbranch_execz .LBB46_278
; %bb.277:
	v_add_co_u32_e32 v26, vcc, 0x1000, v4
	s_nop 1
	v_addc_co_u32_e32 v27, vcc, 0, v5, vcc
	s_waitcnt lgkmcnt(12)
	global_store_short v[26:27], v24, off offset:1536
.LBB46_278:
	s_or_b64 exec, exec, s[2:3]
	s_waitcnt lgkmcnt(12)
	;; [unrolled: 13-line block ×6, first 2 shown]
	v_or_b32_e32 v20, 0x1000, v0
	v_cmp_gt_u32_e32 vcc, s33, v20
	s_and_saveexec_b64 s[2:3], vcc
	s_cbranch_execz .LBB46_288
; %bb.287:
	v_add_co_u32_e32 v20, vcc, 0x2000, v4
	s_nop 1
	v_addc_co_u32_e32 v21, vcc, 0, v5, vcc
	s_waitcnt lgkmcnt(7)
	global_store_short v[20:21], v19, off
.LBB46_288:
	s_or_b64 exec, exec, s[2:3]
	s_waitcnt lgkmcnt(7)
	v_or_b32_e32 v19, 0x1100, v0
	v_cmp_gt_u32_e32 vcc, s33, v19
	s_and_saveexec_b64 s[2:3], vcc
	s_cbranch_execz .LBB46_290
; %bb.289:
	v_add_co_u32_e32 v20, vcc, 0x2000, v4
	s_nop 1
	v_addc_co_u32_e32 v21, vcc, 0, v5, vcc
	s_waitcnt lgkmcnt(6)
	global_store_short v[20:21], v18, off offset:512
.LBB46_290:
	s_or_b64 exec, exec, s[2:3]
	s_waitcnt lgkmcnt(6)
	v_or_b32_e32 v18, 0x1200, v0
	v_cmp_gt_u32_e32 vcc, s33, v18
	s_and_saveexec_b64 s[2:3], vcc
	s_cbranch_execz .LBB46_292
; %bb.291:
	v_add_co_u32_e32 v18, vcc, 0x2000, v4
	s_nop 1
	v_addc_co_u32_e32 v19, vcc, 0, v5, vcc
	s_waitcnt lgkmcnt(5)
	global_store_short v[18:19], v17, off offset:1024
.LBB46_292:
	;; [unrolled: 13-line block ×6, first 2 shown]
	s_or_b64 exec, exec, s[2:3]
	s_waitcnt lgkmcnt(1)
	v_mov_b32_e32 v1, v3
	v_or_b32_e32 v3, 0x1700, v0
	v_cmp_gt_u32_e64 s[2:3], s33, v3
	s_branch .LBB46_303
.LBB46_301:
	s_mov_b64 s[2:3], 0
                                        ; implicit-def: $vgpr13
	s_cbranch_execz .LBB46_303
; %bb.302:
	s_mov_b32 s4, 0x5040100
	v_perm_b32 v10, v10, v9, s4
	v_perm_b32 v9, v8, v7, s4
	;; [unrolled: 1-line block ×7, first 2 shown]
	s_waitcnt lgkmcnt(0)
	s_barrier
	v_perm_b32 v11, v56, v11, s4
	ds_write_b128 v12, v[4:7] offset:16
	v_perm_b32 v7, v73, v71, s4
	v_perm_b32 v6, v70, v69, s4
	;; [unrolled: 1-line block ×4, first 2 shown]
	s_movk_i32 s4, 0xffd2
	v_mov_b32_e32 v1, 0
	v_mad_i32_i24 v3, v0, s4, v12
	ds_write_b128 v12, v[8:11]
	ds_write_b128 v12, v[4:7] offset:32
	s_waitcnt lgkmcnt(0)
	s_barrier
	ds_read_u16 v6, v3
	ds_read_u16 v7, v3 offset:512
	ds_read_u16 v8, v3 offset:1024
	;; [unrolled: 1-line block ×23, first 2 shown]
	v_mov_b32_e32 v3, v1
	v_lshl_add_u64 v[4:5], s[0:1], 0, v[2:3]
	s_movk_i32 s4, 0x1000
	s_waitcnt lgkmcnt(14)
	global_store_short v2, v6, s[0:1]
	global_store_short v2, v7, s[0:1] offset:512
	global_store_short v2, v8, s[0:1] offset:1024
	;; [unrolled: 1-line block ×7, first 2 shown]
	v_add_co_u32_e32 v2, vcc, s4, v4
	s_or_b64 s[2:3], s[2:3], exec
	s_nop 0
	v_addc_co_u32_e32 v3, vcc, 0, v5, vcc
	global_store_short v[2:3], v15, off
	global_store_short v[2:3], v16, off offset:512
	s_waitcnt lgkmcnt(13)
	global_store_short v[2:3], v17, off offset:1024
	s_waitcnt lgkmcnt(12)
	;; [unrolled: 2-line block ×6, first 2 shown]
	global_store_short v[2:3], v22, off offset:3584
	v_add_co_u32_e32 v2, vcc, 0x2000, v4
	s_nop 1
	v_addc_co_u32_e32 v3, vcc, 0, v5, vcc
	s_waitcnt lgkmcnt(7)
	global_store_short v[2:3], v23, off
	s_waitcnt lgkmcnt(6)
	global_store_short v[2:3], v24, off offset:512
	s_waitcnt lgkmcnt(5)
	global_store_short v[2:3], v25, off offset:1024
	;; [unrolled: 2-line block ×6, first 2 shown]
.LBB46_303:
	s_and_saveexec_b64 s[4:5], s[2:3]
	s_cbranch_execz .LBB46_305
; %bb.304:
	v_lshl_add_u64 v[0:1], v[0:1], 1, s[0:1]
	v_add_co_u32_e32 v0, vcc, 0x2000, v0
	s_nop 1
	v_addc_co_u32_e32 v1, vcc, 0, v1, vcc
	s_waitcnt lgkmcnt(0)
	global_store_short v[0:1], v13, off offset:3584
	s_endpgm
.LBB46_305:
	s_endpgm
	.section	.rodata,"a",@progbits
	.p2align	6, 0x0
	.amdhsa_kernel _ZN7rocprim6detail25device_scan_by_key_kernelILNS0_25lookback_scan_determinismE0ELb0ENS0_26wrapped_scan_by_key_configINS_14default_configEi6__halfEEPiN6hipcub22TransformInputIteratorIS5_NS8_6CastOpIS5_EEPS5_lEESC_S5_NS8_8EqualityENS8_3SumENS0_19lookback_scan_stateINS_5tupleIJS5_bEEELb0ELb1EEES5_EEvT2_T3_T4_T5_T6_T7_T8_mmmPKNSH_IJT9_bEEE
		.amdhsa_group_segment_fixed_size 26624
		.amdhsa_private_segment_fixed_size 0
		.amdhsa_kernarg_size 80
		.amdhsa_user_sgpr_count 2
		.amdhsa_user_sgpr_dispatch_ptr 0
		.amdhsa_user_sgpr_queue_ptr 0
		.amdhsa_user_sgpr_kernarg_segment_ptr 1
		.amdhsa_user_sgpr_dispatch_id 0
		.amdhsa_user_sgpr_kernarg_preload_length 0
		.amdhsa_user_sgpr_kernarg_preload_offset 0
		.amdhsa_user_sgpr_private_segment_size 0
		.amdhsa_uses_dynamic_stack 0
		.amdhsa_enable_private_segment 0
		.amdhsa_system_sgpr_workgroup_id_x 1
		.amdhsa_system_sgpr_workgroup_id_y 0
		.amdhsa_system_sgpr_workgroup_id_z 0
		.amdhsa_system_sgpr_workgroup_info 0
		.amdhsa_system_vgpr_workitem_id 0
		.amdhsa_next_free_vgpr 77
		.amdhsa_next_free_sgpr 100
		.amdhsa_accum_offset 80
		.amdhsa_reserve_vcc 1
		.amdhsa_float_round_mode_32 0
		.amdhsa_float_round_mode_16_64 0
		.amdhsa_float_denorm_mode_32 3
		.amdhsa_float_denorm_mode_16_64 3
		.amdhsa_dx10_clamp 1
		.amdhsa_ieee_mode 1
		.amdhsa_fp16_overflow 0
		.amdhsa_tg_split 0
		.amdhsa_exception_fp_ieee_invalid_op 0
		.amdhsa_exception_fp_denorm_src 0
		.amdhsa_exception_fp_ieee_div_zero 0
		.amdhsa_exception_fp_ieee_overflow 0
		.amdhsa_exception_fp_ieee_underflow 0
		.amdhsa_exception_fp_ieee_inexact 0
		.amdhsa_exception_int_div_zero 0
	.end_amdhsa_kernel
	.section	.text._ZN7rocprim6detail25device_scan_by_key_kernelILNS0_25lookback_scan_determinismE0ELb0ENS0_26wrapped_scan_by_key_configINS_14default_configEi6__halfEEPiN6hipcub22TransformInputIteratorIS5_NS8_6CastOpIS5_EEPS5_lEESC_S5_NS8_8EqualityENS8_3SumENS0_19lookback_scan_stateINS_5tupleIJS5_bEEELb0ELb1EEES5_EEvT2_T3_T4_T5_T6_T7_T8_mmmPKNSH_IJT9_bEEE,"axG",@progbits,_ZN7rocprim6detail25device_scan_by_key_kernelILNS0_25lookback_scan_determinismE0ELb0ENS0_26wrapped_scan_by_key_configINS_14default_configEi6__halfEEPiN6hipcub22TransformInputIteratorIS5_NS8_6CastOpIS5_EEPS5_lEESC_S5_NS8_8EqualityENS8_3SumENS0_19lookback_scan_stateINS_5tupleIJS5_bEEELb0ELb1EEES5_EEvT2_T3_T4_T5_T6_T7_T8_mmmPKNSH_IJT9_bEEE,comdat
.Lfunc_end46:
	.size	_ZN7rocprim6detail25device_scan_by_key_kernelILNS0_25lookback_scan_determinismE0ELb0ENS0_26wrapped_scan_by_key_configINS_14default_configEi6__halfEEPiN6hipcub22TransformInputIteratorIS5_NS8_6CastOpIS5_EEPS5_lEESC_S5_NS8_8EqualityENS8_3SumENS0_19lookback_scan_stateINS_5tupleIJS5_bEEELb0ELb1EEES5_EEvT2_T3_T4_T5_T6_T7_T8_mmmPKNSH_IJT9_bEEE, .Lfunc_end46-_ZN7rocprim6detail25device_scan_by_key_kernelILNS0_25lookback_scan_determinismE0ELb0ENS0_26wrapped_scan_by_key_configINS_14default_configEi6__halfEEPiN6hipcub22TransformInputIteratorIS5_NS8_6CastOpIS5_EEPS5_lEESC_S5_NS8_8EqualityENS8_3SumENS0_19lookback_scan_stateINS_5tupleIJS5_bEEELb0ELb1EEES5_EEvT2_T3_T4_T5_T6_T7_T8_mmmPKNSH_IJT9_bEEE
                                        ; -- End function
	.section	.AMDGPU.csdata,"",@progbits
; Kernel info:
; codeLenInByte = 16048
; NumSgprs: 106
; NumVgprs: 77
; NumAgprs: 0
; TotalNumVgprs: 77
; ScratchSize: 0
; MemoryBound: 0
; FloatMode: 240
; IeeeMode: 1
; LDSByteSize: 26624 bytes/workgroup (compile time only)
; SGPRBlocks: 13
; VGPRBlocks: 9
; NumSGPRsForWavesPerEU: 106
; NumVGPRsForWavesPerEU: 77
; AccumOffset: 80
; Occupancy: 2
; WaveLimiterHint : 1
; COMPUTE_PGM_RSRC2:SCRATCH_EN: 0
; COMPUTE_PGM_RSRC2:USER_SGPR: 2
; COMPUTE_PGM_RSRC2:TRAP_HANDLER: 0
; COMPUTE_PGM_RSRC2:TGID_X_EN: 1
; COMPUTE_PGM_RSRC2:TGID_Y_EN: 0
; COMPUTE_PGM_RSRC2:TGID_Z_EN: 0
; COMPUTE_PGM_RSRC2:TIDIG_COMP_CNT: 0
; COMPUTE_PGM_RSRC3_GFX90A:ACCUM_OFFSET: 19
; COMPUTE_PGM_RSRC3_GFX90A:TG_SPLIT: 0
	.section	.text._ZN7rocprim6detail25device_scan_by_key_kernelILNS0_25lookback_scan_determinismE0ELb0ENS0_26wrapped_scan_by_key_configINS_14default_configEi6__halfEEPiN6hipcub22TransformInputIteratorIS5_NS8_6CastOpIS5_EEPS5_lEESC_S5_NS8_8EqualityENS8_3MaxENS0_19lookback_scan_stateINS_5tupleIJS5_bEEELb1ELb1EEES5_EEvT2_T3_T4_T5_T6_T7_T8_mmmPKNSH_IJT9_bEEE,"axG",@progbits,_ZN7rocprim6detail25device_scan_by_key_kernelILNS0_25lookback_scan_determinismE0ELb0ENS0_26wrapped_scan_by_key_configINS_14default_configEi6__halfEEPiN6hipcub22TransformInputIteratorIS5_NS8_6CastOpIS5_EEPS5_lEESC_S5_NS8_8EqualityENS8_3MaxENS0_19lookback_scan_stateINS_5tupleIJS5_bEEELb1ELb1EEES5_EEvT2_T3_T4_T5_T6_T7_T8_mmmPKNSH_IJT9_bEEE,comdat
	.protected	_ZN7rocprim6detail25device_scan_by_key_kernelILNS0_25lookback_scan_determinismE0ELb0ENS0_26wrapped_scan_by_key_configINS_14default_configEi6__halfEEPiN6hipcub22TransformInputIteratorIS5_NS8_6CastOpIS5_EEPS5_lEESC_S5_NS8_8EqualityENS8_3MaxENS0_19lookback_scan_stateINS_5tupleIJS5_bEEELb1ELb1EEES5_EEvT2_T3_T4_T5_T6_T7_T8_mmmPKNSH_IJT9_bEEE ; -- Begin function _ZN7rocprim6detail25device_scan_by_key_kernelILNS0_25lookback_scan_determinismE0ELb0ENS0_26wrapped_scan_by_key_configINS_14default_configEi6__halfEEPiN6hipcub22TransformInputIteratorIS5_NS8_6CastOpIS5_EEPS5_lEESC_S5_NS8_8EqualityENS8_3MaxENS0_19lookback_scan_stateINS_5tupleIJS5_bEEELb1ELb1EEES5_EEvT2_T3_T4_T5_T6_T7_T8_mmmPKNSH_IJT9_bEEE
	.globl	_ZN7rocprim6detail25device_scan_by_key_kernelILNS0_25lookback_scan_determinismE0ELb0ENS0_26wrapped_scan_by_key_configINS_14default_configEi6__halfEEPiN6hipcub22TransformInputIteratorIS5_NS8_6CastOpIS5_EEPS5_lEESC_S5_NS8_8EqualityENS8_3MaxENS0_19lookback_scan_stateINS_5tupleIJS5_bEEELb1ELb1EEES5_EEvT2_T3_T4_T5_T6_T7_T8_mmmPKNSH_IJT9_bEEE
	.p2align	8
	.type	_ZN7rocprim6detail25device_scan_by_key_kernelILNS0_25lookback_scan_determinismE0ELb0ENS0_26wrapped_scan_by_key_configINS_14default_configEi6__halfEEPiN6hipcub22TransformInputIteratorIS5_NS8_6CastOpIS5_EEPS5_lEESC_S5_NS8_8EqualityENS8_3MaxENS0_19lookback_scan_stateINS_5tupleIJS5_bEEELb1ELb1EEES5_EEvT2_T3_T4_T5_T6_T7_T8_mmmPKNSH_IJT9_bEEE,@function
_ZN7rocprim6detail25device_scan_by_key_kernelILNS0_25lookback_scan_determinismE0ELb0ENS0_26wrapped_scan_by_key_configINS_14default_configEi6__halfEEPiN6hipcub22TransformInputIteratorIS5_NS8_6CastOpIS5_EEPS5_lEESC_S5_NS8_8EqualityENS8_3MaxENS0_19lookback_scan_stateINS_5tupleIJS5_bEEELb1ELb1EEES5_EEvT2_T3_T4_T5_T6_T7_T8_mmmPKNSH_IJT9_bEEE: ; @_ZN7rocprim6detail25device_scan_by_key_kernelILNS0_25lookback_scan_determinismE0ELb0ENS0_26wrapped_scan_by_key_configINS_14default_configEi6__halfEEPiN6hipcub22TransformInputIteratorIS5_NS8_6CastOpIS5_EEPS5_lEESC_S5_NS8_8EqualityENS8_3MaxENS0_19lookback_scan_stateINS_5tupleIJS5_bEEELb1ELb1EEES5_EEvT2_T3_T4_T5_T6_T7_T8_mmmPKNSH_IJT9_bEEE
; %bb.0:
	s_endpgm
	.section	.rodata,"a",@progbits
	.p2align	6, 0x0
	.amdhsa_kernel _ZN7rocprim6detail25device_scan_by_key_kernelILNS0_25lookback_scan_determinismE0ELb0ENS0_26wrapped_scan_by_key_configINS_14default_configEi6__halfEEPiN6hipcub22TransformInputIteratorIS5_NS8_6CastOpIS5_EEPS5_lEESC_S5_NS8_8EqualityENS8_3MaxENS0_19lookback_scan_stateINS_5tupleIJS5_bEEELb1ELb1EEES5_EEvT2_T3_T4_T5_T6_T7_T8_mmmPKNSH_IJT9_bEEE
		.amdhsa_group_segment_fixed_size 0
		.amdhsa_private_segment_fixed_size 0
		.amdhsa_kernarg_size 80
		.amdhsa_user_sgpr_count 2
		.amdhsa_user_sgpr_dispatch_ptr 0
		.amdhsa_user_sgpr_queue_ptr 0
		.amdhsa_user_sgpr_kernarg_segment_ptr 1
		.amdhsa_user_sgpr_dispatch_id 0
		.amdhsa_user_sgpr_kernarg_preload_length 0
		.amdhsa_user_sgpr_kernarg_preload_offset 0
		.amdhsa_user_sgpr_private_segment_size 0
		.amdhsa_uses_dynamic_stack 0
		.amdhsa_enable_private_segment 0
		.amdhsa_system_sgpr_workgroup_id_x 1
		.amdhsa_system_sgpr_workgroup_id_y 0
		.amdhsa_system_sgpr_workgroup_id_z 0
		.amdhsa_system_sgpr_workgroup_info 0
		.amdhsa_system_vgpr_workitem_id 0
		.amdhsa_next_free_vgpr 1
		.amdhsa_next_free_sgpr 0
		.amdhsa_accum_offset 4
		.amdhsa_reserve_vcc 0
		.amdhsa_float_round_mode_32 0
		.amdhsa_float_round_mode_16_64 0
		.amdhsa_float_denorm_mode_32 3
		.amdhsa_float_denorm_mode_16_64 3
		.amdhsa_dx10_clamp 1
		.amdhsa_ieee_mode 1
		.amdhsa_fp16_overflow 0
		.amdhsa_tg_split 0
		.amdhsa_exception_fp_ieee_invalid_op 0
		.amdhsa_exception_fp_denorm_src 0
		.amdhsa_exception_fp_ieee_div_zero 0
		.amdhsa_exception_fp_ieee_overflow 0
		.amdhsa_exception_fp_ieee_underflow 0
		.amdhsa_exception_fp_ieee_inexact 0
		.amdhsa_exception_int_div_zero 0
	.end_amdhsa_kernel
	.section	.text._ZN7rocprim6detail25device_scan_by_key_kernelILNS0_25lookback_scan_determinismE0ELb0ENS0_26wrapped_scan_by_key_configINS_14default_configEi6__halfEEPiN6hipcub22TransformInputIteratorIS5_NS8_6CastOpIS5_EEPS5_lEESC_S5_NS8_8EqualityENS8_3MaxENS0_19lookback_scan_stateINS_5tupleIJS5_bEEELb1ELb1EEES5_EEvT2_T3_T4_T5_T6_T7_T8_mmmPKNSH_IJT9_bEEE,"axG",@progbits,_ZN7rocprim6detail25device_scan_by_key_kernelILNS0_25lookback_scan_determinismE0ELb0ENS0_26wrapped_scan_by_key_configINS_14default_configEi6__halfEEPiN6hipcub22TransformInputIteratorIS5_NS8_6CastOpIS5_EEPS5_lEESC_S5_NS8_8EqualityENS8_3MaxENS0_19lookback_scan_stateINS_5tupleIJS5_bEEELb1ELb1EEES5_EEvT2_T3_T4_T5_T6_T7_T8_mmmPKNSH_IJT9_bEEE,comdat
.Lfunc_end47:
	.size	_ZN7rocprim6detail25device_scan_by_key_kernelILNS0_25lookback_scan_determinismE0ELb0ENS0_26wrapped_scan_by_key_configINS_14default_configEi6__halfEEPiN6hipcub22TransformInputIteratorIS5_NS8_6CastOpIS5_EEPS5_lEESC_S5_NS8_8EqualityENS8_3MaxENS0_19lookback_scan_stateINS_5tupleIJS5_bEEELb1ELb1EEES5_EEvT2_T3_T4_T5_T6_T7_T8_mmmPKNSH_IJT9_bEEE, .Lfunc_end47-_ZN7rocprim6detail25device_scan_by_key_kernelILNS0_25lookback_scan_determinismE0ELb0ENS0_26wrapped_scan_by_key_configINS_14default_configEi6__halfEEPiN6hipcub22TransformInputIteratorIS5_NS8_6CastOpIS5_EEPS5_lEESC_S5_NS8_8EqualityENS8_3MaxENS0_19lookback_scan_stateINS_5tupleIJS5_bEEELb1ELb1EEES5_EEvT2_T3_T4_T5_T6_T7_T8_mmmPKNSH_IJT9_bEEE
                                        ; -- End function
	.section	.AMDGPU.csdata,"",@progbits
; Kernel info:
; codeLenInByte = 4
; NumSgprs: 6
; NumVgprs: 0
; NumAgprs: 0
; TotalNumVgprs: 0
; ScratchSize: 0
; MemoryBound: 0
; FloatMode: 240
; IeeeMode: 1
; LDSByteSize: 0 bytes/workgroup (compile time only)
; SGPRBlocks: 0
; VGPRBlocks: 0
; NumSGPRsForWavesPerEU: 6
; NumVGPRsForWavesPerEU: 1
; AccumOffset: 4
; Occupancy: 8
; WaveLimiterHint : 0
; COMPUTE_PGM_RSRC2:SCRATCH_EN: 0
; COMPUTE_PGM_RSRC2:USER_SGPR: 2
; COMPUTE_PGM_RSRC2:TRAP_HANDLER: 0
; COMPUTE_PGM_RSRC2:TGID_X_EN: 1
; COMPUTE_PGM_RSRC2:TGID_Y_EN: 0
; COMPUTE_PGM_RSRC2:TGID_Z_EN: 0
; COMPUTE_PGM_RSRC2:TIDIG_COMP_CNT: 0
; COMPUTE_PGM_RSRC3_GFX90A:ACCUM_OFFSET: 0
; COMPUTE_PGM_RSRC3_GFX90A:TG_SPLIT: 0
	.section	.text._ZN7rocprim6detail25device_scan_by_key_kernelILNS0_25lookback_scan_determinismE0ELb0ENS0_26wrapped_scan_by_key_configINS_14default_configEi6__halfEEPiN6hipcub22TransformInputIteratorIS5_NS8_6CastOpIS5_EEPS5_lEESC_S5_NS8_8EqualityENS8_3MaxENS0_19lookback_scan_stateINS_5tupleIJS5_bEEELb0ELb1EEES5_EEvT2_T3_T4_T5_T6_T7_T8_mmmPKNSH_IJT9_bEEE,"axG",@progbits,_ZN7rocprim6detail25device_scan_by_key_kernelILNS0_25lookback_scan_determinismE0ELb0ENS0_26wrapped_scan_by_key_configINS_14default_configEi6__halfEEPiN6hipcub22TransformInputIteratorIS5_NS8_6CastOpIS5_EEPS5_lEESC_S5_NS8_8EqualityENS8_3MaxENS0_19lookback_scan_stateINS_5tupleIJS5_bEEELb0ELb1EEES5_EEvT2_T3_T4_T5_T6_T7_T8_mmmPKNSH_IJT9_bEEE,comdat
	.protected	_ZN7rocprim6detail25device_scan_by_key_kernelILNS0_25lookback_scan_determinismE0ELb0ENS0_26wrapped_scan_by_key_configINS_14default_configEi6__halfEEPiN6hipcub22TransformInputIteratorIS5_NS8_6CastOpIS5_EEPS5_lEESC_S5_NS8_8EqualityENS8_3MaxENS0_19lookback_scan_stateINS_5tupleIJS5_bEEELb0ELb1EEES5_EEvT2_T3_T4_T5_T6_T7_T8_mmmPKNSH_IJT9_bEEE ; -- Begin function _ZN7rocprim6detail25device_scan_by_key_kernelILNS0_25lookback_scan_determinismE0ELb0ENS0_26wrapped_scan_by_key_configINS_14default_configEi6__halfEEPiN6hipcub22TransformInputIteratorIS5_NS8_6CastOpIS5_EEPS5_lEESC_S5_NS8_8EqualityENS8_3MaxENS0_19lookback_scan_stateINS_5tupleIJS5_bEEELb0ELb1EEES5_EEvT2_T3_T4_T5_T6_T7_T8_mmmPKNSH_IJT9_bEEE
	.globl	_ZN7rocprim6detail25device_scan_by_key_kernelILNS0_25lookback_scan_determinismE0ELb0ENS0_26wrapped_scan_by_key_configINS_14default_configEi6__halfEEPiN6hipcub22TransformInputIteratorIS5_NS8_6CastOpIS5_EEPS5_lEESC_S5_NS8_8EqualityENS8_3MaxENS0_19lookback_scan_stateINS_5tupleIJS5_bEEELb0ELb1EEES5_EEvT2_T3_T4_T5_T6_T7_T8_mmmPKNSH_IJT9_bEEE
	.p2align	8
	.type	_ZN7rocprim6detail25device_scan_by_key_kernelILNS0_25lookback_scan_determinismE0ELb0ENS0_26wrapped_scan_by_key_configINS_14default_configEi6__halfEEPiN6hipcub22TransformInputIteratorIS5_NS8_6CastOpIS5_EEPS5_lEESC_S5_NS8_8EqualityENS8_3MaxENS0_19lookback_scan_stateINS_5tupleIJS5_bEEELb0ELb1EEES5_EEvT2_T3_T4_T5_T6_T7_T8_mmmPKNSH_IJT9_bEEE,@function
_ZN7rocprim6detail25device_scan_by_key_kernelILNS0_25lookback_scan_determinismE0ELb0ENS0_26wrapped_scan_by_key_configINS_14default_configEi6__halfEEPiN6hipcub22TransformInputIteratorIS5_NS8_6CastOpIS5_EEPS5_lEESC_S5_NS8_8EqualityENS8_3MaxENS0_19lookback_scan_stateINS_5tupleIJS5_bEEELb0ELb1EEES5_EEvT2_T3_T4_T5_T6_T7_T8_mmmPKNSH_IJT9_bEEE: ; @_ZN7rocprim6detail25device_scan_by_key_kernelILNS0_25lookback_scan_determinismE0ELb0ENS0_26wrapped_scan_by_key_configINS_14default_configEi6__halfEEPiN6hipcub22TransformInputIteratorIS5_NS8_6CastOpIS5_EEPS5_lEESC_S5_NS8_8EqualityENS8_3MaxENS0_19lookback_scan_stateINS_5tupleIJS5_bEEELb0ELb1EEES5_EEvT2_T3_T4_T5_T6_T7_T8_mmmPKNSH_IJT9_bEEE
; %bb.0:
	s_load_dwordx4 s[4:7], s[0:1], 0x0
	s_load_dwordx8 s[68:75], s[0:1], 0x28
	s_load_dwordx2 s[96:97], s[0:1], 0x48
	s_mul_i32 s8, s2, 0x1800
	s_mov_b32 s9, 0
	s_lshl_b64 s[10:11], s[8:9], 2
	s_waitcnt lgkmcnt(0)
	s_add_u32 s56, s4, s10
	s_addc_u32 s57, s5, s11
	s_lshl_b64 s[94:95], s[8:9], 1
	s_add_u32 s54, s6, s94
	s_addc_u32 s55, s7, s95
	s_add_u32 s4, s2, s72
	s_addc_u32 s5, 0, s73
	s_add_u32 s6, s74, -1
	s_addc_u32 s7, s75, -1
	v_mov_b64_e32 v[2:3], s[6:7]
	v_cmp_ge_u64_e64 s[74:75], s[4:5], v[2:3]
	s_mov_b64 s[10:11], -1
	s_and_b64 vcc, exec, s[74:75]
	s_mul_i32 s33, s6, 0xffffe800
	s_cbranch_vccz .LBB48_124
; %bb.1:
	s_load_dword s3, s[56:57], 0x0
	s_add_i32 s64, s33, s70
	v_mov_b32_e32 v3, 0
	v_lshlrev_b32_e32 v2, 2, v0
	v_lshl_add_u64 v[4:5], s[56:57], 0, v[2:3]
	v_cmp_gt_u32_e64 s[4:5], s64, v0
	s_waitcnt lgkmcnt(0)
	v_mov_b32_e32 v1, s3
	s_and_saveexec_b64 s[6:7], s[4:5]
	s_cbranch_execz .LBB48_3
; %bb.2:
	global_load_dword v1, v[4:5], off
.LBB48_3:
	s_or_b64 exec, exec, s[6:7]
	v_or_b32_e32 v3, 0x100, v0
	v_cmp_gt_u32_e64 s[6:7], s64, v3
	v_mov_b32_e32 v3, s3
	s_and_saveexec_b64 s[8:9], s[6:7]
	s_cbranch_execz .LBB48_5
; %bb.4:
	global_load_dword v3, v[4:5], off offset:1024
.LBB48_5:
	s_or_b64 exec, exec, s[8:9]
	v_or_b32_e32 v6, 0x200, v0
	v_cmp_gt_u32_e64 s[8:9], s64, v6
	v_mov_b32_e32 v6, s3
	s_and_saveexec_b64 s[10:11], s[8:9]
	s_cbranch_execz .LBB48_7
; %bb.6:
	global_load_dword v6, v[4:5], off offset:2048
.LBB48_7:
	;; [unrolled: 9-line block ×3, first 2 shown]
	s_or_b64 exec, exec, s[12:13]
	v_or_b32_e32 v8, 0x400, v0
	v_cmp_gt_u32_e64 s[12:13], s64, v8
	v_mov_b32_e32 v8, s3
	s_and_saveexec_b64 s[14:15], s[12:13]
	s_cbranch_execz .LBB48_11
; %bb.10:
	v_add_co_u32_e32 v8, vcc, 0x1000, v4
	s_nop 1
	v_addc_co_u32_e32 v9, vcc, 0, v5, vcc
	global_load_dword v8, v[8:9], off
.LBB48_11:
	s_or_b64 exec, exec, s[14:15]
	v_or_b32_e32 v9, 0x500, v0
	v_cmp_gt_u32_e64 s[14:15], s64, v9
	v_mov_b32_e32 v9, s3
	s_and_saveexec_b64 s[16:17], s[14:15]
	s_cbranch_execz .LBB48_13
; %bb.12:
	v_add_co_u32_e32 v10, vcc, 0x1000, v4
	s_nop 1
	v_addc_co_u32_e32 v11, vcc, 0, v5, vcc
	global_load_dword v9, v[10:11], off offset:1024
.LBB48_13:
	s_or_b64 exec, exec, s[16:17]
	v_or_b32_e32 v10, 0x600, v0
	v_cmp_gt_u32_e64 s[16:17], s64, v10
	v_mov_b32_e32 v10, s3
	s_and_saveexec_b64 s[18:19], s[16:17]
	s_cbranch_execz .LBB48_15
; %bb.14:
	v_add_co_u32_e32 v10, vcc, 0x1000, v4
	s_nop 1
	v_addc_co_u32_e32 v11, vcc, 0, v5, vcc
	global_load_dword v10, v[10:11], off offset:2048
.LBB48_15:
	s_or_b64 exec, exec, s[18:19]
	v_or_b32_e32 v11, 0x700, v0
	v_cmp_gt_u32_e64 s[18:19], s64, v11
	v_mov_b32_e32 v11, s3
	s_and_saveexec_b64 s[20:21], s[18:19]
	s_cbranch_execz .LBB48_17
; %bb.16:
	v_add_co_u32_e32 v12, vcc, 0x1000, v4
	s_nop 1
	v_addc_co_u32_e32 v13, vcc, 0, v5, vcc
	global_load_dword v11, v[12:13], off offset:3072
.LBB48_17:
	s_or_b64 exec, exec, s[20:21]
	v_or_b32_e32 v12, 0x800, v0
	v_cmp_gt_u32_e64 s[20:21], s64, v12
	v_mov_b32_e32 v12, s3
	s_and_saveexec_b64 s[22:23], s[20:21]
	s_cbranch_execz .LBB48_19
; %bb.18:
	v_add_co_u32_e32 v12, vcc, 0x2000, v4
	s_nop 1
	v_addc_co_u32_e32 v13, vcc, 0, v5, vcc
	global_load_dword v12, v[12:13], off
.LBB48_19:
	s_or_b64 exec, exec, s[22:23]
	v_or_b32_e32 v13, 0x900, v0
	v_cmp_gt_u32_e64 s[22:23], s64, v13
	v_mov_b32_e32 v13, s3
	s_and_saveexec_b64 s[24:25], s[22:23]
	s_cbranch_execz .LBB48_21
; %bb.20:
	v_add_co_u32_e32 v14, vcc, 0x2000, v4
	s_nop 1
	v_addc_co_u32_e32 v15, vcc, 0, v5, vcc
	global_load_dword v13, v[14:15], off offset:1024
.LBB48_21:
	s_or_b64 exec, exec, s[24:25]
	v_or_b32_e32 v14, 0xa00, v0
	v_cmp_gt_u32_e64 s[24:25], s64, v14
	v_mov_b32_e32 v14, s3
	s_and_saveexec_b64 s[26:27], s[24:25]
	s_cbranch_execz .LBB48_23
; %bb.22:
	v_add_co_u32_e32 v14, vcc, 0x2000, v4
	s_nop 1
	v_addc_co_u32_e32 v15, vcc, 0, v5, vcc
	global_load_dword v14, v[14:15], off offset:2048
.LBB48_23:
	s_or_b64 exec, exec, s[26:27]
	v_or_b32_e32 v15, 0xb00, v0
	v_cmp_gt_u32_e64 s[26:27], s64, v15
	v_mov_b32_e32 v15, s3
	s_and_saveexec_b64 s[28:29], s[26:27]
	s_cbranch_execz .LBB48_25
; %bb.24:
	v_add_co_u32_e32 v16, vcc, 0x2000, v4
	s_nop 1
	v_addc_co_u32_e32 v17, vcc, 0, v5, vcc
	global_load_dword v15, v[16:17], off offset:3072
.LBB48_25:
	;; [unrolled: 48-line block ×5, first 2 shown]
	s_or_b64 exec, exec, s[58:59]
	s_sub_u32 s58, 0, s2
	s_subb_u32 s59, 0, 0
	s_cmp_eq_u64 s[58:59], s[72:73]
	s_movk_i32 s3, 0x5c
	s_cselect_b32 s58, 0, -4
	s_waitcnt vmcnt(0)
	ds_write2st64_b32 v2, v1, v3 offset1:4
	ds_write2st64_b32 v2, v6, v7 offset0:8 offset1:12
	ds_write2st64_b32 v2, v8, v9 offset0:16 offset1:20
	;; [unrolled: 1-line block ×11, first 2 shown]
	v_mad_u32_u24 v2, v0, s3, v2
	s_cselect_b32 s3, 0, -1
	s_add_u32 s58, s56, s58
	s_addc_u32 s59, s57, s3
	s_waitcnt lgkmcnt(0)
	s_barrier
	s_load_dword s3, s[58:59], 0x0
	ds_read2_b32 v[26:27], v2 offset0:7 offset1:12
	s_movk_i32 s58, 0xffa4
	v_mad_i32_i24 v1, v0, s58, v2
	v_cmp_ne_u32_e32 vcc, 0, v0
	s_waitcnt lgkmcnt(0)
	v_mov_b32_e32 v60, s3
	ds_read_b64 v[20:21], v2 offset:88
	ds_read2_b64 v[10:13], v2 offset0:9 offset1:10
	ds_read_b32 v58, v2 offset:68
	ds_read2_b32 v[22:23], v2 offset0:15 offset1:16
	ds_read2_b32 v[24:25], v2 offset0:13 offset1:14
	ds_read_b128 v[14:17], v2 offset:32
	ds_read2_b32 v[28:29], v2 offset0:5 offset1:6
	ds_read_b96 v[6:8], v2
	ds_read2_b32 v[30:31], v2 offset0:3 offset1:4
	s_waitcnt lgkmcnt(8)
	ds_write_b32 v1, v21 offset:24576
	s_waitcnt lgkmcnt(0)
	s_barrier
	s_and_saveexec_b64 s[58:59], vcc
	s_cbranch_execz .LBB48_51
; %bb.50:
	ds_read_b32 v60, v1 offset:24572
.LBB48_51:
	s_or_b64 exec, exec, s[58:59]
	v_lshlrev_b32_e32 v2, 1, v0
	v_mov_b32_e32 v3, 0
	v_lshl_add_u64 v[4:5], s[54:55], 0, v[2:3]
	s_waitcnt lgkmcnt(0)
	s_barrier
	s_waitcnt lgkmcnt(0)
                                        ; implicit-def: $vgpr3
	s_and_saveexec_b64 s[58:59], s[4:5]
	s_cbranch_execz .LBB48_201
; %bb.52:
	global_load_ushort v3, v[4:5], off
	s_or_b64 exec, exec, s[58:59]
                                        ; implicit-def: $vgpr9
	s_and_saveexec_b64 s[4:5], s[6:7]
	s_cbranch_execnz .LBB48_202
.LBB48_53:
	s_or_b64 exec, exec, s[4:5]
                                        ; implicit-def: $vgpr18
	s_and_saveexec_b64 s[4:5], s[8:9]
	s_cbranch_execz .LBB48_203
.LBB48_54:
	global_load_ushort v18, v[4:5], off offset:1024
	s_or_b64 exec, exec, s[4:5]
                                        ; implicit-def: $vgpr19
	s_and_saveexec_b64 s[4:5], s[10:11]
	s_cbranch_execnz .LBB48_204
.LBB48_55:
	s_or_b64 exec, exec, s[4:5]
                                        ; implicit-def: $vgpr32
	s_and_saveexec_b64 s[4:5], s[12:13]
	s_cbranch_execz .LBB48_205
.LBB48_56:
	global_load_ushort v32, v[4:5], off offset:2048
	s_or_b64 exec, exec, s[4:5]
                                        ; implicit-def: $vgpr33
	s_and_saveexec_b64 s[4:5], s[14:15]
	s_cbranch_execnz .LBB48_206
.LBB48_57:
	s_or_b64 exec, exec, s[4:5]
                                        ; implicit-def: $vgpr34
	s_and_saveexec_b64 s[4:5], s[16:17]
	s_cbranch_execz .LBB48_207
.LBB48_58:
	global_load_ushort v34, v[4:5], off offset:3072
	s_or_b64 exec, exec, s[4:5]
                                        ; implicit-def: $vgpr35
	s_and_saveexec_b64 s[4:5], s[18:19]
	s_cbranch_execnz .LBB48_208
.LBB48_59:
	s_or_b64 exec, exec, s[4:5]
                                        ; implicit-def: $vgpr36
	s_and_saveexec_b64 s[4:5], s[20:21]
	s_cbranch_execz .LBB48_209
.LBB48_60:
	v_add_co_u32_e32 v36, vcc, 0x1000, v4
	s_nop 1
	v_addc_co_u32_e32 v37, vcc, 0, v5, vcc
	global_load_ushort v36, v[36:37], off
	s_or_b64 exec, exec, s[4:5]
                                        ; implicit-def: $vgpr37
	s_and_saveexec_b64 s[4:5], s[22:23]
	s_cbranch_execnz .LBB48_210
.LBB48_61:
	s_or_b64 exec, exec, s[4:5]
                                        ; implicit-def: $vgpr38
	s_and_saveexec_b64 s[4:5], s[24:25]
	s_cbranch_execz .LBB48_211
.LBB48_62:
	v_add_co_u32_e32 v38, vcc, 0x1000, v4
	s_nop 1
	v_addc_co_u32_e32 v39, vcc, 0, v5, vcc
	global_load_ushort v38, v[38:39], off offset:1024
	s_or_b64 exec, exec, s[4:5]
                                        ; implicit-def: $vgpr39
	s_and_saveexec_b64 s[4:5], s[26:27]
	s_cbranch_execnz .LBB48_212
.LBB48_63:
	s_or_b64 exec, exec, s[4:5]
                                        ; implicit-def: $vgpr40
	s_and_saveexec_b64 s[4:5], s[28:29]
	s_cbranch_execz .LBB48_213
.LBB48_64:
	v_add_co_u32_e32 v40, vcc, 0x1000, v4
	s_nop 1
	v_addc_co_u32_e32 v41, vcc, 0, v5, vcc
	global_load_ushort v40, v[40:41], off offset:2048
	s_or_b64 exec, exec, s[4:5]
                                        ; implicit-def: $vgpr41
	s_and_saveexec_b64 s[4:5], s[30:31]
	s_cbranch_execnz .LBB48_214
.LBB48_65:
	s_or_b64 exec, exec, s[4:5]
                                        ; implicit-def: $vgpr42
	s_and_saveexec_b64 s[4:5], s[34:35]
	s_cbranch_execz .LBB48_215
.LBB48_66:
	v_add_co_u32_e32 v42, vcc, 0x1000, v4
	s_nop 1
	v_addc_co_u32_e32 v43, vcc, 0, v5, vcc
	global_load_ushort v42, v[42:43], off offset:3072
	s_or_b64 exec, exec, s[4:5]
                                        ; implicit-def: $vgpr43
	s_and_saveexec_b64 s[4:5], s[36:37]
	s_cbranch_execnz .LBB48_216
.LBB48_67:
	s_or_b64 exec, exec, s[4:5]
                                        ; implicit-def: $vgpr44
	s_and_saveexec_b64 s[4:5], s[38:39]
	s_cbranch_execz .LBB48_217
.LBB48_68:
	v_add_co_u32_e32 v44, vcc, 0x2000, v4
	s_nop 1
	v_addc_co_u32_e32 v45, vcc, 0, v5, vcc
	global_load_ushort v44, v[44:45], off
	s_or_b64 exec, exec, s[4:5]
                                        ; implicit-def: $vgpr45
	s_and_saveexec_b64 s[4:5], s[40:41]
	s_cbranch_execnz .LBB48_218
.LBB48_69:
	s_or_b64 exec, exec, s[4:5]
                                        ; implicit-def: $vgpr46
	s_and_saveexec_b64 s[4:5], s[42:43]
	s_cbranch_execz .LBB48_219
.LBB48_70:
	v_add_co_u32_e32 v46, vcc, 0x2000, v4
	s_nop 1
	v_addc_co_u32_e32 v47, vcc, 0, v5, vcc
	global_load_ushort v46, v[46:47], off offset:1024
	s_or_b64 exec, exec, s[4:5]
                                        ; implicit-def: $vgpr47
	s_and_saveexec_b64 s[4:5], s[44:45]
	s_cbranch_execnz .LBB48_220
.LBB48_71:
	s_or_b64 exec, exec, s[4:5]
                                        ; implicit-def: $vgpr48
	s_and_saveexec_b64 s[4:5], s[46:47]
	s_cbranch_execz .LBB48_221
.LBB48_72:
	v_add_co_u32_e32 v48, vcc, 0x2000, v4
	s_nop 1
	v_addc_co_u32_e32 v49, vcc, 0, v5, vcc
	global_load_ushort v48, v[48:49], off offset:2048
	s_or_b64 exec, exec, s[4:5]
                                        ; implicit-def: $vgpr49
	s_and_saveexec_b64 s[4:5], s[48:49]
	s_cbranch_execnz .LBB48_222
.LBB48_73:
	s_or_b64 exec, exec, s[4:5]
                                        ; implicit-def: $vgpr50
	s_and_saveexec_b64 s[4:5], s[50:51]
	s_cbranch_execz .LBB48_75
.LBB48_74:
	v_add_co_u32_e32 v50, vcc, 0x2000, v4
	s_nop 1
	v_addc_co_u32_e32 v51, vcc, 0, v5, vcc
	global_load_ushort v50, v[50:51], off offset:3072
.LBB48_75:
	s_or_b64 exec, exec, s[4:5]
	v_mul_u32_u24_e32 v59, 24, v0
                                        ; implicit-def: $vgpr51
	s_and_saveexec_b64 s[4:5], s[52:53]
	s_cbranch_execz .LBB48_77
; %bb.76:
	v_add_co_u32_e32 v4, vcc, 0x2000, v4
	s_nop 1
	v_addc_co_u32_e32 v5, vcc, 0, v5, vcc
	global_load_ushort v51, v[4:5], off offset:3584
.LBB48_77:
	s_or_b64 exec, exec, s[4:5]
	v_sub_u32_e32 v2, v1, v2
	s_waitcnt vmcnt(0)
	ds_write_b16 v2, v3
	ds_write_b16 v2, v9 offset:512
	ds_write_b16 v2, v18 offset:1024
	;; [unrolled: 1-line block ×23, first 2 shown]
	v_cmp_gt_u32_e32 vcc, s64, v59
	s_mov_b64 s[10:11], 0
	s_mov_b32 s3, 0
	v_mov_b32_e32 v32, 0
	v_mov_b32_e32 v51, 0
	;; [unrolled: 1-line block ×4, first 2 shown]
	s_mov_b64 s[8:9], 0
	v_mov_b32_e32 v38, 0
	v_mov_b32_e32 v40, 0
	;; [unrolled: 1-line block ×19, first 2 shown]
	s_waitcnt lgkmcnt(0)
	s_barrier
	s_waitcnt lgkmcnt(0)
                                        ; implicit-def: $sgpr6_sgpr7
                                        ; implicit-def: $vgpr18
                                        ; implicit-def: $vgpr9
                                        ; implicit-def: $vgpr5
                                        ; implicit-def: $vgpr49
                                        ; implicit-def: $vgpr52
                                        ; implicit-def: $vgpr53
                                        ; implicit-def: $vgpr55
                                        ; implicit-def: $vgpr57
	s_and_saveexec_b64 s[12:13], vcc
	s_cbranch_execz .LBB48_123
; %bb.78:
	v_mad_u32_u24 v1, v0, 46, v2
	ds_read_u16 v1, v1
	v_cmp_ne_u32_e32 vcc, v60, v6
	v_or_b32_e32 v3, 1, v59
	s_mov_b64 s[4:5], 0
	v_cndmask_b32_e64 v19, 0, 1, vcc
	v_cmp_gt_u32_e32 vcc, s64, v3
	v_mov_b32_e32 v32, 0
	v_mov_b32_e32 v51, 0
	v_mov_b32_e32 v35, 0
	v_mov_b32_e32 v38, 0
	v_mov_b32_e32 v40, 0
	v_mov_b32_e32 v42, 0
	v_mov_b32_e32 v43, 0
	v_mov_b32_e32 v45, 0
	v_mov_b32_e32 v46, 0
	v_mov_b32_e32 v48, 0
	v_mov_b32_e32 v50, 0
	v_mov_b32_e32 v54, 0
	v_mov_b32_e32 v56, 0
	v_mov_b32_e32 v47, 0
	v_mov_b32_e32 v44, 0
	v_mov_b32_e32 v41, 0
	v_mov_b32_e32 v33, 0
	v_mov_b32_e32 v36, 0
	v_mov_b32_e32 v34, 0
	v_mov_b32_e32 v39, 0
	v_mov_b32_e32 v37, 0
                                        ; implicit-def: $sgpr6_sgpr7
                                        ; implicit-def: $vgpr18
                                        ; implicit-def: $vgpr9
                                        ; implicit-def: $vgpr5
                                        ; implicit-def: $vgpr49
                                        ; implicit-def: $vgpr52
                                        ; implicit-def: $vgpr53
                                        ; implicit-def: $vgpr55
                                        ; implicit-def: $vgpr57
	s_and_saveexec_b64 s[14:15], vcc
	s_cbranch_execz .LBB48_122
; %bb.79:
	v_mul_u32_u24_e32 v3, 46, v0
	v_add_u32_e32 v60, v2, v3
	ds_read_b128 v[2:5], v60 offset:2
	v_or_b32_e32 v9, 2, v59
	v_cmp_ne_u32_e32 vcc, v6, v7
	v_mov_b32_e32 v32, 0
	v_mov_b32_e32 v51, 0
	v_cndmask_b32_e64 v35, 0, 1, vcc
	v_cmp_gt_u32_e32 vcc, s64, v9
	s_waitcnt lgkmcnt(0)
	v_and_b32_e32 v56, 0xffff, v2
	v_mov_b32_e32 v33, 0
	v_mov_b32_e32 v38, 0
	;; [unrolled: 1-line block ×17, first 2 shown]
                                        ; implicit-def: $sgpr6_sgpr7
                                        ; implicit-def: $vgpr18
                                        ; implicit-def: $vgpr9
                                        ; implicit-def: $vgpr49
                                        ; implicit-def: $vgpr52
                                        ; implicit-def: $vgpr53
                                        ; implicit-def: $vgpr55
                                        ; implicit-def: $vgpr57
	s_and_saveexec_b64 s[16:17], vcc
	s_cbranch_execz .LBB48_121
; %bb.80:
	v_or_b32_e32 v6, 3, v59
	v_cmp_ne_u32_e32 vcc, v7, v8
	v_mov_b32_e32 v32, 0
	v_mov_b32_e32 v51, 0
	v_cndmask_b32_e64 v33, 0, 1, vcc
	v_cmp_gt_u32_e32 vcc, s64, v6
	v_mov_b32_e32 v36, 0
	v_mov_b32_e32 v38, 0
	;; [unrolled: 1-line block ×16, first 2 shown]
                                        ; implicit-def: $sgpr6_sgpr7
                                        ; implicit-def: $vgpr18
                                        ; implicit-def: $vgpr9
                                        ; implicit-def: $vgpr49
                                        ; implicit-def: $vgpr52
                                        ; implicit-def: $vgpr53
                                        ; implicit-def: $vgpr55
                                        ; implicit-def: $vgpr57
	s_and_saveexec_b64 s[18:19], vcc
	s_cbranch_execz .LBB48_120
; %bb.81:
	v_or_b32_e32 v6, 4, v59
	v_cmp_ne_u32_e32 vcc, v8, v30
	v_and_b32_e32 v54, 0xffff, v3
	v_mov_b32_e32 v32, 0
	v_cndmask_b32_e64 v34, 0, 1, vcc
	v_cmp_gt_u32_e32 vcc, s64, v6
	v_mov_b32_e32 v51, 0
	v_mov_b32_e32 v36, 0
	;; [unrolled: 1-line block ×15, first 2 shown]
                                        ; implicit-def: $sgpr6_sgpr7
                                        ; implicit-def: $vgpr18
                                        ; implicit-def: $vgpr9
                                        ; implicit-def: $vgpr49
                                        ; implicit-def: $vgpr52
                                        ; implicit-def: $vgpr53
                                        ; implicit-def: $vgpr55
                                        ; implicit-def: $vgpr57
	s_and_saveexec_b64 s[20:21], vcc
	s_cbranch_execz .LBB48_119
; %bb.82:
	v_or_b32_e32 v6, 5, v59
	v_cmp_ne_u32_e64 s[8:9], v30, v31
	v_cmp_ne_u32_e32 vcc, v28, v29
	v_cmp_ne_u32_e64 s[4:5], v29, v26
	v_cmp_ne_u32_e64 s[6:7], v31, v28
	v_cndmask_b32_e64 v51, 0, 1, s[8:9]
	v_cmp_gt_u32_e64 s[8:9], s64, v6
	s_mov_b64 s[24:25], 0
	v_mov_b32_e32 v32, 0
	v_mov_b32_e32 v47, 0
	;; [unrolled: 1-line block ×15, first 2 shown]
                                        ; implicit-def: $sgpr26_sgpr27
                                        ; implicit-def: $vgpr18
                                        ; implicit-def: $vgpr9
                                        ; implicit-def: $vgpr49
                                        ; implicit-def: $vgpr52
                                        ; implicit-def: $vgpr53
                                        ; implicit-def: $vgpr55
                                        ; implicit-def: $vgpr57
	s_and_saveexec_b64 s[22:23], s[8:9]
	s_cbranch_execz .LBB48_118
; %bb.83:
	v_cndmask_b32_e64 v6, 0, 1, s[6:7]
	v_cndmask_b32_e64 v7, 0, 1, s[4:5]
	v_lshlrev_b16_e32 v6, 8, v6
	v_lshlrev_b16_e32 v7, 8, v7
	v_cndmask_b32_e64 v8, 0, 1, vcc
	v_or_b32_e32 v6, v51, v6
	v_or_b32_sdwa v7, v8, v7 dst_sel:WORD_1 dst_unused:UNUSED_PAD src0_sel:DWORD src1_sel:DWORD
	v_and_b32_e32 v50, 0xffff, v4
	v_or_b32_sdwa v49, v6, v7 dst_sel:DWORD dst_unused:UNUSED_PAD src0_sel:WORD_0 src1_sel:DWORD
	v_or_b32_e32 v6, 6, v59
	v_and_b32_e32 v51, 0xffff, v49
	v_cmp_gt_u32_e32 vcc, s64, v6
	s_mov_b64 s[4:5], 0
	v_mov_b32_e32 v32, 0
	v_mov_b32_e32 v47, 0
	;; [unrolled: 1-line block ×14, first 2 shown]
                                        ; implicit-def: $sgpr6_sgpr7
                                        ; implicit-def: $vgpr18
                                        ; implicit-def: $vgpr9
                                        ; implicit-def: $vgpr52
                                        ; implicit-def: $vgpr53
                                        ; implicit-def: $vgpr55
                                        ; implicit-def: $vgpr57
	s_and_saveexec_b64 s[24:25], vcc
	s_cbranch_execz .LBB48_117
; %bb.84:
	v_or_b32_e32 v6, 7, v59
	v_cmp_gt_u32_e32 vcc, s64, v6
	v_and_b32_e32 v51, 0xffffff, v49
	v_mov_b32_e32 v32, 0
	v_mov_b32_e32 v47, 0
	;; [unrolled: 1-line block ×14, first 2 shown]
                                        ; implicit-def: $sgpr6_sgpr7
                                        ; implicit-def: $vgpr18
                                        ; implicit-def: $vgpr9
                                        ; implicit-def: $vgpr52
                                        ; implicit-def: $vgpr53
                                        ; implicit-def: $vgpr55
                                        ; implicit-def: $vgpr57
	s_and_saveexec_b64 s[26:27], vcc
	s_cbranch_execz .LBB48_116
; %bb.85:
	v_add_u32_e32 v6, 8, v59
	v_cmp_gt_u32_e32 vcc, s64, v6
	v_and_b32_e32 v48, 0xffff, v5
	v_mov_b32_e32 v32, 0
	v_mov_b32_e32 v47, 0
	;; [unrolled: 1-line block ×13, first 2 shown]
                                        ; implicit-def: $sgpr6_sgpr7
                                        ; implicit-def: $vgpr18
                                        ; implicit-def: $vgpr9
                                        ; implicit-def: $vgpr52
                                        ; implicit-def: $vgpr53
                                        ; implicit-def: $vgpr55
                                        ; implicit-def: $vgpr57
	s_and_saveexec_b64 s[28:29], vcc
	s_cbranch_execz .LBB48_115
; %bb.86:
	v_add_u32_e32 v6, 9, v59
	v_cmp_ne_u32_e32 vcc, v26, v14
	v_mov_b32_e32 v32, 0
	v_mov_b32_e32 v47, 0
	v_cndmask_b32_e64 v37, 0, 1, vcc
	v_cmp_gt_u32_e32 vcc, s64, v6
	v_mov_b32_e32 v36, 0
	v_mov_b32_e32 v38, 0
	;; [unrolled: 1-line block ×10, first 2 shown]
                                        ; implicit-def: $sgpr6_sgpr7
                                        ; implicit-def: $vgpr18
                                        ; implicit-def: $vgpr9
                                        ; implicit-def: $vgpr52
                                        ; implicit-def: $vgpr53
                                        ; implicit-def: $vgpr55
                                        ; implicit-def: $vgpr57
	s_and_saveexec_b64 s[30:31], vcc
	s_cbranch_execz .LBB48_114
; %bb.87:
	ds_read_b128 v[6:9], v60 offset:18
	v_add_u32_e32 v18, 10, v59
	v_cmp_ne_u32_e64 s[8:9], v14, v15
	v_cmp_ne_u32_e32 vcc, v16, v17
	v_cmp_ne_u32_e64 s[4:5], v17, v27
	v_cmp_ne_u32_e64 s[6:7], v15, v16
	v_cndmask_b32_e64 v47, 0, 1, s[8:9]
	v_cmp_gt_u32_e64 s[8:9], s64, v18
	s_waitcnt lgkmcnt(0)
	v_and_b32_e32 v46, 0xffff, v6
	s_mov_b64 s[36:37], 0
	v_mov_b32_e32 v32, 0
	v_mov_b32_e32 v44, 0
	;; [unrolled: 1-line block ×10, first 2 shown]
                                        ; implicit-def: $sgpr38_sgpr39
                                        ; implicit-def: $vgpr18
                                        ; implicit-def: $vgpr52
                                        ; implicit-def: $vgpr53
                                        ; implicit-def: $vgpr55
                                        ; implicit-def: $vgpr57
	s_and_saveexec_b64 s[34:35], s[8:9]
	s_cbranch_execz .LBB48_113
; %bb.88:
	v_cndmask_b32_e64 v14, 0, 1, s[6:7]
	v_cndmask_b32_e64 v15, 0, 1, s[4:5]
	v_lshlrev_b16_e32 v14, 8, v14
	v_lshlrev_b16_e32 v15, 8, v15
	v_cndmask_b32_e64 v16, 0, 1, vcc
	v_or_b32_e32 v14, v47, v14
	v_or_b32_sdwa v15, v16, v15 dst_sel:WORD_1 dst_unused:UNUSED_PAD src0_sel:DWORD src1_sel:DWORD
	s_mov_b64 s[4:5], 0
	v_or_b32_sdwa v52, v14, v15 dst_sel:DWORD dst_unused:UNUSED_PAD src0_sel:WORD_0 src1_sel:DWORD
	v_add_u32_e32 v14, 11, v59
	v_and_b32_e32 v47, 0xffff, v52
	v_cmp_gt_u32_e32 vcc, s64, v14
	v_mov_b32_e32 v32, 0
	v_mov_b32_e32 v44, 0
	v_mov_b32_e32 v36, 0
	v_mov_b32_e32 v38, 0
	v_mov_b32_e32 v40, 0
	v_mov_b32_e32 v42, 0
	v_mov_b32_e32 v43, 0
	v_mov_b32_e32 v45, 0
	v_mov_b32_e32 v41, 0
	v_mov_b32_e32 v39, 0
                                        ; implicit-def: $sgpr6_sgpr7
                                        ; implicit-def: $vgpr18
                                        ; implicit-def: $vgpr53
                                        ; implicit-def: $vgpr55
                                        ; implicit-def: $vgpr57
	s_and_saveexec_b64 s[36:37], vcc
	s_cbranch_execz .LBB48_112
; %bb.89:
	v_add_u32_e32 v14, 12, v59
	v_cmp_gt_u32_e32 vcc, s64, v14
	v_and_b32_e32 v47, 0xffffff, v52
	v_and_b32_e32 v45, 0xffff, v7
	v_mov_b32_e32 v32, 0
	v_mov_b32_e32 v44, 0
	;; [unrolled: 1-line block ×9, first 2 shown]
                                        ; implicit-def: $sgpr6_sgpr7
                                        ; implicit-def: $vgpr18
                                        ; implicit-def: $vgpr53
                                        ; implicit-def: $vgpr55
                                        ; implicit-def: $vgpr57
	s_and_saveexec_b64 s[38:39], vcc
	s_cbranch_execz .LBB48_111
; %bb.90:
	v_add_u32_e32 v14, 13, v59
	v_cmp_gt_u32_e32 vcc, s64, v14
	v_mov_b32_e32 v32, 0
	v_mov_b32_e32 v44, 0
	;; [unrolled: 1-line block ×9, first 2 shown]
                                        ; implicit-def: $sgpr6_sgpr7
                                        ; implicit-def: $vgpr18
                                        ; implicit-def: $vgpr53
                                        ; implicit-def: $vgpr55
                                        ; implicit-def: $vgpr57
	s_and_saveexec_b64 s[40:41], vcc
	s_cbranch_execz .LBB48_110
; %bb.91:
	v_add_u32_e32 v14, 14, v59
	v_cmp_ne_u32_e32 vcc, v27, v24
	v_and_b32_e32 v43, 0xffff, v8
	v_mov_b32_e32 v32, 0
	v_cndmask_b32_e64 v39, 0, 1, vcc
	v_cmp_gt_u32_e32 vcc, s64, v14
	v_mov_b32_e32 v44, 0
	v_mov_b32_e32 v36, 0
	;; [unrolled: 1-line block ×6, first 2 shown]
                                        ; implicit-def: $sgpr6_sgpr7
                                        ; implicit-def: $vgpr18
                                        ; implicit-def: $vgpr53
                                        ; implicit-def: $vgpr55
                                        ; implicit-def: $vgpr57
	s_and_saveexec_b64 s[42:43], vcc
	s_cbranch_execz .LBB48_109
; %bb.92:
	v_add_u32_e32 v14, 15, v59
	v_cmp_ne_u32_e64 s[8:9], v24, v25
	v_cmp_ne_u32_e32 vcc, v22, v23
	v_cmp_ne_u32_e64 s[4:5], v23, v58
	v_cmp_ne_u32_e64 s[6:7], v25, v22
	v_cndmask_b32_e64 v44, 0, 1, s[8:9]
	v_cmp_gt_u32_e64 s[8:9], s64, v14
	s_mov_b64 s[46:47], 0
	v_mov_b32_e32 v32, 0
	v_mov_b32_e32 v41, 0
	;; [unrolled: 1-line block ×6, first 2 shown]
                                        ; implicit-def: $sgpr48_sgpr49
                                        ; implicit-def: $vgpr18
                                        ; implicit-def: $vgpr53
                                        ; implicit-def: $vgpr55
                                        ; implicit-def: $vgpr57
	s_and_saveexec_b64 s[44:45], s[8:9]
	s_cbranch_execz .LBB48_108
; %bb.93:
	v_cndmask_b32_e64 v14, 0, 1, s[6:7]
	v_cndmask_b32_e64 v15, 0, 1, s[4:5]
	v_lshlrev_b16_e32 v14, 8, v14
	v_lshlrev_b16_e32 v15, 8, v15
	v_cndmask_b32_e64 v16, 0, 1, vcc
	v_or_b32_e32 v14, v44, v14
	v_or_b32_sdwa v15, v16, v15 dst_sel:WORD_1 dst_unused:UNUSED_PAD src0_sel:DWORD src1_sel:DWORD
	v_and_b32_e32 v42, 0xffff, v9
	v_or_b32_sdwa v53, v14, v15 dst_sel:DWORD dst_unused:UNUSED_PAD src0_sel:WORD_0 src1_sel:DWORD
	v_add_u32_e32 v14, 16, v59
	v_and_b32_e32 v44, 0xffff, v53
	v_cmp_gt_u32_e32 vcc, s64, v14
	s_mov_b64 s[4:5], 0
	v_mov_b32_e32 v32, 0
	v_mov_b32_e32 v41, 0
	;; [unrolled: 1-line block ×5, first 2 shown]
                                        ; implicit-def: $sgpr6_sgpr7
                                        ; implicit-def: $vgpr18
                                        ; implicit-def: $vgpr55
                                        ; implicit-def: $vgpr57
	s_and_saveexec_b64 s[46:47], vcc
	s_cbranch_execz .LBB48_107
; %bb.94:
	v_add_u32_e32 v14, 17, v59
	v_cmp_gt_u32_e32 vcc, s64, v14
	v_and_b32_e32 v44, 0xffffff, v53
	v_mov_b32_e32 v32, 0
	v_mov_b32_e32 v41, 0
	;; [unrolled: 1-line block ×5, first 2 shown]
                                        ; implicit-def: $sgpr6_sgpr7
                                        ; implicit-def: $vgpr18
                                        ; implicit-def: $vgpr55
                                        ; implicit-def: $vgpr57
	s_and_saveexec_b64 s[48:49], vcc
	s_cbranch_execz .LBB48_106
; %bb.95:
	ds_read_b96 v[16:18], v60 offset:34
	v_add_u32_e32 v14, 18, v59
	v_mov_b32_e32 v32, 0
	v_cmp_gt_u32_e32 vcc, s64, v14
	v_mov_b32_e32 v41, 0
	s_waitcnt lgkmcnt(0)
	v_and_b32_e32 v40, 0xffff, v16
	v_mov_b32_e32 v36, 0
	v_mov_b32_e32 v38, 0
                                        ; implicit-def: $sgpr6_sgpr7
                                        ; implicit-def: $vgpr55
                                        ; implicit-def: $vgpr57
	s_and_saveexec_b64 s[50:51], vcc
	s_cbranch_execz .LBB48_105
; %bb.96:
	v_add_u32_e32 v14, 19, v59
	v_cmp_ne_u32_e32 vcc, v58, v10
	v_mov_b32_e32 v32, 0
	v_mov_b32_e32 v41, 0
	v_cndmask_b32_e64 v36, 0, 1, vcc
	v_cmp_gt_u32_e32 vcc, s64, v14
	v_mov_b32_e32 v38, 0
                                        ; implicit-def: $sgpr6_sgpr7
                                        ; implicit-def: $vgpr55
                                        ; implicit-def: $vgpr57
	s_and_saveexec_b64 s[52:53], vcc
	s_cbranch_execz .LBB48_104
; %bb.97:
	v_add_u32_e32 v14, 20, v59
	v_cmp_ne_u32_e64 s[8:9], v10, v11
	v_cmp_ne_u32_e32 vcc, v12, v13
	v_cmp_ne_u32_e64 s[4:5], v13, v20
	v_cmp_ne_u32_e64 s[6:7], v11, v12
	v_cndmask_b32_e64 v41, 0, 1, s[8:9]
	v_cmp_gt_u32_e64 s[8:9], s64, v14
	v_and_b32_e32 v38, 0xffff, v17
	s_mov_b64 s[60:61], 0
	v_mov_b32_e32 v32, 0
                                        ; implicit-def: $sgpr62_sgpr63
                                        ; implicit-def: $vgpr55
                                        ; implicit-def: $vgpr57
	s_and_saveexec_b64 s[58:59], s[8:9]
	s_cbranch_execz .LBB48_103
; %bb.98:
	v_cndmask_b32_e64 v10, 0, 1, s[6:7]
	v_cndmask_b32_e64 v11, 0, 1, s[4:5]
	v_lshlrev_b16_e32 v10, 8, v10
	v_lshlrev_b16_e32 v11, 8, v11
	v_cndmask_b32_e64 v12, 0, 1, vcc
	v_or_b32_e32 v10, v41, v10
	v_or_b32_sdwa v11, v12, v11 dst_sel:WORD_1 dst_unused:UNUSED_PAD src0_sel:DWORD src1_sel:DWORD
	s_mov_b64 s[4:5], 0
	v_or_b32_sdwa v55, v10, v11 dst_sel:DWORD dst_unused:UNUSED_PAD src0_sel:WORD_0 src1_sel:DWORD
	v_add_u32_e32 v10, 21, v59
	v_and_b32_e32 v41, 0xffff, v55
	v_cmp_gt_u32_e32 vcc, s64, v10
	v_mov_b32_e32 v32, 0
                                        ; implicit-def: $sgpr8_sgpr9
                                        ; implicit-def: $vgpr57
	s_and_saveexec_b64 s[6:7], vcc
	s_cbranch_execz .LBB48_102
; %bb.99:
	v_add_u32_e32 v10, 22, v59
	v_cmp_gt_u32_e32 vcc, s64, v10
	v_and_b32_e32 v41, 0xffffff, v55
	v_and_b32_e32 v32, 0xffff, v18
                                        ; implicit-def: $sgpr8_sgpr9
                                        ; implicit-def: $vgpr57
	s_and_saveexec_b64 s[60:61], vcc
	s_xor_b64 s[60:61], exec, s[60:61]
	s_cbranch_execz .LBB48_101
; %bb.100:
	ds_read_u16 v57, v60 offset:46
	v_add_u32_e32 v10, 23, v59
	v_cmp_ne_u32_e32 vcc, v20, v21
	v_cmp_gt_u32_e64 s[4:5], s64, v10
	s_and_b64 s[8:9], vcc, exec
	s_and_b64 s[4:5], s[4:5], exec
	v_mov_b32_e32 v32, v18
	v_mov_b32_e32 v41, v55
.LBB48_101:
	s_or_b64 exec, exec, s[60:61]
	s_and_b64 s[8:9], s[8:9], exec
	s_and_b64 s[4:5], s[4:5], exec
.LBB48_102:
	s_or_b64 exec, exec, s[6:7]
	s_and_b64 s[62:63], s[8:9], exec
	s_and_b64 s[60:61], s[4:5], exec
	v_mov_b32_e32 v38, v17
.LBB48_103:
	s_or_b64 exec, exec, s[58:59]
	s_and_b64 s[6:7], s[62:63], exec
	s_and_b64 s[4:5], s[60:61], exec
.LBB48_104:
	s_or_b64 exec, exec, s[52:53]
	s_and_b64 s[6:7], s[6:7], exec
	s_and_b64 s[4:5], s[4:5], exec
	v_mov_b32_e32 v40, v16
.LBB48_105:
	s_or_b64 exec, exec, s[50:51]
	s_and_b64 s[6:7], s[6:7], exec
	s_and_b64 s[4:5], s[4:5], exec
	v_mov_b32_e32 v44, v53
.LBB48_106:
	s_or_b64 exec, exec, s[48:49]
	s_and_b64 s[6:7], s[6:7], exec
	s_and_b64 s[4:5], s[4:5], exec
	v_mov_b32_e32 v42, v9
.LBB48_107:
	s_or_b64 exec, exec, s[46:47]
	s_and_b64 s[48:49], s[6:7], exec
	s_and_b64 s[46:47], s[4:5], exec
.LBB48_108:
	s_or_b64 exec, exec, s[44:45]
	s_and_b64 s[6:7], s[48:49], exec
	s_and_b64 s[4:5], s[46:47], exec
	v_mov_b32_e32 v43, v8
.LBB48_109:
	s_or_b64 exec, exec, s[42:43]
	s_and_b64 s[6:7], s[6:7], exec
	s_and_b64 s[4:5], s[4:5], exec
.LBB48_110:
	s_or_b64 exec, exec, s[40:41]
	s_and_b64 s[6:7], s[6:7], exec
	s_and_b64 s[4:5], s[4:5], exec
	v_mov_b32_e32 v45, v7
	v_mov_b32_e32 v47, v52
.LBB48_111:
	s_or_b64 exec, exec, s[38:39]
	s_and_b64 s[6:7], s[6:7], exec
	s_and_b64 s[4:5], s[4:5], exec
.LBB48_112:
	s_or_b64 exec, exec, s[36:37]
	s_and_b64 s[38:39], s[6:7], exec
	s_and_b64 s[36:37], s[4:5], exec
	v_mov_b32_e32 v46, v6
.LBB48_113:
	s_or_b64 exec, exec, s[34:35]
	s_and_b64 s[6:7], s[38:39], exec
	s_and_b64 s[4:5], s[36:37], exec
.LBB48_114:
	s_or_b64 exec, exec, s[30:31]
	s_and_b64 s[6:7], s[6:7], exec
	s_and_b64 s[4:5], s[4:5], exec
	v_mov_b32_e32 v48, v5
.LBB48_115:
	s_or_b64 exec, exec, s[28:29]
	s_and_b64 s[6:7], s[6:7], exec
	s_and_b64 s[4:5], s[4:5], exec
	v_mov_b32_e32 v51, v49
.LBB48_116:
	s_or_b64 exec, exec, s[26:27]
	s_and_b64 s[6:7], s[6:7], exec
	s_and_b64 s[4:5], s[4:5], exec
	v_mov_b32_e32 v50, v4
.LBB48_117:
	s_or_b64 exec, exec, s[24:25]
	s_and_b64 s[26:27], s[6:7], exec
	s_and_b64 s[24:25], s[4:5], exec
.LBB48_118:
	s_or_b64 exec, exec, s[22:23]
	s_and_b64 s[6:7], s[26:27], exec
	s_and_b64 s[4:5], s[24:25], exec
	v_mov_b32_e32 v54, v3
.LBB48_119:
	s_or_b64 exec, exec, s[20:21]
	s_and_b64 s[6:7], s[6:7], exec
	s_and_b64 s[4:5], s[4:5], exec
.LBB48_120:
	s_or_b64 exec, exec, s[18:19]
	s_and_b64 s[6:7], s[6:7], exec
	s_and_b64 s[4:5], s[4:5], exec
	v_mov_b32_e32 v56, v2
.LBB48_121:
	s_or_b64 exec, exec, s[16:17]
	s_and_b64 s[6:7], s[6:7], exec
	s_and_b64 s[4:5], s[4:5], exec
.LBB48_122:
	s_or_b64 exec, exec, s[14:15]
	s_and_b64 s[6:7], s[6:7], exec
	s_and_b64 s[8:9], s[4:5], exec
.LBB48_123:
	s_or_b64 exec, exec, s[12:13]
	s_mov_b32 s12, 0
	s_and_b64 vcc, exec, s[10:11]
	v_cmp_ne_u32_e64 s[4:5], 0, v0
	s_cbranch_vccnz .LBB48_125
	s_branch .LBB48_128
.LBB48_124:
	s_mov_b64 s[8:9], 0
                                        ; implicit-def: $sgpr6_sgpr7
                                        ; implicit-def: $vgpr18
                                        ; implicit-def: $vgpr9
                                        ; implicit-def: $vgpr5
                                        ; implicit-def: $vgpr49
                                        ; implicit-def: $vgpr52
                                        ; implicit-def: $vgpr53
                                        ; implicit-def: $vgpr55
                                        ; implicit-def: $vgpr57
                                        ; implicit-def: $vgpr19
                                        ; implicit-def: $vgpr1
                                        ; implicit-def: $vgpr35
                                        ; implicit-def: $vgpr33
                                        ; implicit-def: $vgpr36
                                        ; implicit-def: $vgpr34
                                        ; implicit-def: $vgpr39
                                        ; implicit-def: $vgpr37
                                        ; implicit-def: $vgpr32
                                        ; implicit-def: $vgpr38
                                        ; implicit-def: $vgpr40
                                        ; implicit-def: $vgpr42
                                        ; implicit-def: $vgpr43
                                        ; implicit-def: $vgpr45
                                        ; implicit-def: $vgpr46
                                        ; implicit-def: $vgpr48
                                        ; implicit-def: $vgpr50
                                        ; implicit-def: $vgpr54
                                        ; implicit-def: $vgpr56
                                        ; implicit-def: $vgpr51
                                        ; implicit-def: $vgpr47
                                        ; implicit-def: $vgpr44
                                        ; implicit-def: $vgpr41
                                        ; implicit-def: $sgpr12
                                        ; implicit-def: $sgpr3
	s_and_b64 vcc, exec, s[10:11]
	v_cmp_ne_u32_e64 s[4:5], 0, v0
	s_cbranch_vccz .LBB48_128
.LBB48_125:
	v_mov_b32_e32 v15, 0
	v_lshlrev_b32_e32 v14, 2, v0
	v_lshl_add_u64 v[2:3], s[56:57], 0, v[14:15]
	v_add_co_u32_e32 v4, vcc, 0x1000, v2
	global_load_dword v8, v14, s[56:57]
	global_load_dword v9, v14, s[56:57] offset:1024
	global_load_dword v10, v14, s[56:57] offset:2048
	;; [unrolled: 1-line block ×3, first 2 shown]
	v_addc_co_u32_e32 v5, vcc, 0, v3, vcc
	v_add_co_u32_e32 v6, vcc, 0x2000, v2
	s_movk_i32 s7, 0x5c
	s_nop 0
	v_addc_co_u32_e32 v7, vcc, 0, v3, vcc
	global_load_dword v12, v[4:5], off
	global_load_dword v13, v[4:5], off offset:1024
	global_load_dword v16, v[4:5], off offset:2048
	;; [unrolled: 1-line block ×3, first 2 shown]
	global_load_dword v18, v[6:7], off
	global_load_dword v19, v[6:7], off offset:1024
	global_load_dword v20, v[6:7], off offset:2048
	;; [unrolled: 1-line block ×3, first 2 shown]
	v_add_co_u32_e32 v4, vcc, 0x3000, v2
	s_sub_u32 s6, 0, s2
	s_nop 0
	v_addc_co_u32_e32 v5, vcc, 0, v3, vcc
	v_add_co_u32_e32 v6, vcc, 0x4000, v2
	v_mad_u32_u24 v30, v0, s7, v14
	s_nop 0
	v_addc_co_u32_e32 v7, vcc, 0, v3, vcc
	v_add_co_u32_e32 v2, vcc, 0x5000, v2
	global_load_dword v22, v[4:5], off
	global_load_dword v23, v[4:5], off offset:1024
	global_load_dword v24, v[4:5], off offset:2048
	global_load_dword v25, v[4:5], off offset:3072
	global_load_dword v26, v[6:7], off
	global_load_dword v27, v[6:7], off offset:1024
	global_load_dword v28, v[6:7], off offset:2048
	;; [unrolled: 1-line block ×3, first 2 shown]
	v_addc_co_u32_e32 v3, vcc, 0, v3, vcc
	global_load_dword v4, v[2:3], off
	global_load_dword v5, v[2:3], off offset:1024
	global_load_dword v6, v[2:3], off offset:2048
	;; [unrolled: 1-line block ×3, first 2 shown]
	s_subb_u32 s7, 0, 0
	s_cmp_eq_u64 s[6:7], s[72:73]
	s_cselect_b32 s6, 0, -4
	s_cselect_b32 s7, 0, -1
	s_add_u32 s6, s56, s6
	s_addc_u32 s7, s57, s7
	s_movk_i32 s9, 0xffa4
	s_movk_i32 s8, 0x1000
	;; [unrolled: 1-line block ×3, first 2 shown]
	s_waitcnt lgkmcnt(0)
	v_mad_i32_i24 v1, v0, s9, v30
	s_waitcnt vmcnt(22)
	ds_write2st64_b32 v14, v8, v9 offset1:4
	s_waitcnt vmcnt(20)
	ds_write2st64_b32 v14, v10, v11 offset0:8 offset1:12
	s_waitcnt vmcnt(18)
	ds_write2st64_b32 v14, v12, v13 offset0:16 offset1:20
	;; [unrolled: 2-line block ×11, first 2 shown]
	s_waitcnt lgkmcnt(0)
	s_barrier
	s_load_dword s6, s[6:7], 0x0
	ds_read2_b32 v[16:17], v30 offset0:7 offset1:12
	ds_read_b64 v[26:27], v30 offset:88
	ds_read2_b64 v[6:9], v30 offset0:9 offset1:10
	ds_read_b32 v28, v30 offset:68
	ds_read2_b32 v[24:25], v30 offset0:15 offset1:16
	ds_read2_b32 v[22:23], v30 offset0:13 offset1:14
	ds_read_b128 v[2:5], v30 offset:32
	ds_read2_b32 v[20:21], v30 offset0:5 offset1:6
	ds_read_b96 v[10:12], v30
	ds_read2_b32 v[18:19], v30 offset0:3 offset1:4
	s_waitcnt lgkmcnt(0)
	ds_write_b32 v1, v27 offset:24576
	s_waitcnt lgkmcnt(0)
	v_mov_b32_e32 v13, s6
	s_barrier
	s_and_saveexec_b64 s[6:7], s[4:5]
	s_cbranch_execz .LBB48_127
; %bb.126:
	ds_read_b32 v13, v1 offset:24572
.LBB48_127:
	s_or_b64 exec, exec, s[6:7]
	v_cmp_ne_u32_e32 vcc, v7, v8
	v_cmp_ne_u32_e64 s[6:7], v26, v27
	s_waitcnt lgkmcnt(0)
	v_cndmask_b32_e64 v14, 0, 1, vcc
	v_cmp_ne_u32_e32 vcc, v6, v7
	v_lshlrev_b16_e32 v14, 8, v14
	s_barrier
	v_cndmask_b32_e64 v7, 0, 1, vcc
	v_or_b32_e32 v7, v7, v14
	v_lshlrev_b32_e32 v14, 1, v0
	v_lshl_add_u64 v[30:31], s[54:55], 0, v[14:15]
	v_add_co_u32_e32 v32, vcc, s8, v30
	s_nop 1
	v_addc_co_u32_e32 v33, vcc, 0, v31, vcc
	v_add_co_u32_e32 v30, vcc, s3, v30
	global_load_ushort v15, v14, s[54:55]
	s_nop 0
	v_addc_co_u32_e32 v31, vcc, 0, v31, vcc
	global_load_ushort v27, v14, s[54:55] offset:512
	global_load_ushort v29, v14, s[54:55] offset:1024
	;; [unrolled: 1-line block ×7, first 2 shown]
	global_load_ushort v43, v[30:31], off offset:-4096
	global_load_ushort v44, v[32:33], off offset:512
	global_load_ushort v45, v[32:33], off offset:1024
	;; [unrolled: 1-line block ×7, first 2 shown]
                                        ; kill: killed $vgpr32 killed $vgpr33
                                        ; kill: killed $sgpr54 killed $sgpr55
	s_nop 0
	global_load_ushort v32, v[30:31], off
	global_load_ushort v54, v[30:31], off offset:512
	global_load_ushort v56, v[30:31], off offset:1024
	;; [unrolled: 1-line block ×7, first 2 shown]
	v_cmp_ne_u32_e32 vcc, v9, v26
	v_sub_u32_e32 v1, v1, v14
	s_mov_b64 s[8:9], -1
	v_cndmask_b32_e64 v26, 0, 1, vcc
	v_cmp_ne_u32_e32 vcc, v8, v9
	v_lshlrev_b16_e32 v26, 8, v26
                                        ; implicit-def: $sgpr12
                                        ; implicit-def: $sgpr3
	s_waitcnt vmcnt(23)
	ds_write_b16 v1, v15
	s_waitcnt vmcnt(22)
	ds_write_b16 v1, v27 offset:512
	s_waitcnt vmcnt(21)
	ds_write_b16 v1, v29 offset:1024
	;; [unrolled: 2-line block ×23, first 2 shown]
	v_cndmask_b32_e64 v8, 0, 1, vcc
	v_cmp_ne_u32_e32 vcc, v28, v6
	v_or_b32_sdwa v8, v8, v26 dst_sel:WORD_1 dst_unused:UNUSED_PAD src0_sel:DWORD src1_sel:DWORD
	s_waitcnt lgkmcnt(0)
	v_cndmask_b32_e64 v36, 0, 1, vcc
	v_cmp_ne_u32_e32 vcc, v23, v24
	v_or_b32_sdwa v55, v7, v8 dst_sel:DWORD dst_unused:UNUSED_PAD src0_sel:WORD_0 src1_sel:DWORD
	s_barrier
	v_cndmask_b32_e64 v6, 0, 1, vcc
	v_cmp_ne_u32_e32 vcc, v22, v23
	v_lshlrev_b16_e32 v6, 8, v6
	s_nop 0
	v_cndmask_b32_e64 v7, 0, 1, vcc
	v_cmp_ne_u32_e32 vcc, v25, v28
	v_or_b32_e32 v6, v7, v6
                                        ; implicit-def: $vgpr32
                                        ; implicit-def: $vgpr38
                                        ; implicit-def: $vgpr40
                                        ; implicit-def: $vgpr42
                                        ; implicit-def: $vgpr43
                                        ; implicit-def: $vgpr45
                                        ; implicit-def: $vgpr46
                                        ; implicit-def: $vgpr48
                                        ; implicit-def: $vgpr50
                                        ; implicit-def: $vgpr54
                                        ; implicit-def: $vgpr56
                                        ; implicit-def: $vgpr51
                                        ; implicit-def: $vgpr47
                                        ; implicit-def: $vgpr44
                                        ; implicit-def: $vgpr41
	s_nop 0
	v_cndmask_b32_e64 v7, 0, 1, vcc
	v_cmp_ne_u32_e32 vcc, v24, v25
	v_lshlrev_b16_e32 v7, 8, v7
	s_nop 0
	v_cndmask_b32_e64 v8, 0, 1, vcc
	v_cmp_ne_u32_e32 vcc, v17, v22
	v_or_b32_sdwa v7, v8, v7 dst_sel:WORD_1 dst_unused:UNUSED_PAD src0_sel:DWORD src1_sel:DWORD
	s_nop 0
	v_cndmask_b32_e64 v39, 0, 1, vcc
	v_cmp_ne_u32_e32 vcc, v3, v4
	v_or_b32_sdwa v53, v6, v7 dst_sel:DWORD dst_unused:UNUSED_PAD src0_sel:WORD_0 src1_sel:DWORD
	s_nop 0
	v_cndmask_b32_e64 v6, 0, 1, vcc
	v_cmp_ne_u32_e32 vcc, v2, v3
	v_lshlrev_b16_e32 v6, 8, v6
	s_nop 0
	v_cndmask_b32_e64 v3, 0, 1, vcc
	v_cmp_ne_u32_e32 vcc, v5, v17
	v_or_b32_e32 v3, v3, v6
	s_nop 0
	v_cndmask_b32_e64 v6, 0, 1, vcc
	v_cmp_ne_u32_e32 vcc, v4, v5
	v_lshlrev_b16_e32 v6, 8, v6
	s_nop 0
	v_cndmask_b32_e64 v4, 0, 1, vcc
	v_cmp_ne_u32_e32 vcc, v16, v2
	v_or_b32_sdwa v4, v4, v6 dst_sel:WORD_1 dst_unused:UNUSED_PAD src0_sel:DWORD src1_sel:DWORD
	s_nop 0
	v_cndmask_b32_e64 v37, 0, 1, vcc
	v_cmp_ne_u32_e32 vcc, v19, v20
	v_or_b32_sdwa v52, v3, v4 dst_sel:DWORD dst_unused:UNUSED_PAD src0_sel:WORD_0 src1_sel:DWORD
	s_nop 0
	v_cndmask_b32_e64 v2, 0, 1, vcc
	v_cmp_ne_u32_e32 vcc, v18, v19
	v_lshlrev_b16_e32 v2, 8, v2
	s_nop 0
	v_cndmask_b32_e64 v3, 0, 1, vcc
	v_cmp_ne_u32_e32 vcc, v21, v16
	v_or_b32_e32 v2, v3, v2
	s_nop 0
	v_cndmask_b32_e64 v3, 0, 1, vcc
	v_cmp_ne_u32_e32 vcc, v20, v21
	v_lshlrev_b16_e32 v3, 8, v3
	s_nop 0
	v_cndmask_b32_e64 v4, 0, 1, vcc
	v_cmp_ne_u32_e32 vcc, v12, v18
	v_or_b32_sdwa v3, v4, v3 dst_sel:WORD_1 dst_unused:UNUSED_PAD src0_sel:DWORD src1_sel:DWORD
	s_nop 0
	v_cndmask_b32_e64 v34, 0, 1, vcc
	v_cmp_ne_u32_e32 vcc, v11, v12
	v_mad_u32_u24 v12, v0, 46, v1
	v_or_b32_sdwa v49, v2, v3 dst_sel:DWORD dst_unused:UNUSED_PAD src0_sel:WORD_0 src1_sel:DWORD
	ds_read_u16 v1, v12
	ds_read_b128 v[2:5], v12 offset:2
	ds_read_b128 v[6:9], v12 offset:18
	ds_read_b96 v[16:18], v12 offset:34
	ds_read_u16 v57, v12 offset:46
	v_cndmask_b32_e64 v33, 0, 1, vcc
	v_cmp_ne_u32_e32 vcc, v10, v11
	s_nop 1
	v_cndmask_b32_e64 v35, 0, 1, vcc
	v_cmp_ne_u32_e32 vcc, v13, v10
	s_nop 1
	v_cndmask_b32_e64 v19, 0, 1, vcc
.LBB48_128:
	v_mov_b32_e32 v25, s3
	v_mov_b32_e32 v12, s12
	s_and_saveexec_b64 s[4:5], s[8:9]
	s_cbranch_execz .LBB48_130
; %bb.129:
	v_cndmask_b32_e64 v25, 0, 1, s[6:7]
	s_waitcnt lgkmcnt(0)
	v_mov_b32_e32 v12, v57
	v_mov_b32_e32 v41, v55
	;; [unrolled: 1-line block ×16, first 2 shown]
.LBB48_130:
	s_or_b64 exec, exec, s[4:5]
	v_and_b32_e32 v53, 1, v35
	v_and_b32_e32 v30, 1, v39
	;; [unrolled: 1-line block ×4, first 2 shown]
	s_cmp_lg_u32 s2, 0
	v_cmp_eq_u32_e32 vcc, 1, v53
	v_lshrrev_b32_e32 v24, 16, v56
	v_lshrrev_b32_e32 v23, 16, v54
	;; [unrolled: 1-line block ×7, first 2 shown]
	s_waitcnt lgkmcnt(1)
	v_lshrrev_b32_e32 v18, 16, v45
	v_cmp_eq_u32_e64 s[52:53], 1, v30
	v_lshrrev_b32_e32 v17, 16, v43
	v_lshrrev_b32_e32 v31, 8, v44
	;; [unrolled: 1-line block ×4, first 2 shown]
	v_cmp_eq_u32_e64 s[54:55], 1, v28
	v_lshrrev_b32_e32 v29, 8, v41
	v_lshrrev_b32_e32 v14, 16, v38
	;; [unrolled: 1-line block ×3, first 2 shown]
	v_cmp_eq_u32_e64 s[50:51], 1, v27
	v_mbcnt_lo_u32_b32 v26, -1, 0
	s_waitcnt lgkmcnt(0)
	s_barrier
	s_cbranch_scc0 .LBB48_223
; %bb.131:
	v_mov_b32_e32 v2, 0
	v_cmp_gt_f16_e64 s[4:5], v56, v1
	v_and_b32_e32 v4, 1, v33
	v_cmp_eq_u32_e64 s[56:57], 1, v4
	v_cndmask_b32_e64 v3, v1, v56, s[4:5]
	v_cmp_eq_u16_sdwa s[4:5], v35, v2 src0_sel:BYTE_0 src1_sel:DWORD
	v_and_b32_e32 v4, 1, v34
	v_cmp_eq_u32_e64 s[58:59], 1, v4
	v_cndmask_b32_e64 v3, v56, v3, s[4:5]
	v_cmp_lt_f16_e64 s[6:7], v3, v24
	v_and_b32_e32 v4, 1, v51
	s_movk_i32 s3, 0xff
	v_cndmask_b32_e64 v3, v3, v24, s[6:7]
	v_cmp_eq_u16_sdwa s[6:7], v33, v2 src0_sel:BYTE_0 src1_sel:DWORD
	v_cmp_eq_u32_e64 s[60:61], 1, v4
	v_and_b32_e32 v4, 0x100, v51
	v_cndmask_b32_e64 v3, v24, v3, s[6:7]
	v_cmp_lt_f16_e64 s[8:9], v3, v54
	v_cmp_ne_u32_e64 s[62:63], 0, v4
	v_and_b32_sdwa v4, v51, s3 dst_sel:DWORD dst_unused:UNUSED_PAD src0_sel:WORD_1 src1_sel:DWORD
	v_cndmask_b32_e64 v3, v3, v54, s[8:9]
	v_cmp_eq_u16_sdwa s[8:9], v34, v2 src0_sel:BYTE_0 src1_sel:DWORD
	v_and_b32_e32 v5, 0x1000000, v41
	s_nop 0
	v_cndmask_b32_e64 v3, v54, v3, s[8:9]
	v_cmp_lt_f16_e64 s[10:11], v3, v23
	s_nop 1
	v_cndmask_b32_e64 v3, v3, v23, s[10:11]
	v_cmp_eq_u16_sdwa s[10:11], v51, v2 src0_sel:BYTE_0 src1_sel:DWORD
	s_nop 1
	v_cndmask_b32_e64 v3, v23, v3, s[10:11]
	v_cmp_lt_f16_e64 s[12:13], v3, v50
	s_nop 1
	v_cndmask_b32_e64 v3, v3, v50, s[12:13]
	v_cmp_eq_u16_sdwa s[12:13], v52, v2 src0_sel:BYTE_0 src1_sel:DWORD
	s_nop 1
	v_cndmask_b32_e64 v3, v50, v3, s[12:13]
	v_cmp_lt_f16_e64 s[14:15], v3, v22
	s_nop 1
	v_cndmask_b32_e64 v3, v3, v22, s[14:15]
	v_cmp_eq_u16_e64 s[14:15], 0, v4
	v_and_b32_e32 v4, 0x10000, v51
	v_cmp_ne_u32_e64 s[64:65], 0, v4
	v_cndmask_b32_e64 v3, v22, v3, s[14:15]
	v_cmp_lt_f16_e64 s[16:17], v3, v48
	v_and_b32_e32 v4, 0x1000000, v51
	v_cmp_ne_u32_e64 s[66:67], 0, v4
	v_cndmask_b32_e64 v3, v3, v48, s[16:17]
	v_cmp_eq_u16_sdwa s[16:17], v51, v2 src0_sel:BYTE_3 src1_sel:DWORD
	v_and_b32_e32 v4, 1, v37
	v_cmp_eq_u32_e64 s[68:69], 1, v4
	v_cndmask_b32_e64 v3, v48, v3, s[16:17]
	v_cmp_lt_f16_e64 s[18:19], v3, v21
	v_and_b32_e32 v4, 1, v47
	v_cmp_eq_u32_e64 s[70:71], 1, v4
	v_cndmask_b32_e64 v3, v3, v21, s[18:19]
	v_cmp_eq_u16_sdwa s[18:19], v37, v2 src0_sel:BYTE_0 src1_sel:DWORD
	v_and_b32_e32 v4, 0x100, v47
	v_cmp_ne_u32_e64 s[72:73], 0, v4
	v_cndmask_b32_e64 v3, v21, v3, s[18:19]
	v_cmp_lt_f16_e64 s[20:21], v3, v46
	v_and_b32_sdwa v4, v47, s3 dst_sel:DWORD dst_unused:UNUSED_PAD src0_sel:WORD_1 src1_sel:DWORD
	s_nop 0
	v_cndmask_b32_e64 v3, v3, v46, s[20:21]
	v_cmp_eq_u16_sdwa s[20:21], v47, v2 src0_sel:BYTE_0 src1_sel:DWORD
	s_nop 1
	v_cndmask_b32_e64 v3, v46, v3, s[20:21]
	v_cmp_lt_f16_e64 s[22:23], v3, v20
	s_nop 1
	v_cndmask_b32_e64 v3, v3, v20, s[22:23]
	v_cmp_eq_u16_sdwa s[22:23], v49, v2 src0_sel:BYTE_0 src1_sel:DWORD
	s_nop 1
	v_cndmask_b32_e64 v3, v20, v3, s[22:23]
	v_cmp_lt_f16_e64 s[24:25], v3, v45
	s_nop 1
	v_cndmask_b32_e64 v3, v3, v45, s[24:25]
	v_cmp_eq_u16_e64 s[24:25], 0, v4
	v_and_b32_e32 v4, 0x10000, v47
	v_cmp_ne_u32_e64 s[76:77], 0, v4
	v_cndmask_b32_e64 v3, v45, v3, s[24:25]
	v_cmp_lt_f16_e64 s[26:27], v3, v18
	v_and_b32_e32 v4, 0x1000000, v47
	v_cmp_ne_u32_e64 s[78:79], 0, v4
	v_cndmask_b32_e64 v3, v3, v18, s[26:27]
	v_cmp_eq_u16_sdwa s[26:27], v47, v2 src0_sel:BYTE_3 src1_sel:DWORD
	v_and_b32_e32 v4, 1, v44
	v_cmp_eq_u32_e64 s[80:81], 1, v4
	v_cndmask_b32_e64 v3, v18, v3, s[26:27]
	v_cmp_lt_f16_e64 s[28:29], v3, v43
	v_and_b32_e32 v4, 0x100, v44
	v_cmp_ne_u32_e64 s[82:83], 0, v4
	v_cndmask_b32_e64 v3, v3, v43, s[28:29]
	v_cmp_eq_u16_sdwa s[28:29], v39, v2 src0_sel:BYTE_0 src1_sel:DWORD
	v_and_b32_sdwa v4, v44, s3 dst_sel:DWORD dst_unused:UNUSED_PAD src0_sel:WORD_1 src1_sel:DWORD
	s_nop 0
	v_cndmask_b32_e64 v3, v43, v3, s[28:29]
	v_cmp_lt_f16_e64 s[30:31], v3, v17
	s_nop 1
	v_cndmask_b32_e64 v3, v3, v17, s[30:31]
	v_cmp_eq_u16_sdwa s[30:31], v44, v2 src0_sel:BYTE_0 src1_sel:DWORD
	s_nop 1
	v_cndmask_b32_e64 v3, v17, v3, s[30:31]
	v_cmp_lt_f16_e64 s[34:35], v3, v42
	s_nop 1
	v_cndmask_b32_e64 v3, v3, v42, s[34:35]
	v_cmp_eq_u16_sdwa s[34:35], v31, v2 src0_sel:BYTE_0 src1_sel:DWORD
	s_nop 1
	v_cndmask_b32_e64 v3, v42, v3, s[34:35]
	v_cmp_lt_f16_e64 s[36:37], v3, v16
	s_nop 1
	v_cndmask_b32_e64 v3, v3, v16, s[36:37]
	v_cmp_eq_u16_e64 s[36:37], 0, v4
	v_and_b32_e32 v4, 0x10000, v44
	v_cmp_ne_u32_e64 s[84:85], 0, v4
	v_cndmask_b32_e64 v3, v16, v3, s[36:37]
	v_cmp_lt_f16_e64 s[38:39], v3, v40
	v_and_b32_e32 v4, 0x1000000, v44
	v_cmp_ne_u32_e64 s[86:87], 0, v4
	v_cndmask_b32_e64 v3, v3, v40, s[38:39]
	v_cmp_eq_u16_sdwa s[38:39], v44, v2 src0_sel:BYTE_3 src1_sel:DWORD
	v_and_b32_e32 v4, 1, v41
	v_cmp_eq_u32_e64 s[88:89], 1, v4
	v_cndmask_b32_e64 v3, v40, v3, s[38:39]
	v_cmp_lt_f16_e64 s[40:41], v3, v15
	v_and_b32_e32 v4, 0x100, v41
	v_cmp_ne_u32_e64 s[90:91], 0, v4
	v_cndmask_b32_e64 v3, v3, v15, s[40:41]
	v_cmp_eq_u16_sdwa s[40:41], v36, v2 src0_sel:BYTE_0 src1_sel:DWORD
	v_and_b32_sdwa v4, v41, s3 dst_sel:DWORD dst_unused:UNUSED_PAD src0_sel:WORD_1 src1_sel:DWORD
	s_nop 0
	v_cndmask_b32_e64 v3, v15, v3, s[40:41]
	v_cmp_lt_f16_e64 s[42:43], v3, v38
	s_nop 1
	v_cndmask_b32_e64 v3, v3, v38, s[42:43]
	v_cmp_eq_u16_sdwa s[42:43], v41, v2 src0_sel:BYTE_0 src1_sel:DWORD
	s_nop 1
	v_cndmask_b32_e64 v3, v38, v3, s[42:43]
	v_cmp_lt_f16_e64 s[44:45], v3, v14
	s_nop 1
	v_cndmask_b32_e64 v3, v3, v14, s[44:45]
	v_cmp_eq_u16_sdwa s[44:45], v29, v2 src0_sel:BYTE_0 src1_sel:DWORD
	s_nop 1
	v_cndmask_b32_e64 v3, v14, v3, s[44:45]
	v_cmp_lt_f16_e64 s[46:47], v3, v32
	s_nop 1
	v_cndmask_b32_e64 v3, v3, v32, s[46:47]
	v_cmp_eq_u16_e64 s[46:47], 0, v4
	v_and_b32_e32 v4, 0x10000, v41
	s_nop 0
	v_cndmask_b32_e64 v3, v32, v3, s[46:47]
	v_cmp_lt_f16_e64 s[48:49], v3, v13
	s_nop 1
	v_cndmask_b32_e64 v3, v3, v13, s[48:49]
	v_cmp_eq_u16_sdwa s[48:49], v41, v2 src0_sel:BYTE_3 src1_sel:DWORD
	s_nop 1
	v_cndmask_b32_e64 v3, v13, v3, s[48:49]
	v_cmp_lt_f16_e64 s[92:93], v3, v12
	s_nop 1
	v_cndmask_b32_e64 v3, v3, v12, s[92:93]
	v_cmp_ne_u32_e64 s[92:93], 0, v5
	s_or_b64 s[92:93], s[50:51], s[92:93]
	v_cmp_ne_u32_e64 s[50:51], 0, v4
	s_or_b64 s[92:93], s[92:93], s[50:51]
	s_or_b64 s[90:91], s[92:93], s[90:91]
	;; [unrolled: 1-line block ×20, first 2 shown]
	v_cmp_eq_u16_sdwa s[50:51], v25, v2 src0_sel:BYTE_0 src1_sel:DWORD
	s_or_b64 s[52:53], s[52:53], vcc
	v_mbcnt_hi_u32_b32 v5, -1, v26
	v_cndmask_b32_e64 v2, v12, v3, s[50:51]
	v_cndmask_b32_e64 v3, v19, 1, s[52:53]
	v_and_b32_e32 v8, 0xff, v3
	v_and_b32_e32 v4, 0xffff, v2
	;; [unrolled: 1-line block ×3, first 2 shown]
	v_lshl_or_b32 v4, v8, 16, v4
	v_cmp_ne_u32_e32 vcc, 0, v7
	s_nop 0
	v_mov_b32_dpp v6, v4 row_shr:1 row_mask:0xf bank_mask:0xf
	s_and_saveexec_b64 s[52:53], vcc
; %bb.132:
	v_cmp_gt_f16_e32 vcc, v2, v6
	v_and_b32_e32 v3, 1, v3
	s_nop 0
	v_cndmask_b32_e32 v4, v6, v2, vcc
	v_cmp_eq_u16_e32 vcc, 0, v8
	s_nop 1
	v_cndmask_b32_e32 v2, v2, v4, vcc
	v_mov_b32_e32 v4, 1
	v_and_b32_sdwa v4, v6, v4 dst_sel:DWORD dst_unused:UNUSED_PAD src0_sel:WORD_1 src1_sel:DWORD
	v_cmp_eq_u32_e32 vcc, 1, v3
	s_nop 1
	v_cndmask_b32_e64 v3, v4, 1, vcc
	v_lshlrev_b32_e32 v4, 16, v3
	v_or_b32_sdwa v4, v4, v2 dst_sel:DWORD dst_unused:UNUSED_PAD src0_sel:DWORD src1_sel:WORD_0
; %bb.133:
	s_or_b64 exec, exec, s[52:53]
	v_lshrrev_b32_e32 v6, 16, v4
	v_mov_b32_dpp v8, v4 row_shr:2 row_mask:0xf bank_mask:0xf
	v_cmp_lt_u32_e32 vcc, 1, v7
	s_and_saveexec_b64 s[52:53], vcc
	s_cbranch_execz .LBB48_135
; %bb.134:
	s_mov_b32 s3, 0x10000
	v_cmp_gt_f16_e32 vcc, v2, v8
	s_nop 1
	v_cndmask_b32_e32 v3, v8, v2, vcc
	v_cmp_gt_u32_e32 vcc, s3, v4
	s_nop 1
	v_cndmask_b32_e32 v2, v2, v3, vcc
	v_and_b32_e32 v3, 0x10000, v4
	v_mov_b32_e32 v4, 1
	v_and_b32_sdwa v4, v8, v4 dst_sel:DWORD dst_unused:UNUSED_PAD src0_sel:WORD_1 src1_sel:DWORD
	v_cmp_ne_u32_e32 vcc, 0, v3
	s_nop 1
	v_cndmask_b32_e64 v3, v4, 1, vcc
	v_lshlrev_b32_e32 v4, 16, v3
	v_or_b32_sdwa v4, v4, v2 dst_sel:DWORD dst_unused:UNUSED_PAD src0_sel:DWORD src1_sel:WORD_0
	v_mov_b32_e32 v6, v3
.LBB48_135:
	s_or_b64 exec, exec, s[52:53]
	v_mov_b32_dpp v8, v4 row_shr:4 row_mask:0xf bank_mask:0xf
	v_cmp_lt_u32_e32 vcc, 3, v7
	s_and_saveexec_b64 s[52:53], vcc
	s_load_dwordx8 s[56:63], s[0:1], 0x28
	s_waitcnt lgkmcnt(0)
	s_mov_b32 s70, s58
	s_mov_b64 s[68:69], s[56:57]
	s_cbranch_execz .LBB48_137
; %bb.136:
	v_cmp_gt_f16_e32 vcc, v2, v8
	v_mov_b32_e32 v4, 1
	v_and_b32_sdwa v4, v8, v4 dst_sel:DWORD dst_unused:UNUSED_PAD src0_sel:WORD_1 src1_sel:DWORD
	v_cndmask_b32_e32 v3, v8, v2, vcc
	v_cmp_eq_u16_e32 vcc, 0, v6
	s_nop 1
	v_cndmask_b32_e32 v2, v2, v3, vcc
	v_and_b32_e32 v3, 1, v6
	v_cmp_eq_u32_e32 vcc, 1, v3
	s_nop 1
	v_cndmask_b32_e64 v3, v4, 1, vcc
	v_lshlrev_b32_e32 v4, 16, v3
	v_or_b32_sdwa v4, v4, v2 dst_sel:DWORD dst_unused:UNUSED_PAD src0_sel:DWORD src1_sel:WORD_0
	v_mov_b32_e32 v6, v3
.LBB48_137:
	s_or_b64 exec, exec, s[52:53]
	v_mov_b32_dpp v8, v4 row_shr:8 row_mask:0xf bank_mask:0xf
	v_cmp_lt_u32_e32 vcc, 7, v7
	s_and_saveexec_b64 s[52:53], vcc
	s_cbranch_execz .LBB48_139
; %bb.138:
	v_cmp_gt_f16_e32 vcc, v2, v8
	v_mov_b32_e32 v4, 1
	v_and_b32_sdwa v4, v8, v4 dst_sel:DWORD dst_unused:UNUSED_PAD src0_sel:WORD_1 src1_sel:DWORD
	v_cndmask_b32_e32 v3, v8, v2, vcc
	v_cmp_eq_u16_e32 vcc, 0, v6
	s_nop 1
	v_cndmask_b32_e32 v2, v2, v3, vcc
	v_and_b32_e32 v3, 1, v6
	v_cmp_eq_u32_e32 vcc, 1, v3
	s_nop 1
	v_cndmask_b32_e64 v3, v4, 1, vcc
	v_lshlrev_b32_e32 v4, 16, v3
	v_or_b32_sdwa v4, v4, v2 dst_sel:DWORD dst_unused:UNUSED_PAD src0_sel:DWORD src1_sel:WORD_0
	v_mov_b32_e32 v6, v3
.LBB48_139:
	s_or_b64 exec, exec, s[52:53]
	v_and_b32_e32 v8, 16, v5
	v_mov_b32_dpp v7, v4 row_bcast:15 row_mask:0xf bank_mask:0xf
	v_cmp_ne_u32_e32 vcc, 0, v8
	s_and_saveexec_b64 s[52:53], vcc
	s_cbranch_execz .LBB48_141
; %bb.140:
	v_cmp_gt_f16_e32 vcc, v2, v7
	v_mov_b32_e32 v4, 1
	v_and_b32_sdwa v4, v7, v4 dst_sel:DWORD dst_unused:UNUSED_PAD src0_sel:WORD_1 src1_sel:DWORD
	v_cndmask_b32_e32 v3, v7, v2, vcc
	v_cmp_eq_u16_e32 vcc, 0, v6
	s_nop 1
	v_cndmask_b32_e32 v2, v2, v3, vcc
	v_and_b32_e32 v3, 1, v6
	v_cmp_eq_u32_e32 vcc, 1, v3
	s_nop 1
	v_cndmask_b32_e64 v3, v4, 1, vcc
	v_lshlrev_b32_e32 v4, 16, v3
	v_or_b32_sdwa v4, v4, v2 dst_sel:DWORD dst_unused:UNUSED_PAD src0_sel:DWORD src1_sel:WORD_0
	v_mov_b32_e32 v6, v3
.LBB48_141:
	s_or_b64 exec, exec, s[52:53]
	v_mov_b32_dpp v4, v4 row_bcast:31 row_mask:0xf bank_mask:0xf
	v_cmp_lt_u32_e32 vcc, 31, v5
	s_and_saveexec_b64 s[52:53], vcc
; %bb.142:
	v_and_b32_e32 v3, 1, v6
	v_mov_b32_e32 v7, 1
	v_and_b32_sdwa v7, v4, v7 dst_sel:DWORD dst_unused:UNUSED_PAD src0_sel:WORD_1 src1_sel:DWORD
	v_cmp_eq_u32_e32 vcc, 1, v3
	s_nop 1
	v_cndmask_b32_e64 v3, v7, 1, vcc
	v_cmp_gt_f16_e32 vcc, v2, v4
	s_nop 1
	v_cndmask_b32_e32 v4, v4, v2, vcc
	v_cmp_eq_u16_e32 vcc, 0, v6
	s_nop 1
	v_cndmask_b32_e32 v2, v2, v4, vcc
; %bb.143:
	s_or_b64 exec, exec, s[52:53]
	v_or_b32_e32 v6, 63, v0
	v_lshrrev_b32_e32 v4, 6, v0
	v_cmp_eq_u32_e32 vcc, v6, v0
	s_and_saveexec_b64 s[52:53], vcc
	s_cbranch_execz .LBB48_145
; %bb.144:
	v_lshlrev_b32_e32 v6, 2, v4
	ds_write_b16 v6, v2
	ds_write_b8 v6, v3 offset:2
.LBB48_145:
	s_or_b64 exec, exec, s[52:53]
	v_cmp_gt_u32_e32 vcc, 4, v0
	s_waitcnt lgkmcnt(0)
	s_barrier
	s_and_saveexec_b64 s[54:55], vcc
	s_cbranch_execz .LBB48_149
; %bb.146:
	v_lshlrev_b32_e32 v6, 2, v0
	ds_read_b32 v10, v6
	v_and_b32_e32 v7, 3, v5
	v_cmp_ne_u32_e32 vcc, 0, v7
	s_waitcnt lgkmcnt(0)
	v_lshrrev_b32_e32 v9, 16, v10
	v_mov_b32_dpp v11, v10 row_shr:1 row_mask:0xf bank_mask:0xf
	v_mov_b32_e32 v8, v10
	s_and_saveexec_b64 s[52:53], vcc
	s_cbranch_execz .LBB48_148
; %bb.147:
	v_mov_b32_e32 v8, 0
	v_cmp_gt_f16_e32 vcc, v10, v11
	s_nop 1
	v_cndmask_b32_e32 v55, v11, v10, vcc
	v_cmp_eq_u16_sdwa vcc, v9, v8 src0_sel:BYTE_0 src1_sel:DWORD
	v_and_b32_e32 v9, 0x10000, v10
	s_nop 0
	v_cndmask_b32_e32 v8, v10, v55, vcc
	v_and_b32_e32 v55, 0xff000000, v10
	v_mov_b32_e32 v10, 1
	v_and_b32_sdwa v10, v11, v10 dst_sel:DWORD dst_unused:UNUSED_PAD src0_sel:WORD_1 src1_sel:DWORD
	v_cmp_ne_u32_e32 vcc, 0, v9
	v_and_b32_e32 v11, 0xffff, v8
	s_nop 0
	v_cndmask_b32_e64 v9, v10, 1, vcc
	v_lshlrev_b32_e32 v10, 16, v9
	v_or3_b32 v10, v10, v55, v11
.LBB48_148:
	s_or_b64 exec, exec, s[52:53]
	s_nop 0
	v_mov_b32_dpp v11, v10 row_shr:2 row_mask:0xf bank_mask:0xf
	v_and_b32_e32 v55, 0xff0000, v10
	v_cmp_gt_f16_e64 s[52:53], v8, v11
	v_and_b32_e32 v10, 0x10000, v10
	v_mov_b32_e32 v57, 1
	v_cmp_eq_u32_e32 vcc, 0, v55
	v_cndmask_b32_e64 v55, v11, v8, s[52:53]
	v_and_b32_sdwa v11, v11, v57 dst_sel:DWORD dst_unused:UNUSED_PAD src0_sel:WORD_1 src1_sel:DWORD
	v_cmp_eq_u32_e64 s[52:53], 0, v10
	s_nop 1
	v_cndmask_b32_e64 v10, 1, v11, s[52:53]
	v_cmp_lt_u32_e64 s[52:53], 1, v7
	s_and_b64 vcc, s[52:53], vcc
	v_cndmask_b32_e32 v8, v8, v55, vcc
	v_cndmask_b32_e64 v7, v9, v10, s[52:53]
	ds_write_b16 v6, v8
	ds_write_b8 v6, v7 offset:2
.LBB48_149:
	s_or_b64 exec, exec, s[54:55]
	v_cmp_gt_u32_e32 vcc, 64, v0
	v_cmp_lt_u32_e64 s[52:53], 63, v0
	v_mov_b32_e32 v55, 0
	v_mov_b32_e32 v57, 0
	s_waitcnt lgkmcnt(0)
	s_barrier
	s_and_saveexec_b64 s[54:55], s[52:53]
	s_cbranch_execz .LBB48_151
; %bb.150:
	v_lshl_add_u32 v4, v4, 2, -4
	ds_read_u16 v55, v4
	ds_read_u8 v57, v4 offset:2
	v_mov_b32_e32 v6, 0
	s_waitcnt lgkmcnt(1)
	v_cmp_gt_f16_e64 s[52:53], v2, v55
	s_nop 1
	v_cndmask_b32_e64 v4, v55, v2, s[52:53]
	v_cmp_eq_u16_sdwa s[52:53], v3, v6 src0_sel:BYTE_0 src1_sel:DWORD
	v_and_b32_e32 v3, 1, v3
	s_nop 0
	v_cndmask_b32_e64 v2, v2, v4, s[52:53]
	v_cmp_eq_u32_e64 s[52:53], 1, v3
	s_waitcnt lgkmcnt(0)
	s_nop 0
	v_cndmask_b32_e64 v3, v57, 1, s[52:53]
.LBB48_151:
	s_or_b64 exec, exec, s[54:55]
	v_and_b32_e32 v3, 0xff, v3
	v_and_b32_e32 v2, 0xffff, v2
	v_lshl_or_b32 v2, v3, 16, v2
	v_add_u32_e32 v3, -1, v5
	v_and_b32_e32 v4, 64, v5
	v_cmp_lt_i32_e64 s[52:53], v3, v4
	s_nop 1
	v_cndmask_b32_e64 v3, v3, v5, s[52:53]
	v_lshlrev_b32_e32 v3, 2, v3
	ds_bpermute_b32 v58, v3, v2
	v_cmp_eq_u32_e64 s[52:53], 0, v5
	s_and_saveexec_b64 s[54:55], vcc
	s_cbranch_execz .LBB48_198
; %bb.152:
	v_mov_b32_e32 v9, 0
	ds_read_b32 v2, v9 offset:12
	s_and_saveexec_b64 s[56:57], s[52:53]
	s_cbranch_execz .LBB48_154
; %bb.153:
	s_add_i32 s58, s2, 64
	s_mov_b32 s59, 0
	s_lshl_b64 s[58:59], s[58:59], 3
	s_add_u32 s58, s68, s58
	s_addc_u32 s59, s69, s59
	v_mov_b32_e32 v3, 1
	s_waitcnt lgkmcnt(0)
	global_store_dwordx2 v9, v[2:3], s[58:59] sc1
.LBB48_154:
	s_or_b64 exec, exec, s[56:57]
	v_xad_u32 v4, v5, -1, s2
	v_add_u32_e32 v8, 64, v4
	v_lshl_add_u64 v[10:11], v[8:9], 3, s[68:69]
	global_load_dwordx2 v[6:7], v[10:11], off sc1
	s_waitcnt vmcnt(0)
	v_cmp_eq_u16_sdwa s[58:59], v7, v9 src0_sel:BYTE_0 src1_sel:DWORD
	s_and_saveexec_b64 s[56:57], s[58:59]
	s_cbranch_execz .LBB48_158
; %bb.155:
	s_mov_b64 s[58:59], 0
	v_mov_b32_e32 v3, 0
.LBB48_156:                             ; =>This Inner Loop Header: Depth=1
	global_load_dwordx2 v[6:7], v[10:11], off sc1
	s_waitcnt vmcnt(0)
	v_cmp_ne_u16_sdwa s[60:61], v7, v3 src0_sel:BYTE_0 src1_sel:DWORD
	s_or_b64 s[58:59], s[60:61], s[58:59]
	s_andn2_b64 exec, exec, s[58:59]
	s_cbranch_execnz .LBB48_156
; %bb.157:
	s_or_b64 exec, exec, s[58:59]
.LBB48_158:
	s_or_b64 exec, exec, s[56:57]
	v_mov_b32_e32 v3, 2
	v_cmp_eq_u16_sdwa s[56:57], v7, v3 src0_sel:BYTE_0 src1_sel:DWORD
	v_lshlrev_b64 v[8:9], v5, -1
	v_and_b32_e32 v11, 63, v5
	v_and_b32_e32 v3, s57, v9
	v_or_b32_e32 v3, 0x80000000, v3
	v_and_b32_e32 v10, s56, v8
	v_ffbl_b32_e32 v3, v3
	v_add_u32_e32 v3, 32, v3
	v_ffbl_b32_e32 v10, v10
	v_cmp_ne_u32_e32 vcc, 63, v11
	v_min_u32_e32 v10, v10, v3
	v_and_b32_e32 v68, 0xffffff, v6
	v_addc_co_u32_e32 v3, vcc, 0, v5, vcc
	v_lshlrev_b32_e32 v3, 2, v3
	ds_bpermute_b32 v60, v3, v68
	v_add_u32_e32 v59, 1, v5
	v_lshrrev_b32_e32 v74, 16, v6
	v_cmp_le_u32_e32 vcc, v59, v10
	v_bfe_u32 v69, v6, 16, 8
	s_and_saveexec_b64 s[56:57], vcc
	s_cbranch_execz .LBB48_160
; %bb.159:
	v_and_b32_e32 v61, 0xff0000, v6
	s_waitcnt lgkmcnt(0)
	v_cmp_gt_f16_e32 vcc, v6, v60
	s_nop 1
	v_cndmask_b32_e32 v62, v60, v6, vcc
	v_cmp_eq_u32_e32 vcc, 0, v61
	v_and_b32_e32 v61, 0x10000, v61
	s_nop 0
	v_cndmask_b32_e32 v6, v6, v62, vcc
	v_mov_b32_e32 v62, 1
	v_and_b32_sdwa v60, v60, v62 dst_sel:DWORD dst_unused:UNUSED_PAD src0_sel:WORD_1 src1_sel:DWORD
	v_cmp_ne_u32_e32 vcc, 0, v61
	s_nop 1
	v_cndmask_b32_e64 v74, v60, 1, vcc
	v_lshlrev_b32_e32 v60, 16, v74
	v_or_b32_sdwa v68, v60, v6 dst_sel:DWORD dst_unused:UNUSED_PAD src0_sel:DWORD src1_sel:WORD_0
	v_mov_b32_e32 v69, v74
.LBB48_160:
	s_or_b64 exec, exec, s[56:57]
	v_cmp_gt_u32_e32 vcc, 62, v11
	v_add_u32_e32 v61, 2, v5
	s_waitcnt lgkmcnt(0)
	v_cndmask_b32_e64 v60, 0, 1, vcc
	v_lshlrev_b32_e32 v60, 1, v60
	v_add_lshl_u32 v60, v60, v5, 2
	ds_bpermute_b32 v62, v60, v68
	v_cmp_le_u32_e32 vcc, v61, v10
	s_and_saveexec_b64 s[56:57], vcc
	s_cbranch_execz .LBB48_162
; %bb.161:
	s_waitcnt lgkmcnt(0)
	v_cmp_gt_f16_e32 vcc, v6, v62
	v_mov_b32_e32 v64, 1
	s_nop 0
	v_cndmask_b32_e32 v63, v62, v6, vcc
	v_cmp_eq_u16_e32 vcc, 0, v69
	v_and_b32_sdwa v62, v62, v64 dst_sel:DWORD dst_unused:UNUSED_PAD src0_sel:WORD_1 src1_sel:DWORD
	s_nop 0
	v_cndmask_b32_e32 v6, v6, v63, vcc
	v_and_b32_e32 v63, 1, v69
	v_cmp_eq_u32_e32 vcc, 1, v63
	s_nop 1
	v_cndmask_b32_e64 v74, v62, 1, vcc
	v_lshlrev_b32_e32 v62, 16, v74
	v_or_b32_sdwa v68, v62, v6 dst_sel:DWORD dst_unused:UNUSED_PAD src0_sel:DWORD src1_sel:WORD_0
	v_mov_b32_e32 v69, v74
.LBB48_162:
	s_or_b64 exec, exec, s[56:57]
	v_cmp_gt_u32_e32 vcc, 60, v11
	v_add_u32_e32 v63, 4, v5
	s_waitcnt lgkmcnt(0)
	v_cndmask_b32_e64 v62, 0, 1, vcc
	v_lshlrev_b32_e32 v62, 2, v62
	v_add_lshl_u32 v62, v62, v5, 2
	ds_bpermute_b32 v64, v62, v68
	v_cmp_le_u32_e32 vcc, v63, v10
	s_and_saveexec_b64 s[56:57], vcc
	s_cbranch_execz .LBB48_164
; %bb.163:
	s_waitcnt lgkmcnt(0)
	v_cmp_gt_f16_e32 vcc, v6, v64
	v_mov_b32_e32 v66, 1
	s_nop 0
	v_cndmask_b32_e32 v65, v64, v6, vcc
	v_cmp_eq_u16_e32 vcc, 0, v69
	v_and_b32_sdwa v64, v64, v66 dst_sel:DWORD dst_unused:UNUSED_PAD src0_sel:WORD_1 src1_sel:DWORD
	s_nop 0
	v_cndmask_b32_e32 v6, v6, v65, vcc
	v_and_b32_e32 v65, 1, v69
	v_cmp_eq_u32_e32 vcc, 1, v65
	s_nop 1
	v_cndmask_b32_e64 v74, v64, 1, vcc
	v_lshlrev_b32_e32 v64, 16, v74
	v_or_b32_sdwa v68, v64, v6 dst_sel:DWORD dst_unused:UNUSED_PAD src0_sel:DWORD src1_sel:WORD_0
	v_mov_b32_e32 v69, v74
.LBB48_164:
	;; [unrolled: 29-line block ×3, first 2 shown]
	s_or_b64 exec, exec, s[56:57]
	v_cmp_gt_u32_e32 vcc, 48, v11
	v_add_u32_e32 v67, 16, v5
	s_waitcnt lgkmcnt(0)
	v_cndmask_b32_e64 v66, 0, 1, vcc
	v_lshlrev_b32_e32 v66, 4, v66
	v_add_lshl_u32 v66, v66, v5, 2
	ds_bpermute_b32 v70, v66, v68
	v_cmp_le_u32_e32 vcc, v67, v10
	s_and_saveexec_b64 s[56:57], vcc
	s_xor_b64 s[56:57], exec, s[56:57]
	s_cbranch_execz .LBB48_168
; %bb.167:
	s_waitcnt lgkmcnt(0)
	v_cmp_gt_f16_e32 vcc, v6, v70
	s_nop 1
	v_cndmask_b32_e32 v68, v70, v6, vcc
	v_cmp_eq_u16_e32 vcc, 0, v69
	s_nop 1
	v_cndmask_b32_e32 v6, v6, v68, vcc
	v_and_b32_e32 v68, 1, v69
	v_mov_b32_e32 v69, 1
	v_and_b32_sdwa v69, v70, v69 dst_sel:DWORD dst_unused:UNUSED_PAD src0_sel:WORD_1 src1_sel:DWORD
	v_cmp_eq_u32_e32 vcc, 1, v68
	s_nop 1
	v_cndmask_b32_e64 v74, v69, 1, vcc
	v_lshlrev_b32_e32 v68, 16, v74
	v_or_b32_sdwa v68, v68, v6 dst_sel:DWORD dst_unused:UNUSED_PAD src0_sel:DWORD src1_sel:WORD_0
                                        ; implicit-def: $vgpr69
.LBB48_168:
	s_or_saveexec_b64 s[56:57], s[56:57]
	v_mov_b32_e32 v71, v74
	s_xor_b64 exec, exec, s[56:57]
; %bb.169:
	v_mov_b32_e32 v71, v69
; %bb.170:
	s_or_b64 exec, exec, s[56:57]
	v_cmp_gt_u32_e32 vcc, 32, v11
	s_waitcnt lgkmcnt(0)
	v_add_u32_e32 v70, 32, v5
	v_cndmask_b32_e64 v11, 0, 1, vcc
	v_lshlrev_b32_e32 v11, 5, v11
	v_add_lshl_u32 v69, v11, v5, 2
	ds_bpermute_b32 v11, v69, v68
	v_cmp_le_u32_e32 vcc, v70, v10
	s_and_saveexec_b64 s[56:57], vcc
	s_cbranch_execz .LBB48_172
; %bb.171:
	s_waitcnt lgkmcnt(0)
	v_cmp_gt_f16_e32 vcc, v6, v11
	v_and_b32_e32 v68, 1, v71
	v_mov_b32_e32 v72, 1
	v_mov_b32_e32 v5, 0
	v_cndmask_b32_e32 v10, v11, v6, vcc
	v_and_b32_sdwa v11, v11, v72 dst_sel:DWORD dst_unused:UNUSED_PAD src0_sel:WORD_1 src1_sel:DWORD
	v_cmp_eq_u32_e32 vcc, 1, v68
	s_nop 1
	v_cndmask_b32_e64 v74, v11, 1, vcc
	v_cmp_eq_u16_sdwa vcc, v71, v5 src0_sel:BYTE_0 src1_sel:DWORD
	s_nop 1
	v_cndmask_b32_e32 v6, v6, v10, vcc
.LBB48_172:
	s_or_b64 exec, exec, s[56:57]
	v_mov_b32_e32 v5, 0
	v_mov_b32_e32 v72, 2
	;; [unrolled: 1-line block ×3, first 2 shown]
	s_branch .LBB48_174
.LBB48_173:                             ;   in Loop: Header=BB48_174 Depth=1
	s_or_b64 exec, exec, s[56:57]
	v_cmp_gt_f16_e32 vcc, v71, v6
	v_and_b32_e32 v10, 1, v68
	v_and_b32_e32 v11, 1, v11
	v_cndmask_b32_e32 v6, v6, v71, vcc
	v_cmp_eq_u16_sdwa vcc, v68, v5 src0_sel:BYTE_0 src1_sel:DWORD
	v_subrev_u32_e32 v4, 64, v4
	s_nop 0
	v_cndmask_b32_e32 v6, v71, v6, vcc
	v_cmp_eq_u32_e32 vcc, 1, v10
	s_waitcnt lgkmcnt(0)
	s_nop 0
	v_cndmask_b32_e64 v74, v11, 1, vcc
.LBB48_174:                             ; =>This Loop Header: Depth=1
                                        ;     Child Loop BB48_177 Depth 2
	v_cmp_ne_u16_sdwa s[56:57], v7, v72 src0_sel:BYTE_0 src1_sel:DWORD
	v_mov_b32_e32 v68, v74
	v_mov_b32_e32 v71, v6
	v_cndmask_b32_e64 v7, 0, 1, s[56:57]
	;;#ASMSTART
	;;#ASMEND
	s_nop 0
	v_cmp_ne_u32_e32 vcc, 0, v7
	s_cmp_lg_u64 vcc, exec
	s_cbranch_scc1 .LBB48_193
; %bb.175:                              ;   in Loop: Header=BB48_174 Depth=1
	s_waitcnt lgkmcnt(0)
	v_lshl_add_u64 v[10:11], v[4:5], 3, s[68:69]
	global_load_dwordx2 v[6:7], v[10:11], off sc1
	s_waitcnt vmcnt(0)
	v_cmp_eq_u16_sdwa s[58:59], v7, v5 src0_sel:BYTE_0 src1_sel:DWORD
	s_and_saveexec_b64 s[56:57], s[58:59]
	s_cbranch_execz .LBB48_179
; %bb.176:                              ;   in Loop: Header=BB48_174 Depth=1
	s_mov_b64 s[58:59], 0
.LBB48_177:                             ;   Parent Loop BB48_174 Depth=1
                                        ; =>  This Inner Loop Header: Depth=2
	global_load_dwordx2 v[6:7], v[10:11], off sc1
	s_waitcnt vmcnt(0)
	v_cmp_ne_u16_sdwa s[60:61], v7, v5 src0_sel:BYTE_0 src1_sel:DWORD
	s_or_b64 s[58:59], s[60:61], s[58:59]
	s_andn2_b64 exec, exec, s[58:59]
	s_cbranch_execnz .LBB48_177
; %bb.178:                              ;   in Loop: Header=BB48_174 Depth=1
	s_or_b64 exec, exec, s[58:59]
.LBB48_179:                             ;   in Loop: Header=BB48_174 Depth=1
	s_or_b64 exec, exec, s[56:57]
	v_cmp_eq_u16_sdwa s[56:57], v7, v72 src0_sel:BYTE_0 src1_sel:DWORD
	v_and_b32_e32 v74, 0xffffff, v6
	ds_bpermute_b32 v76, v3, v74
	v_and_b32_e32 v10, s57, v9
	v_or_b32_e32 v10, 0x80000000, v10
	v_and_b32_e32 v11, s56, v8
	v_ffbl_b32_e32 v10, v10
	v_add_u32_e32 v10, 32, v10
	v_ffbl_b32_e32 v11, v11
	v_min_u32_e32 v10, v11, v10
	v_lshrrev_b32_e32 v11, 16, v6
	v_cmp_le_u32_e32 vcc, v59, v10
	v_bfe_u32 v75, v6, 16, 8
	s_and_saveexec_b64 s[56:57], vcc
	s_cbranch_execz .LBB48_181
; %bb.180:                              ;   in Loop: Header=BB48_174 Depth=1
	v_and_b32_e32 v11, 0xff0000, v6
	s_waitcnt lgkmcnt(0)
	v_cmp_gt_f16_e32 vcc, v6, v76
	s_nop 1
	v_cndmask_b32_e32 v74, v76, v6, vcc
	v_cmp_eq_u32_e32 vcc, 0, v11
	v_and_b32_e32 v11, 0x10000, v11
	s_nop 0
	v_cndmask_b32_e32 v6, v6, v74, vcc
	v_and_b32_sdwa v74, v76, v73 dst_sel:DWORD dst_unused:UNUSED_PAD src0_sel:WORD_1 src1_sel:DWORD
	v_cmp_ne_u32_e32 vcc, 0, v11
	s_nop 1
	v_cndmask_b32_e64 v11, v74, 1, vcc
	v_lshlrev_b32_e32 v74, 16, v11
	v_or_b32_sdwa v74, v74, v6 dst_sel:DWORD dst_unused:UNUSED_PAD src0_sel:DWORD src1_sel:WORD_0
	v_mov_b32_e32 v75, v11
.LBB48_181:                             ;   in Loop: Header=BB48_174 Depth=1
	s_or_b64 exec, exec, s[56:57]
	s_waitcnt lgkmcnt(0)
	ds_bpermute_b32 v76, v60, v74
	v_cmp_le_u32_e32 vcc, v61, v10
	s_and_saveexec_b64 s[56:57], vcc
	s_cbranch_execz .LBB48_183
; %bb.182:                              ;   in Loop: Header=BB48_174 Depth=1
	s_waitcnt lgkmcnt(0)
	v_cmp_gt_f16_e32 vcc, v6, v76
	v_and_b32_sdwa v74, v76, v73 dst_sel:DWORD dst_unused:UNUSED_PAD src0_sel:WORD_1 src1_sel:DWORD
	s_nop 0
	v_cndmask_b32_e32 v11, v76, v6, vcc
	v_cmp_eq_u16_e32 vcc, 0, v75
	s_nop 1
	v_cndmask_b32_e32 v6, v6, v11, vcc
	v_and_b32_e32 v11, 1, v75
	v_cmp_eq_u32_e32 vcc, 1, v11
	s_nop 1
	v_cndmask_b32_e64 v11, v74, 1, vcc
	v_lshlrev_b32_e32 v74, 16, v11
	v_or_b32_sdwa v74, v74, v6 dst_sel:DWORD dst_unused:UNUSED_PAD src0_sel:DWORD src1_sel:WORD_0
	v_mov_b32_e32 v75, v11
.LBB48_183:                             ;   in Loop: Header=BB48_174 Depth=1
	s_or_b64 exec, exec, s[56:57]
	s_waitcnt lgkmcnt(0)
	ds_bpermute_b32 v76, v62, v74
	v_cmp_le_u32_e32 vcc, v63, v10
	s_and_saveexec_b64 s[56:57], vcc
	s_cbranch_execz .LBB48_185
; %bb.184:                              ;   in Loop: Header=BB48_174 Depth=1
	s_waitcnt lgkmcnt(0)
	v_cmp_gt_f16_e32 vcc, v6, v76
	v_and_b32_sdwa v74, v76, v73 dst_sel:DWORD dst_unused:UNUSED_PAD src0_sel:WORD_1 src1_sel:DWORD
	s_nop 0
	v_cndmask_b32_e32 v11, v76, v6, vcc
	v_cmp_eq_u16_e32 vcc, 0, v75
	s_nop 1
	v_cndmask_b32_e32 v6, v6, v11, vcc
	v_and_b32_e32 v11, 1, v75
	v_cmp_eq_u32_e32 vcc, 1, v11
	s_nop 1
	v_cndmask_b32_e64 v11, v74, 1, vcc
	v_lshlrev_b32_e32 v74, 16, v11
	v_or_b32_sdwa v74, v74, v6 dst_sel:DWORD dst_unused:UNUSED_PAD src0_sel:DWORD src1_sel:WORD_0
	v_mov_b32_e32 v75, v11
.LBB48_185:                             ;   in Loop: Header=BB48_174 Depth=1
	;; [unrolled: 23-line block ×3, first 2 shown]
	s_or_b64 exec, exec, s[56:57]
	s_waitcnt lgkmcnt(0)
	ds_bpermute_b32 v76, v66, v74
	v_cmp_le_u32_e32 vcc, v67, v10
	s_and_saveexec_b64 s[56:57], vcc
	s_xor_b64 s[56:57], exec, s[56:57]
	s_cbranch_execz .LBB48_189
; %bb.188:                              ;   in Loop: Header=BB48_174 Depth=1
	s_waitcnt lgkmcnt(0)
	v_cmp_gt_f16_e32 vcc, v6, v76
	v_and_b32_sdwa v74, v76, v73 dst_sel:DWORD dst_unused:UNUSED_PAD src0_sel:WORD_1 src1_sel:DWORD
	s_nop 0
	v_cndmask_b32_e32 v11, v76, v6, vcc
	v_cmp_eq_u16_e32 vcc, 0, v75
	s_nop 1
	v_cndmask_b32_e32 v6, v6, v11, vcc
	v_and_b32_e32 v11, 1, v75
	v_cmp_eq_u32_e32 vcc, 1, v11
                                        ; implicit-def: $vgpr75
	s_nop 1
	v_cndmask_b32_e64 v11, v74, 1, vcc
	v_lshlrev_b32_e32 v74, 16, v11
	v_or_b32_sdwa v74, v74, v6 dst_sel:DWORD dst_unused:UNUSED_PAD src0_sel:DWORD src1_sel:WORD_0
.LBB48_189:                             ;   in Loop: Header=BB48_174 Depth=1
	s_or_saveexec_b64 s[56:57], s[56:57]
	s_waitcnt lgkmcnt(0)
	v_mov_b32_e32 v76, v11
	s_xor_b64 exec, exec, s[56:57]
; %bb.190:                              ;   in Loop: Header=BB48_174 Depth=1
	v_mov_b32_e32 v76, v75
; %bb.191:                              ;   in Loop: Header=BB48_174 Depth=1
	s_or_b64 exec, exec, s[56:57]
	ds_bpermute_b32 v74, v69, v74
	v_cmp_le_u32_e32 vcc, v70, v10
	s_and_saveexec_b64 s[56:57], vcc
	s_cbranch_execz .LBB48_173
; %bb.192:                              ;   in Loop: Header=BB48_174 Depth=1
	s_waitcnt lgkmcnt(0)
	v_cmp_gt_f16_e32 vcc, v6, v74
	v_and_b32_e32 v11, 1, v76
	s_nop 0
	v_cndmask_b32_e32 v10, v74, v6, vcc
	v_lshrrev_b32_e32 v74, 16, v74
	v_cmp_eq_u32_e32 vcc, 1, v11
	s_nop 1
	v_cndmask_b32_e64 v11, v74, 1, vcc
	v_cmp_eq_u16_sdwa vcc, v76, v5 src0_sel:BYTE_0 src1_sel:DWORD
	s_nop 1
	v_cndmask_b32_e32 v6, v6, v10, vcc
	s_branch .LBB48_173
.LBB48_193:                             ;   in Loop: Header=BB48_174 Depth=1
                                        ; implicit-def: $vgpr74
                                        ; implicit-def: $vgpr6
	s_cbranch_execz .LBB48_174
; %bb.194:
	s_and_saveexec_b64 s[56:57], s[52:53]
	s_cbranch_execz .LBB48_196
; %bb.195:
	v_and_b32_e32 v3, 0xff0000, v2
	v_cmp_lt_f16_e32 vcc, v71, v2
	s_mov_b32 s3, 0
	s_add_i32 s2, s2, 64
	v_cndmask_b32_e32 v4, v71, v2, vcc
	v_cmp_eq_u32_e32 vcc, 0, v3
	v_mov_b32_e32 v5, 0x10000
	s_lshl_b64 s[2:3], s[2:3], 3
	v_cndmask_b32_e32 v3, v2, v4, vcc
	v_and_b32_e32 v2, 0x10000, v2
	v_mov_b32_e32 v4, 1
	v_and_b32_sdwa v4, v68, v4 dst_sel:WORD_1 dst_unused:UNUSED_PAD src0_sel:DWORD src1_sel:DWORD
	v_cmp_eq_u32_e32 vcc, 0, v2
	s_add_u32 s2, s68, s2
	s_addc_u32 s3, s69, s3
	v_cndmask_b32_e32 v2, v5, v4, vcc
	v_mov_b32_e32 v4, 0
	v_or_b32_sdwa v2, v2, v3 dst_sel:DWORD dst_unused:UNUSED_PAD src0_sel:DWORD src1_sel:WORD_0
	v_mov_b32_e32 v3, 2
	global_store_dwordx2 v4, v[2:3], s[2:3] sc1
.LBB48_196:
	s_or_b64 exec, exec, s[56:57]
	v_cmp_eq_u32_e32 vcc, 0, v0
	s_and_b64 exec, exec, vcc
	s_cbranch_execz .LBB48_198
; %bb.197:
	v_mov_b32_e32 v2, 0
	ds_write_b16 v2, v71 offset:12
	ds_write_b8 v2, v68 offset:14
.LBB48_198:
	s_or_b64 exec, exec, s[54:55]
	v_mov_b32_e32 v2, 0
	s_waitcnt lgkmcnt(0)
	s_barrier
	ds_read_u16 v3, v2 offset:12
	v_cmp_ne_u32_e32 vcc, 0, v0
	v_mov_b32_e32 v4, v1
	v_mov_b32_e32 v5, v19
	s_and_saveexec_b64 s[2:3], vcc
; %bb.199:
	v_cndmask_b32_e64 v5, v58, v55, s[52:53]
	v_lshrrev_b32_e32 v4, 16, v58
	v_cmp_lt_f16_e32 vcc, v5, v1
	v_cndmask_b32_e64 v6, v4, v57, s[52:53]
	v_and_b32_e32 v6, 1, v6
	v_cndmask_b32_e32 v4, v5, v1, vcc
	v_cmp_eq_u16_sdwa vcc, v19, v2 src0_sel:BYTE_0 src1_sel:DWORD
	v_and_b32_e32 v5, 1, v19
	s_nop 0
	v_cndmask_b32_e32 v4, v1, v4, vcc
	v_cmp_eq_u32_e32 vcc, 1, v5
	s_nop 1
	v_cndmask_b32_e64 v5, v6, 1, vcc
; %bb.200:
	s_or_b64 exec, exec, s[2:3]
	s_waitcnt lgkmcnt(0)
	v_cmp_lt_f16_e32 vcc, v3, v4
	s_nop 1
	v_cndmask_b32_e32 v3, v3, v4, vcc
	v_cmp_eq_u16_sdwa vcc, v5, v2 src0_sel:BYTE_0 src1_sel:DWORD
	s_nop 1
	v_cndmask_b32_e32 v65, v4, v3, vcc
	v_cmp_gt_f16_e32 vcc, v56, v65
	s_nop 1
	v_cndmask_b32_e32 v2, v65, v56, vcc
	v_cndmask_b32_e64 v6, v56, v2, s[4:5]
	v_cmp_lt_f16_e32 vcc, v6, v24
	s_nop 1
	v_cndmask_b32_e32 v2, v6, v24, vcc
	v_cndmask_b32_e64 v7, v24, v2, s[6:7]
	v_cmp_lt_f16_e32 vcc, v7, v54
	;; [unrolled: 4-line block ×22, first 2 shown]
	s_nop 1
	v_cndmask_b32_e32 v2, v72, v12, vcc
	v_cndmask_b32_e64 v73, v12, v2, s[50:51]
	s_branch .LBB48_253
.LBB48_201:
	s_or_b64 exec, exec, s[58:59]
                                        ; implicit-def: $vgpr9
	s_and_saveexec_b64 s[4:5], s[6:7]
	s_cbranch_execz .LBB48_53
.LBB48_202:
	global_load_ushort v9, v[4:5], off offset:512
	s_or_b64 exec, exec, s[4:5]
                                        ; implicit-def: $vgpr18
	s_and_saveexec_b64 s[4:5], s[8:9]
	s_cbranch_execnz .LBB48_54
.LBB48_203:
	s_or_b64 exec, exec, s[4:5]
                                        ; implicit-def: $vgpr19
	s_and_saveexec_b64 s[4:5], s[10:11]
	s_cbranch_execz .LBB48_55
.LBB48_204:
	global_load_ushort v19, v[4:5], off offset:1536
	s_or_b64 exec, exec, s[4:5]
                                        ; implicit-def: $vgpr32
	s_and_saveexec_b64 s[4:5], s[12:13]
	s_cbranch_execnz .LBB48_56
.LBB48_205:
	s_or_b64 exec, exec, s[4:5]
                                        ; implicit-def: $vgpr33
	s_and_saveexec_b64 s[4:5], s[14:15]
	s_cbranch_execz .LBB48_57
.LBB48_206:
	global_load_ushort v33, v[4:5], off offset:2560
	s_or_b64 exec, exec, s[4:5]
                                        ; implicit-def: $vgpr34
	s_and_saveexec_b64 s[4:5], s[16:17]
	s_cbranch_execnz .LBB48_58
.LBB48_207:
	s_or_b64 exec, exec, s[4:5]
                                        ; implicit-def: $vgpr35
	s_and_saveexec_b64 s[4:5], s[18:19]
	s_cbranch_execz .LBB48_59
.LBB48_208:
	global_load_ushort v35, v[4:5], off offset:3584
	s_or_b64 exec, exec, s[4:5]
                                        ; implicit-def: $vgpr36
	s_and_saveexec_b64 s[4:5], s[20:21]
	s_cbranch_execnz .LBB48_60
.LBB48_209:
	s_or_b64 exec, exec, s[4:5]
                                        ; implicit-def: $vgpr37
	s_and_saveexec_b64 s[4:5], s[22:23]
	s_cbranch_execz .LBB48_61
.LBB48_210:
	v_add_co_u32_e32 v38, vcc, 0x1000, v4
	s_nop 1
	v_addc_co_u32_e32 v39, vcc, 0, v5, vcc
	global_load_ushort v37, v[38:39], off offset:512
	s_or_b64 exec, exec, s[4:5]
                                        ; implicit-def: $vgpr38
	s_and_saveexec_b64 s[4:5], s[24:25]
	s_cbranch_execnz .LBB48_62
.LBB48_211:
	s_or_b64 exec, exec, s[4:5]
                                        ; implicit-def: $vgpr39
	s_and_saveexec_b64 s[4:5], s[26:27]
	s_cbranch_execz .LBB48_63
.LBB48_212:
	v_add_co_u32_e32 v40, vcc, 0x1000, v4
	s_nop 1
	v_addc_co_u32_e32 v41, vcc, 0, v5, vcc
	global_load_ushort v39, v[40:41], off offset:1536
	s_or_b64 exec, exec, s[4:5]
                                        ; implicit-def: $vgpr40
	s_and_saveexec_b64 s[4:5], s[28:29]
	s_cbranch_execnz .LBB48_64
.LBB48_213:
	s_or_b64 exec, exec, s[4:5]
                                        ; implicit-def: $vgpr41
	s_and_saveexec_b64 s[4:5], s[30:31]
	s_cbranch_execz .LBB48_65
.LBB48_214:
	v_add_co_u32_e32 v42, vcc, 0x1000, v4
	s_nop 1
	v_addc_co_u32_e32 v43, vcc, 0, v5, vcc
	global_load_ushort v41, v[42:43], off offset:2560
	s_or_b64 exec, exec, s[4:5]
                                        ; implicit-def: $vgpr42
	s_and_saveexec_b64 s[4:5], s[34:35]
	s_cbranch_execnz .LBB48_66
.LBB48_215:
	s_or_b64 exec, exec, s[4:5]
                                        ; implicit-def: $vgpr43
	s_and_saveexec_b64 s[4:5], s[36:37]
	s_cbranch_execz .LBB48_67
.LBB48_216:
	v_add_co_u32_e32 v44, vcc, 0x1000, v4
	s_nop 1
	v_addc_co_u32_e32 v45, vcc, 0, v5, vcc
	global_load_ushort v43, v[44:45], off offset:3584
	s_or_b64 exec, exec, s[4:5]
                                        ; implicit-def: $vgpr44
	s_and_saveexec_b64 s[4:5], s[38:39]
	s_cbranch_execnz .LBB48_68
.LBB48_217:
	s_or_b64 exec, exec, s[4:5]
                                        ; implicit-def: $vgpr45
	s_and_saveexec_b64 s[4:5], s[40:41]
	s_cbranch_execz .LBB48_69
.LBB48_218:
	v_add_co_u32_e32 v46, vcc, 0x2000, v4
	s_nop 1
	v_addc_co_u32_e32 v47, vcc, 0, v5, vcc
	global_load_ushort v45, v[46:47], off offset:512
	s_or_b64 exec, exec, s[4:5]
                                        ; implicit-def: $vgpr46
	s_and_saveexec_b64 s[4:5], s[42:43]
	s_cbranch_execnz .LBB48_70
.LBB48_219:
	s_or_b64 exec, exec, s[4:5]
                                        ; implicit-def: $vgpr47
	s_and_saveexec_b64 s[4:5], s[44:45]
	s_cbranch_execz .LBB48_71
.LBB48_220:
	v_add_co_u32_e32 v48, vcc, 0x2000, v4
	s_nop 1
	v_addc_co_u32_e32 v49, vcc, 0, v5, vcc
	global_load_ushort v47, v[48:49], off offset:1536
	s_or_b64 exec, exec, s[4:5]
                                        ; implicit-def: $vgpr48
	s_and_saveexec_b64 s[4:5], s[46:47]
	s_cbranch_execnz .LBB48_72
.LBB48_221:
	s_or_b64 exec, exec, s[4:5]
                                        ; implicit-def: $vgpr49
	s_and_saveexec_b64 s[4:5], s[48:49]
	s_cbranch_execz .LBB48_73
.LBB48_222:
	v_add_co_u32_e32 v50, vcc, 0x2000, v4
	s_nop 1
	v_addc_co_u32_e32 v51, vcc, 0, v5, vcc
	global_load_ushort v49, v[50:51], off offset:2560
	s_or_b64 exec, exec, s[4:5]
                                        ; implicit-def: $vgpr50
	s_and_saveexec_b64 s[4:5], s[50:51]
	s_cbranch_execz .LBB48_75
	s_branch .LBB48_74
.LBB48_223:
                                        ; implicit-def: $vgpr73
                                        ; implicit-def: $vgpr72
                                        ; implicit-def: $vgpr65
                                        ; implicit-def: $vgpr71
                                        ; implicit-def: $vgpr70
                                        ; implicit-def: $vgpr6
                                        ; implicit-def: $vgpr69
                                        ; implicit-def: $vgpr68
                                        ; implicit-def: $vgpr7
                                        ; implicit-def: $vgpr66
                                        ; implicit-def: $vgpr63
                                        ; implicit-def: $vgpr8
                                        ; implicit-def: $vgpr67
                                        ; implicit-def: $vgpr64
                                        ; implicit-def: $vgpr9
                                        ; implicit-def: $vgpr62
                                        ; implicit-def: $vgpr61
                                        ; implicit-def: $vgpr10
                                        ; implicit-def: $vgpr60
                                        ; implicit-def: $vgpr59
                                        ; implicit-def: $vgpr11
                                        ; implicit-def: $vgpr57
                                        ; implicit-def: $vgpr55
                                        ; implicit-def: $vgpr58
	s_cbranch_execz .LBB48_253
; %bb.224:
	s_cmp_lg_u64 s[96:97], 0
	s_cselect_b64 s[2:3], -1, 0
	v_cmp_eq_u32_e32 vcc, 0, v0
	v_cmp_ne_u32_e64 s[4:5], 0, v0
	s_and_b64 s[2:3], vcc, s[2:3]
	s_and_saveexec_b64 s[6:7], s[2:3]
	s_cbranch_execz .LBB48_228
; %bb.225:
	v_mov_b32_e32 v3, 0
	global_load_ubyte v2, v3, s[96:97] offset:2
	v_cmp_eq_u16_sdwa s[2:3], v19, v3 src0_sel:BYTE_0 src1_sel:DWORD
	s_and_saveexec_b64 s[8:9], s[2:3]
	s_cbranch_execz .LBB48_227
; %bb.226:
	global_load_ushort v3, v3, s[96:97]
	s_waitcnt vmcnt(0)
	v_cmp_lt_f16_e64 s[2:3], v3, v1
	s_nop 1
	v_cndmask_b32_e64 v1, v3, v1, s[2:3]
.LBB48_227:
	s_or_b64 exec, exec, s[8:9]
	v_and_b32_e32 v3, 1, v19
	s_waitcnt vmcnt(0)
	v_and_b32_e32 v2, 1, v2
	v_cmp_eq_u32_e64 s[2:3], 1, v3
	s_nop 1
	v_cndmask_b32_e64 v19, v2, 1, s[2:3]
.LBB48_228:
	s_or_b64 exec, exec, s[6:7]
	v_mov_b32_e32 v2, 0
	v_cmp_gt_f16_e64 s[2:3], v56, v1
	v_cmp_eq_u16_sdwa s[6:7], v35, v2 src0_sel:BYTE_0 src1_sel:DWORD
	v_cmp_eq_u16_sdwa s[8:9], v33, v2 src0_sel:BYTE_0 src1_sel:DWORD
	v_cndmask_b32_e64 v3, v1, v56, s[2:3]
	v_cndmask_b32_e64 v3, v56, v3, s[6:7]
	v_cmp_lt_f16_e64 s[2:3], v3, v24
	v_cmp_eq_u16_sdwa s[10:11], v34, v2 src0_sel:BYTE_0 src1_sel:DWORD
	v_cmp_eq_u16_sdwa s[12:13], v51, v2 src0_sel:BYTE_0 src1_sel:DWORD
	v_cndmask_b32_e64 v3, v3, v24, s[2:3]
	v_cndmask_b32_e64 v3, v24, v3, s[8:9]
	v_cmp_lt_f16_e64 s[2:3], v3, v54
	v_cmp_eq_u16_sdwa s[14:15], v52, v2 src0_sel:BYTE_0 src1_sel:DWORD
	s_movk_i32 s50, 0xff
	v_cndmask_b32_e64 v3, v3, v54, s[2:3]
	v_cndmask_b32_e64 v3, v54, v3, s[10:11]
	v_cmp_lt_f16_e64 s[2:3], v3, v23
	v_and_b32_sdwa v4, v51, s50 dst_sel:DWORD dst_unused:UNUSED_PAD src0_sel:WORD_1 src1_sel:DWORD
	v_cmp_eq_u16_e64 s[16:17], 0, v4
	v_cndmask_b32_e64 v3, v3, v23, s[2:3]
	v_cndmask_b32_e64 v3, v23, v3, s[12:13]
	v_cmp_lt_f16_e64 s[2:3], v3, v50
	v_cmp_eq_u16_sdwa s[18:19], v51, v2 src0_sel:BYTE_3 src1_sel:DWORD
	v_cmp_eq_u16_sdwa s[20:21], v37, v2 src0_sel:BYTE_0 src1_sel:DWORD
	v_cndmask_b32_e64 v3, v3, v50, s[2:3]
	v_cndmask_b32_e64 v3, v50, v3, s[14:15]
	v_cmp_lt_f16_e64 s[2:3], v3, v22
	v_cmp_eq_u16_sdwa s[22:23], v47, v2 src0_sel:BYTE_0 src1_sel:DWORD
	v_cmp_eq_u16_sdwa s[24:25], v49, v2 src0_sel:BYTE_0 src1_sel:DWORD
	v_cndmask_b32_e64 v3, v3, v22, s[2:3]
	v_cndmask_b32_e64 v3, v22, v3, s[16:17]
	v_cmp_lt_f16_e64 s[2:3], v3, v48
	v_and_b32_sdwa v4, v47, s50 dst_sel:DWORD dst_unused:UNUSED_PAD src0_sel:WORD_1 src1_sel:DWORD
	v_cmp_eq_u16_e64 s[26:27], 0, v4
	v_cndmask_b32_e64 v3, v3, v48, s[2:3]
	v_cndmask_b32_e64 v3, v48, v3, s[18:19]
	v_cmp_lt_f16_e64 s[2:3], v3, v21
	v_cmp_eq_u16_sdwa s[28:29], v47, v2 src0_sel:BYTE_3 src1_sel:DWORD
	v_cmp_eq_u16_sdwa s[30:31], v39, v2 src0_sel:BYTE_0 src1_sel:DWORD
	v_cndmask_b32_e64 v3, v3, v21, s[2:3]
	v_cndmask_b32_e64 v3, v21, v3, s[20:21]
	v_cmp_lt_f16_e64 s[2:3], v3, v46
	v_and_b32_sdwa v4, v44, s50 dst_sel:DWORD dst_unused:UNUSED_PAD src0_sel:WORD_1 src1_sel:DWORD
	v_cmp_eq_u16_e64 s[40:41], 0, v4
	v_cndmask_b32_e64 v3, v3, v46, s[2:3]
	v_cndmask_b32_e64 v3, v46, v3, s[22:23]
	v_cmp_lt_f16_e64 s[2:3], v3, v20
	v_cmp_eq_u16_sdwa s[42:43], v44, v2 src0_sel:BYTE_3 src1_sel:DWORD
	v_cmp_eq_u16_sdwa s[44:45], v36, v2 src0_sel:BYTE_0 src1_sel:DWORD
	v_cndmask_b32_e64 v3, v3, v20, s[2:3]
	v_cndmask_b32_e64 v3, v20, v3, s[24:25]
	v_cmp_lt_f16_e64 s[2:3], v3, v45
	v_cmp_eq_u16_sdwa s[46:47], v41, v2 src0_sel:BYTE_0 src1_sel:DWORD
	v_cmp_eq_u16_sdwa s[48:49], v29, v2 src0_sel:BYTE_0 src1_sel:DWORD
	v_cndmask_b32_e64 v3, v3, v45, s[2:3]
	v_cndmask_b32_e64 v3, v45, v3, s[26:27]
	v_cmp_lt_f16_e64 s[2:3], v3, v18
	v_and_b32_sdwa v4, v41, s50 dst_sel:DWORD dst_unused:UNUSED_PAD src0_sel:WORD_1 src1_sel:DWORD
	v_cmp_eq_u16_e64 s[50:51], 0, v4
	v_cndmask_b32_e64 v3, v3, v18, s[2:3]
	v_cndmask_b32_e64 v3, v18, v3, s[28:29]
	v_cmp_lt_f16_e64 s[2:3], v3, v43
	v_cmp_eq_u16_sdwa s[52:53], v41, v2 src0_sel:BYTE_3 src1_sel:DWORD
	v_mov_b32_e32 v6, 1
	v_cndmask_b32_e64 v3, v3, v43, s[2:3]
	v_cndmask_b32_e64 v3, v43, v3, s[30:31]
	v_cmp_lt_f16_e64 s[34:35], v3, v17
	v_cmp_eq_u32_e64 s[58:59], 1, v27
	v_cmp_eq_u32_e64 s[56:57], 1, v28
	v_cndmask_b32_e64 v3, v3, v17, s[34:35]
	v_cmp_eq_u16_sdwa s[34:35], v44, v2 src0_sel:BYTE_0 src1_sel:DWORD
	v_cmp_eq_u32_e64 s[2:3], 1, v30
	v_cmp_eq_u32_e64 s[54:55], 1, v53
	v_cndmask_b32_e64 v3, v17, v3, s[34:35]
	v_cmp_lt_f16_e64 s[36:37], v3, v42
	s_nop 1
	v_cndmask_b32_e64 v3, v3, v42, s[36:37]
	v_cmp_eq_u16_sdwa s[36:37], v31, v2 src0_sel:BYTE_0 src1_sel:DWORD
	s_nop 1
	v_cndmask_b32_e64 v3, v42, v3, s[36:37]
	v_cmp_lt_f16_e64 s[38:39], v3, v16
	s_nop 1
	v_cndmask_b32_e64 v3, v3, v16, s[38:39]
	v_cndmask_b32_e64 v3, v16, v3, s[40:41]
	v_cmp_lt_f16_e64 s[38:39], v3, v40
	s_nop 1
	v_cndmask_b32_e64 v3, v3, v40, s[38:39]
	;; [unrolled: 4-line block ×8, first 2 shown]
	v_cmp_eq_u16_sdwa s[38:39], v25, v2 src0_sel:BYTE_0 src1_sel:DWORD
	s_nop 1
	v_cndmask_b32_e64 v2, v12, v3, s[38:39]
	v_or_b32_e32 v3, v41, v44
	v_or3_b32 v3, v3, v47, v51
	v_lshrrev_b16_e32 v5, 7, v3
	v_and_b32_e32 v4, 1, v3
	v_and_b32_e32 v5, 2, v5
	v_or_b32_e32 v4, v4, v5
	v_lshrrev_b32_e32 v5, 23, v3
	v_and_b32_e32 v5, 2, v5
	v_and_b32_sdwa v3, v3, v6 dst_sel:DWORD dst_unused:UNUSED_PAD src0_sel:WORD_1 src1_sel:DWORD
	v_or_b32_e32 v3, v3, v5
	v_lshlrev_b16_e32 v3, 2, v3
	v_or_b32_e32 v3, v4, v3
	v_cmp_ne_u16_e64 s[60:61], 0, v3
	v_or_b32_e32 v3, v37, v34
	s_or_b64 s[58:59], s[60:61], s[58:59]
	v_or_b32_e32 v3, v3, v33
	s_or_b64 s[56:57], s[58:59], s[56:57]
	v_and_b32_e32 v3, 1, v3
	s_or_b64 s[56:57], s[56:57], s[2:3]
	v_cmp_eq_u32_e64 s[2:3], 1, v3
	s_or_b64 s[2:3], s[56:57], s[2:3]
	s_or_b64 s[2:3], s[2:3], s[54:55]
	v_cndmask_b32_e64 v4, v19, 1, s[2:3]
	v_mbcnt_hi_u32_b32 v3, -1, v26
	v_and_b32_e32 v9, 0xff, v4
	v_and_b32_e32 v5, 0xffff, v2
	;; [unrolled: 1-line block ×3, first 2 shown]
	v_lshl_or_b32 v5, v9, 16, v5
	v_cmp_ne_u32_e64 s[2:3], 0, v7
	s_nop 0
	v_mov_b32_dpp v8, v5 row_shr:1 row_mask:0xf bank_mask:0xf
	s_and_saveexec_b64 s[54:55], s[2:3]
; %bb.229:
	v_cmp_gt_f16_e64 s[2:3], v2, v8
	v_and_b32_e32 v4, 1, v4
	s_nop 0
	v_cndmask_b32_e64 v5, v8, v2, s[2:3]
	v_cmp_eq_u16_e64 s[2:3], 0, v9
	s_nop 1
	v_cndmask_b32_e64 v2, v2, v5, s[2:3]
	v_and_b32_sdwa v5, v8, v6 dst_sel:DWORD dst_unused:UNUSED_PAD src0_sel:WORD_1 src1_sel:DWORD
	v_cmp_eq_u32_e64 s[2:3], 1, v4
	s_nop 1
	v_cndmask_b32_e64 v4, v5, 1, s[2:3]
	v_lshlrev_b32_e32 v5, 16, v4
	v_or_b32_sdwa v5, v5, v2 dst_sel:DWORD dst_unused:UNUSED_PAD src0_sel:DWORD src1_sel:WORD_0
; %bb.230:
	s_or_b64 exec, exec, s[54:55]
	v_lshrrev_b32_e32 v6, 16, v5
	v_mov_b32_dpp v8, v5 row_shr:2 row_mask:0xf bank_mask:0xf
	v_cmp_lt_u32_e64 s[2:3], 1, v7
	s_and_saveexec_b64 s[54:55], s[2:3]
	s_cbranch_execz .LBB48_232
; %bb.231:
	s_mov_b32 s56, 0x10000
	v_cmp_gt_f16_e64 s[2:3], v2, v8
	s_nop 1
	v_cndmask_b32_e64 v4, v8, v2, s[2:3]
	v_cmp_gt_u32_e64 s[2:3], s56, v5
	s_nop 1
	v_cndmask_b32_e64 v2, v2, v4, s[2:3]
	v_and_b32_e32 v4, 0x10000, v5
	v_mov_b32_e32 v5, 1
	v_and_b32_sdwa v5, v8, v5 dst_sel:DWORD dst_unused:UNUSED_PAD src0_sel:WORD_1 src1_sel:DWORD
	v_cmp_ne_u32_e64 s[2:3], 0, v4
	s_nop 1
	v_cndmask_b32_e64 v4, v5, 1, s[2:3]
	v_lshlrev_b32_e32 v5, 16, v4
	v_or_b32_sdwa v5, v5, v2 dst_sel:DWORD dst_unused:UNUSED_PAD src0_sel:DWORD src1_sel:WORD_0
	v_mov_b32_e32 v6, v4
.LBB48_232:
	s_or_b64 exec, exec, s[54:55]
	v_mov_b32_dpp v8, v5 row_shr:4 row_mask:0xf bank_mask:0xf
	v_cmp_lt_u32_e64 s[2:3], 3, v7
	s_and_saveexec_b64 s[54:55], s[2:3]
	s_cbranch_execz .LBB48_234
; %bb.233:
	v_cmp_gt_f16_e64 s[2:3], v2, v8
	v_mov_b32_e32 v5, 1
	v_and_b32_sdwa v5, v8, v5 dst_sel:DWORD dst_unused:UNUSED_PAD src0_sel:WORD_1 src1_sel:DWORD
	v_cndmask_b32_e64 v4, v8, v2, s[2:3]
	v_cmp_eq_u16_e64 s[2:3], 0, v6
	s_nop 1
	v_cndmask_b32_e64 v2, v2, v4, s[2:3]
	v_and_b32_e32 v4, 1, v6
	v_cmp_eq_u32_e64 s[2:3], 1, v4
	s_nop 1
	v_cndmask_b32_e64 v4, v5, 1, s[2:3]
	v_lshlrev_b32_e32 v5, 16, v4
	v_or_b32_sdwa v5, v5, v2 dst_sel:DWORD dst_unused:UNUSED_PAD src0_sel:DWORD src1_sel:WORD_0
	v_mov_b32_e32 v6, v4
.LBB48_234:
	s_or_b64 exec, exec, s[54:55]
	v_mov_b32_dpp v8, v5 row_shr:8 row_mask:0xf bank_mask:0xf
	v_cmp_lt_u32_e64 s[2:3], 7, v7
	s_and_saveexec_b64 s[54:55], s[2:3]
	s_cbranch_execz .LBB48_236
; %bb.235:
	v_cmp_gt_f16_e64 s[2:3], v2, v8
	v_mov_b32_e32 v5, 1
	v_and_b32_sdwa v5, v8, v5 dst_sel:DWORD dst_unused:UNUSED_PAD src0_sel:WORD_1 src1_sel:DWORD
	v_cndmask_b32_e64 v4, v8, v2, s[2:3]
	v_cmp_eq_u16_e64 s[2:3], 0, v6
	s_nop 1
	v_cndmask_b32_e64 v2, v2, v4, s[2:3]
	v_and_b32_e32 v4, 1, v6
	v_cmp_eq_u32_e64 s[2:3], 1, v4
	s_nop 1
	v_cndmask_b32_e64 v4, v5, 1, s[2:3]
	v_lshlrev_b32_e32 v5, 16, v4
	v_or_b32_sdwa v5, v5, v2 dst_sel:DWORD dst_unused:UNUSED_PAD src0_sel:DWORD src1_sel:WORD_0
	v_mov_b32_e32 v6, v4
.LBB48_236:
	s_or_b64 exec, exec, s[54:55]
	v_and_b32_e32 v8, 16, v3
	v_mov_b32_dpp v7, v5 row_bcast:15 row_mask:0xf bank_mask:0xf
	v_cmp_ne_u32_e64 s[2:3], 0, v8
	s_and_saveexec_b64 s[54:55], s[2:3]
	s_cbranch_execz .LBB48_238
; %bb.237:
	v_cmp_gt_f16_e64 s[2:3], v2, v7
	v_mov_b32_e32 v5, 1
	v_and_b32_sdwa v5, v7, v5 dst_sel:DWORD dst_unused:UNUSED_PAD src0_sel:WORD_1 src1_sel:DWORD
	v_cndmask_b32_e64 v4, v7, v2, s[2:3]
	v_cmp_eq_u16_e64 s[2:3], 0, v6
	s_nop 1
	v_cndmask_b32_e64 v2, v2, v4, s[2:3]
	v_and_b32_e32 v4, 1, v6
	v_cmp_eq_u32_e64 s[2:3], 1, v4
	s_nop 1
	v_cndmask_b32_e64 v4, v5, 1, s[2:3]
	v_lshlrev_b32_e32 v5, 16, v4
	v_or_b32_sdwa v5, v5, v2 dst_sel:DWORD dst_unused:UNUSED_PAD src0_sel:DWORD src1_sel:WORD_0
	v_mov_b32_e32 v6, v4
.LBB48_238:
	s_or_b64 exec, exec, s[54:55]
	v_mov_b32_dpp v5, v5 row_bcast:31 row_mask:0xf bank_mask:0xf
	v_cmp_lt_u32_e64 s[2:3], 31, v3
	s_and_saveexec_b64 s[54:55], s[2:3]
; %bb.239:
	v_and_b32_e32 v4, 1, v6
	v_mov_b32_e32 v7, 1
	v_and_b32_sdwa v7, v5, v7 dst_sel:DWORD dst_unused:UNUSED_PAD src0_sel:WORD_1 src1_sel:DWORD
	v_cmp_eq_u32_e64 s[2:3], 1, v4
	s_nop 1
	v_cndmask_b32_e64 v4, v7, 1, s[2:3]
	v_cmp_gt_f16_e64 s[2:3], v2, v5
	s_nop 1
	v_cndmask_b32_e64 v5, v5, v2, s[2:3]
	v_cmp_eq_u16_e64 s[2:3], 0, v6
	s_nop 1
	v_cndmask_b32_e64 v2, v2, v5, s[2:3]
; %bb.240:
	s_or_b64 exec, exec, s[54:55]
	v_or_b32_e32 v6, 63, v0
	v_lshrrev_b32_e32 v5, 6, v0
	v_cmp_eq_u32_e64 s[2:3], v6, v0
	s_and_saveexec_b64 s[54:55], s[2:3]
	s_cbranch_execz .LBB48_242
; %bb.241:
	v_lshlrev_b32_e32 v6, 2, v5
	ds_write_b16 v6, v2
	ds_write_b8 v6, v4 offset:2
.LBB48_242:
	s_or_b64 exec, exec, s[54:55]
	v_cmp_gt_u32_e64 s[2:3], 4, v0
	s_waitcnt lgkmcnt(0)
	s_barrier
	s_and_saveexec_b64 s[56:57], s[2:3]
	s_cbranch_execz .LBB48_246
; %bb.243:
	v_lshlrev_b32_e32 v6, 2, v0
	ds_read_b32 v10, v6
	v_and_b32_e32 v7, 3, v3
	v_cmp_ne_u32_e64 s[2:3], 0, v7
	s_waitcnt lgkmcnt(0)
	v_lshrrev_b32_e32 v9, 16, v10
	v_mov_b32_dpp v11, v10 row_shr:1 row_mask:0xf bank_mask:0xf
	v_mov_b32_e32 v8, v10
	s_and_saveexec_b64 s[54:55], s[2:3]
	s_cbranch_execz .LBB48_245
; %bb.244:
	v_mov_b32_e32 v8, 0
	v_cmp_gt_f16_e64 s[2:3], v10, v11
	s_nop 1
	v_cndmask_b32_e64 v25, v11, v10, s[2:3]
	v_cmp_eq_u16_sdwa s[2:3], v9, v8 src0_sel:BYTE_0 src1_sel:DWORD
	v_and_b32_e32 v9, 0x10000, v10
	s_nop 0
	v_cndmask_b32_e64 v8, v10, v25, s[2:3]
	v_and_b32_e32 v25, 0xff000000, v10
	v_mov_b32_e32 v10, 1
	v_and_b32_sdwa v10, v11, v10 dst_sel:DWORD dst_unused:UNUSED_PAD src0_sel:WORD_1 src1_sel:DWORD
	v_cmp_ne_u32_e64 s[2:3], 0, v9
	v_and_b32_e32 v11, 0xffff, v8
	s_nop 0
	v_cndmask_b32_e64 v9, v10, 1, s[2:3]
	v_lshlrev_b32_e32 v10, 16, v9
	v_or3_b32 v10, v10, v25, v11
.LBB48_245:
	s_or_b64 exec, exec, s[54:55]
	s_nop 0
	v_mov_b32_dpp v11, v10 row_shr:2 row_mask:0xf bank_mask:0xf
	v_and_b32_e32 v25, 0xff0000, v10
	v_cmp_gt_f16_e64 s[54:55], v8, v11
	v_and_b32_e32 v10, 0x10000, v10
	v_mov_b32_e32 v26, 1
	v_cmp_eq_u32_e64 s[2:3], 0, v25
	v_cndmask_b32_e64 v25, v11, v8, s[54:55]
	v_and_b32_sdwa v11, v11, v26 dst_sel:DWORD dst_unused:UNUSED_PAD src0_sel:WORD_1 src1_sel:DWORD
	v_cmp_eq_u32_e64 s[54:55], 0, v10
	s_nop 1
	v_cndmask_b32_e64 v10, 1, v11, s[54:55]
	v_cmp_lt_u32_e64 s[54:55], 1, v7
	s_and_b64 s[2:3], s[54:55], s[2:3]
	v_cndmask_b32_e64 v8, v8, v25, s[2:3]
	v_cndmask_b32_e64 v7, v9, v10, s[54:55]
	ds_write_b16 v6, v8
	ds_write_b8 v6, v7 offset:2
.LBB48_246:
	s_or_b64 exec, exec, s[56:57]
	v_cmp_lt_u32_e64 s[2:3], 63, v0
	v_mov_b32_e32 v6, 0
	s_waitcnt lgkmcnt(0)
	s_barrier
	s_and_saveexec_b64 s[54:55], s[2:3]
	s_cbranch_execz .LBB48_248
; %bb.247:
	v_lshl_add_u32 v5, v5, 2, -4
	ds_read_u16 v6, v5
	ds_read_u8 v5, v5 offset:2
	v_mov_b32_e32 v7, 0
	s_waitcnt lgkmcnt(1)
	v_cmp_gt_f16_e64 s[2:3], v2, v6
	s_nop 1
	v_cndmask_b32_e64 v8, v6, v2, s[2:3]
	v_cmp_eq_u16_sdwa s[2:3], v4, v7 src0_sel:BYTE_0 src1_sel:DWORD
	v_and_b32_e32 v4, 1, v4
	s_nop 0
	v_cndmask_b32_e64 v2, v2, v8, s[2:3]
	v_cmp_eq_u32_e64 s[2:3], 1, v4
	s_waitcnt lgkmcnt(0)
	s_nop 0
	v_cndmask_b32_e64 v4, v5, 1, s[2:3]
.LBB48_248:
	s_or_b64 exec, exec, s[54:55]
	v_and_b32_e32 v4, 0xff, v4
	v_and_b32_e32 v2, 0xffff, v2
	v_lshl_or_b32 v2, v4, 16, v2
	v_add_u32_e32 v4, -1, v3
	v_and_b32_e32 v5, 64, v3
	v_cmp_lt_i32_e64 s[2:3], v4, v5
	s_nop 1
	v_cndmask_b32_e64 v4, v4, v3, s[2:3]
	v_lshlrev_b32_e32 v4, 2, v4
	ds_bpermute_b32 v2, v4, v2
	s_and_saveexec_b64 s[54:55], s[4:5]
	s_cbranch_execz .LBB48_250
; %bb.249:
	v_cmp_eq_u32_e64 s[2:3], 0, v3
	v_mov_b32_e32 v3, 0
	s_waitcnt lgkmcnt(0)
	v_cndmask_b32_e64 v2, v2, v6, s[2:3]
	v_cmp_lt_f16_e64 s[2:3], v2, v1
	s_nop 1
	v_cndmask_b32_e64 v2, v2, v1, s[2:3]
	v_cmp_eq_u16_sdwa s[2:3], v19, v3 src0_sel:BYTE_0 src1_sel:DWORD
	s_nop 1
	v_cndmask_b32_e64 v1, v1, v2, s[2:3]
.LBB48_250:
	s_or_b64 exec, exec, s[54:55]
	v_cmp_lt_f16_e64 s[2:3], v1, v56
	s_waitcnt lgkmcnt(0)
	s_nop 0
	v_cndmask_b32_e64 v2, v1, v56, s[2:3]
	v_cndmask_b32_e64 v6, v56, v2, s[6:7]
	v_cmp_lt_f16_e64 s[2:3], v6, v24
	s_nop 1
	v_cndmask_b32_e64 v2, v6, v24, s[2:3]
	v_cndmask_b32_e64 v7, v24, v2, s[8:9]
	v_cmp_lt_f16_e64 s[2:3], v7, v54
	;; [unrolled: 4-line block ×22, first 2 shown]
	s_nop 1
	v_cndmask_b32_e64 v2, v72, v12, s[2:3]
	s_and_saveexec_b64 s[2:3], vcc
	s_cbranch_execz .LBB48_252
; %bb.251:
	v_mov_b32_e32 v3, 0
	ds_read_u8 v4, v3 offset:14
	ds_read_u16 v5, v3 offset:12
	s_waitcnt lgkmcnt(1)
	v_lshlrev_b32_e32 v4, 16, v4
	s_waitcnt lgkmcnt(0)
	v_or_b32_e32 v4, v4, v5
	v_mov_b32_e32 v5, 2
	global_store_dwordx2 v3, v[4:5], s[68:69] offset:512 sc1
.LBB48_252:
	s_or_b64 exec, exec, s[2:3]
	v_cndmask_b32_e64 v73, v12, v2, s[38:39]
	v_mov_b32_e32 v65, v1
.LBB48_253:
	s_load_dwordx2 s[0:1], s[0:1], 0x18
	v_mul_u32_u24_e32 v1, 24, v0
	v_lshlrev_b32_e32 v12, 1, v1
	v_lshlrev_b32_e32 v2, 1, v0
	s_waitcnt lgkmcnt(0)
	s_add_u32 s0, s0, s94
	s_addc_u32 s1, s1, s95
	s_and_b64 vcc, exec, s[74:75]
	s_cbranch_vccz .LBB48_301
; %bb.254:
	s_mov_b32 s2, 0x5040100
	v_perm_b32 v17, v58, v11, s2
	v_perm_b32 v16, v10, v9, s2
	;; [unrolled: 1-line block ×4, first 2 shown]
	s_barrier
	ds_write_b128 v12, v[14:17]
	v_perm_b32 v17, v67, v64, s2
	v_perm_b32 v16, v62, v61, s2
	;; [unrolled: 1-line block ×4, first 2 shown]
	ds_write_b128 v12, v[14:17] offset:16
	v_perm_b32 v17, v73, v72, s2
	v_perm_b32 v16, v71, v70, s2
	;; [unrolled: 1-line block ×4, first 2 shown]
	s_movk_i32 s2, 0xffd2
	v_mad_i32_i24 v3, v0, s2, v12
	ds_write_b128 v12, v[14:17] offset:32
	s_waitcnt lgkmcnt(0)
	s_barrier
	ds_read_u16 v34, v3 offset:512
	ds_read_u16 v33, v3 offset:1024
	;; [unrolled: 1-line block ×23, first 2 shown]
	s_add_i32 s33, s33, s70
	v_mov_b32_e32 v3, 0
	v_lshl_add_u64 v[4:5], s[0:1], 0, v[2:3]
	v_cmp_gt_u32_e32 vcc, s33, v0
	s_and_saveexec_b64 s[2:3], vcc
	s_cbranch_execz .LBB48_256
; %bb.255:
	v_mul_i32_i24_e32 v35, 0xffffffd2, v0
	v_add_u32_e32 v35, v12, v35
	ds_read_u16 v35, v35
	s_waitcnt lgkmcnt(0)
	global_store_short v[4:5], v35, off
.LBB48_256:
	s_or_b64 exec, exec, s[2:3]
	v_or_b32_e32 v35, 0x100, v0
	v_cmp_gt_u32_e32 vcc, s33, v35
	s_and_saveexec_b64 s[2:3], vcc
	s_cbranch_execz .LBB48_258
; %bb.257:
	s_waitcnt lgkmcnt(14)
	global_store_short v[4:5], v34, off offset:512
.LBB48_258:
	s_or_b64 exec, exec, s[2:3]
	s_waitcnt lgkmcnt(14)
	v_or_b32_e32 v34, 0x200, v0
	v_cmp_gt_u32_e32 vcc, s33, v34
	s_and_saveexec_b64 s[2:3], vcc
	s_cbranch_execz .LBB48_260
; %bb.259:
	global_store_short v[4:5], v33, off offset:1024
.LBB48_260:
	s_or_b64 exec, exec, s[2:3]
	v_or_b32_e32 v33, 0x300, v0
	v_cmp_gt_u32_e32 vcc, s33, v33
	s_and_saveexec_b64 s[2:3], vcc
	s_cbranch_execz .LBB48_262
; %bb.261:
	global_store_short v[4:5], v32, off offset:1536
.LBB48_262:
	s_or_b64 exec, exec, s[2:3]
	;; [unrolled: 8-line block ×6, first 2 shown]
	v_or_b32_e32 v28, 0x800, v0
	v_cmp_gt_u32_e32 vcc, s33, v28
	s_and_saveexec_b64 s[2:3], vcc
	s_cbranch_execz .LBB48_272
; %bb.271:
	v_add_co_u32_e32 v28, vcc, 0x1000, v4
	s_nop 1
	v_addc_co_u32_e32 v29, vcc, 0, v5, vcc
	global_store_short v[28:29], v27, off
.LBB48_272:
	s_or_b64 exec, exec, s[2:3]
	v_or_b32_e32 v27, 0x900, v0
	v_cmp_gt_u32_e32 vcc, s33, v27
	s_and_saveexec_b64 s[2:3], vcc
	s_cbranch_execz .LBB48_274
; %bb.273:
	v_add_co_u32_e32 v28, vcc, 0x1000, v4
	s_nop 1
	v_addc_co_u32_e32 v29, vcc, 0, v5, vcc
	global_store_short v[28:29], v26, off offset:512
.LBB48_274:
	s_or_b64 exec, exec, s[2:3]
	v_or_b32_e32 v26, 0xa00, v0
	v_cmp_gt_u32_e32 vcc, s33, v26
	s_and_saveexec_b64 s[2:3], vcc
	s_cbranch_execz .LBB48_276
; %bb.275:
	v_add_co_u32_e32 v26, vcc, 0x1000, v4
	s_nop 1
	v_addc_co_u32_e32 v27, vcc, 0, v5, vcc
	s_waitcnt lgkmcnt(13)
	global_store_short v[26:27], v25, off offset:1024
.LBB48_276:
	s_or_b64 exec, exec, s[2:3]
	s_waitcnt lgkmcnt(13)
	v_or_b32_e32 v25, 0xb00, v0
	v_cmp_gt_u32_e32 vcc, s33, v25
	s_and_saveexec_b64 s[2:3], vcc
	s_cbranch_execz .LBB48_278
; %bb.277:
	v_add_co_u32_e32 v26, vcc, 0x1000, v4
	s_nop 1
	v_addc_co_u32_e32 v27, vcc, 0, v5, vcc
	s_waitcnt lgkmcnt(12)
	global_store_short v[26:27], v24, off offset:1536
.LBB48_278:
	s_or_b64 exec, exec, s[2:3]
	s_waitcnt lgkmcnt(12)
	;; [unrolled: 13-line block ×6, first 2 shown]
	v_or_b32_e32 v20, 0x1000, v0
	v_cmp_gt_u32_e32 vcc, s33, v20
	s_and_saveexec_b64 s[2:3], vcc
	s_cbranch_execz .LBB48_288
; %bb.287:
	v_add_co_u32_e32 v20, vcc, 0x2000, v4
	s_nop 1
	v_addc_co_u32_e32 v21, vcc, 0, v5, vcc
	s_waitcnt lgkmcnt(7)
	global_store_short v[20:21], v19, off
.LBB48_288:
	s_or_b64 exec, exec, s[2:3]
	s_waitcnt lgkmcnt(7)
	v_or_b32_e32 v19, 0x1100, v0
	v_cmp_gt_u32_e32 vcc, s33, v19
	s_and_saveexec_b64 s[2:3], vcc
	s_cbranch_execz .LBB48_290
; %bb.289:
	v_add_co_u32_e32 v20, vcc, 0x2000, v4
	s_nop 1
	v_addc_co_u32_e32 v21, vcc, 0, v5, vcc
	s_waitcnt lgkmcnt(6)
	global_store_short v[20:21], v18, off offset:512
.LBB48_290:
	s_or_b64 exec, exec, s[2:3]
	s_waitcnt lgkmcnt(6)
	v_or_b32_e32 v18, 0x1200, v0
	v_cmp_gt_u32_e32 vcc, s33, v18
	s_and_saveexec_b64 s[2:3], vcc
	s_cbranch_execz .LBB48_292
; %bb.291:
	v_add_co_u32_e32 v18, vcc, 0x2000, v4
	s_nop 1
	v_addc_co_u32_e32 v19, vcc, 0, v5, vcc
	s_waitcnt lgkmcnt(5)
	global_store_short v[18:19], v17, off offset:1024
.LBB48_292:
	;; [unrolled: 13-line block ×6, first 2 shown]
	s_or_b64 exec, exec, s[2:3]
	s_waitcnt lgkmcnt(1)
	v_mov_b32_e32 v1, v3
	v_or_b32_e32 v3, 0x1700, v0
	v_cmp_gt_u32_e64 s[2:3], s33, v3
	s_branch .LBB48_303
.LBB48_301:
	s_mov_b64 s[2:3], 0
                                        ; implicit-def: $vgpr13
	s_cbranch_execz .LBB48_303
; %bb.302:
	s_mov_b32 s4, 0x5040100
	v_perm_b32 v10, v10, v9, s4
	v_perm_b32 v9, v8, v7, s4
	;; [unrolled: 1-line block ×7, first 2 shown]
	s_waitcnt lgkmcnt(0)
	s_barrier
	v_perm_b32 v11, v58, v11, s4
	ds_write_b128 v12, v[4:7] offset:16
	v_perm_b32 v7, v73, v72, s4
	v_perm_b32 v6, v71, v70, s4
	;; [unrolled: 1-line block ×4, first 2 shown]
	s_movk_i32 s4, 0xffd2
	v_mov_b32_e32 v1, 0
	v_mad_i32_i24 v3, v0, s4, v12
	ds_write_b128 v12, v[8:11]
	ds_write_b128 v12, v[4:7] offset:32
	s_waitcnt lgkmcnt(0)
	s_barrier
	ds_read_u16 v6, v3
	ds_read_u16 v7, v3 offset:512
	ds_read_u16 v8, v3 offset:1024
	;; [unrolled: 1-line block ×23, first 2 shown]
	v_mov_b32_e32 v3, v1
	v_lshl_add_u64 v[4:5], s[0:1], 0, v[2:3]
	s_movk_i32 s4, 0x1000
	s_waitcnt lgkmcnt(14)
	global_store_short v2, v6, s[0:1]
	global_store_short v2, v7, s[0:1] offset:512
	global_store_short v2, v8, s[0:1] offset:1024
	;; [unrolled: 1-line block ×7, first 2 shown]
	v_add_co_u32_e32 v2, vcc, s4, v4
	s_or_b64 s[2:3], s[2:3], exec
	s_nop 0
	v_addc_co_u32_e32 v3, vcc, 0, v5, vcc
	global_store_short v[2:3], v15, off
	global_store_short v[2:3], v16, off offset:512
	s_waitcnt lgkmcnt(13)
	global_store_short v[2:3], v17, off offset:1024
	s_waitcnt lgkmcnt(12)
	;; [unrolled: 2-line block ×6, first 2 shown]
	global_store_short v[2:3], v22, off offset:3584
	v_add_co_u32_e32 v2, vcc, 0x2000, v4
	s_nop 1
	v_addc_co_u32_e32 v3, vcc, 0, v5, vcc
	s_waitcnt lgkmcnt(7)
	global_store_short v[2:3], v23, off
	s_waitcnt lgkmcnt(6)
	global_store_short v[2:3], v24, off offset:512
	s_waitcnt lgkmcnt(5)
	global_store_short v[2:3], v25, off offset:1024
	;; [unrolled: 2-line block ×6, first 2 shown]
.LBB48_303:
	s_and_saveexec_b64 s[4:5], s[2:3]
	s_cbranch_execz .LBB48_305
; %bb.304:
	v_lshl_add_u64 v[0:1], v[0:1], 1, s[0:1]
	v_add_co_u32_e32 v0, vcc, 0x2000, v0
	s_nop 1
	v_addc_co_u32_e32 v1, vcc, 0, v1, vcc
	s_waitcnt lgkmcnt(0)
	global_store_short v[0:1], v13, off offset:3584
	s_endpgm
.LBB48_305:
	s_endpgm
	.section	.rodata,"a",@progbits
	.p2align	6, 0x0
	.amdhsa_kernel _ZN7rocprim6detail25device_scan_by_key_kernelILNS0_25lookback_scan_determinismE0ELb0ENS0_26wrapped_scan_by_key_configINS_14default_configEi6__halfEEPiN6hipcub22TransformInputIteratorIS5_NS8_6CastOpIS5_EEPS5_lEESC_S5_NS8_8EqualityENS8_3MaxENS0_19lookback_scan_stateINS_5tupleIJS5_bEEELb0ELb1EEES5_EEvT2_T3_T4_T5_T6_T7_T8_mmmPKNSH_IJT9_bEEE
		.amdhsa_group_segment_fixed_size 26624
		.amdhsa_private_segment_fixed_size 0
		.amdhsa_kernarg_size 80
		.amdhsa_user_sgpr_count 2
		.amdhsa_user_sgpr_dispatch_ptr 0
		.amdhsa_user_sgpr_queue_ptr 0
		.amdhsa_user_sgpr_kernarg_segment_ptr 1
		.amdhsa_user_sgpr_dispatch_id 0
		.amdhsa_user_sgpr_kernarg_preload_length 0
		.amdhsa_user_sgpr_kernarg_preload_offset 0
		.amdhsa_user_sgpr_private_segment_size 0
		.amdhsa_uses_dynamic_stack 0
		.amdhsa_enable_private_segment 0
		.amdhsa_system_sgpr_workgroup_id_x 1
		.amdhsa_system_sgpr_workgroup_id_y 0
		.amdhsa_system_sgpr_workgroup_id_z 0
		.amdhsa_system_sgpr_workgroup_info 0
		.amdhsa_system_vgpr_workitem_id 0
		.amdhsa_next_free_vgpr 77
		.amdhsa_next_free_sgpr 98
		.amdhsa_accum_offset 80
		.amdhsa_reserve_vcc 1
		.amdhsa_float_round_mode_32 0
		.amdhsa_float_round_mode_16_64 0
		.amdhsa_float_denorm_mode_32 3
		.amdhsa_float_denorm_mode_16_64 3
		.amdhsa_dx10_clamp 1
		.amdhsa_ieee_mode 1
		.amdhsa_fp16_overflow 0
		.amdhsa_tg_split 0
		.amdhsa_exception_fp_ieee_invalid_op 0
		.amdhsa_exception_fp_denorm_src 0
		.amdhsa_exception_fp_ieee_div_zero 0
		.amdhsa_exception_fp_ieee_overflow 0
		.amdhsa_exception_fp_ieee_underflow 0
		.amdhsa_exception_fp_ieee_inexact 0
		.amdhsa_exception_int_div_zero 0
	.end_amdhsa_kernel
	.section	.text._ZN7rocprim6detail25device_scan_by_key_kernelILNS0_25lookback_scan_determinismE0ELb0ENS0_26wrapped_scan_by_key_configINS_14default_configEi6__halfEEPiN6hipcub22TransformInputIteratorIS5_NS8_6CastOpIS5_EEPS5_lEESC_S5_NS8_8EqualityENS8_3MaxENS0_19lookback_scan_stateINS_5tupleIJS5_bEEELb0ELb1EEES5_EEvT2_T3_T4_T5_T6_T7_T8_mmmPKNSH_IJT9_bEEE,"axG",@progbits,_ZN7rocprim6detail25device_scan_by_key_kernelILNS0_25lookback_scan_determinismE0ELb0ENS0_26wrapped_scan_by_key_configINS_14default_configEi6__halfEEPiN6hipcub22TransformInputIteratorIS5_NS8_6CastOpIS5_EEPS5_lEESC_S5_NS8_8EqualityENS8_3MaxENS0_19lookback_scan_stateINS_5tupleIJS5_bEEELb0ELb1EEES5_EEvT2_T3_T4_T5_T6_T7_T8_mmmPKNSH_IJT9_bEEE,comdat
.Lfunc_end48:
	.size	_ZN7rocprim6detail25device_scan_by_key_kernelILNS0_25lookback_scan_determinismE0ELb0ENS0_26wrapped_scan_by_key_configINS_14default_configEi6__halfEEPiN6hipcub22TransformInputIteratorIS5_NS8_6CastOpIS5_EEPS5_lEESC_S5_NS8_8EqualityENS8_3MaxENS0_19lookback_scan_stateINS_5tupleIJS5_bEEELb0ELb1EEES5_EEvT2_T3_T4_T5_T6_T7_T8_mmmPKNSH_IJT9_bEEE, .Lfunc_end48-_ZN7rocprim6detail25device_scan_by_key_kernelILNS0_25lookback_scan_determinismE0ELb0ENS0_26wrapped_scan_by_key_configINS_14default_configEi6__halfEEPiN6hipcub22TransformInputIteratorIS5_NS8_6CastOpIS5_EEPS5_lEESC_S5_NS8_8EqualityENS8_3MaxENS0_19lookback_scan_stateINS_5tupleIJS5_bEEELb0ELb1EEES5_EEvT2_T3_T4_T5_T6_T7_T8_mmmPKNSH_IJT9_bEEE
                                        ; -- End function
	.section	.AMDGPU.csdata,"",@progbits
; Kernel info:
; codeLenInByte = 17792
; NumSgprs: 104
; NumVgprs: 77
; NumAgprs: 0
; TotalNumVgprs: 77
; ScratchSize: 0
; MemoryBound: 0
; FloatMode: 240
; IeeeMode: 1
; LDSByteSize: 26624 bytes/workgroup (compile time only)
; SGPRBlocks: 12
; VGPRBlocks: 9
; NumSGPRsForWavesPerEU: 104
; NumVGPRsForWavesPerEU: 77
; AccumOffset: 80
; Occupancy: 2
; WaveLimiterHint : 1
; COMPUTE_PGM_RSRC2:SCRATCH_EN: 0
; COMPUTE_PGM_RSRC2:USER_SGPR: 2
; COMPUTE_PGM_RSRC2:TRAP_HANDLER: 0
; COMPUTE_PGM_RSRC2:TGID_X_EN: 1
; COMPUTE_PGM_RSRC2:TGID_Y_EN: 0
; COMPUTE_PGM_RSRC2:TGID_Z_EN: 0
; COMPUTE_PGM_RSRC2:TIDIG_COMP_CNT: 0
; COMPUTE_PGM_RSRC3_GFX90A:ACCUM_OFFSET: 19
; COMPUTE_PGM_RSRC3_GFX90A:TG_SPLIT: 0
	.section	.text._ZN7rocprim6detail31init_lookback_scan_state_kernelINS0_19lookback_scan_stateINS_5tupleIJ12hip_bfloat16bEEELb1ELb1EEEEEvT_jjPNS7_10value_typeE,"axG",@progbits,_ZN7rocprim6detail31init_lookback_scan_state_kernelINS0_19lookback_scan_stateINS_5tupleIJ12hip_bfloat16bEEELb1ELb1EEEEEvT_jjPNS7_10value_typeE,comdat
	.protected	_ZN7rocprim6detail31init_lookback_scan_state_kernelINS0_19lookback_scan_stateINS_5tupleIJ12hip_bfloat16bEEELb1ELb1EEEEEvT_jjPNS7_10value_typeE ; -- Begin function _ZN7rocprim6detail31init_lookback_scan_state_kernelINS0_19lookback_scan_stateINS_5tupleIJ12hip_bfloat16bEEELb1ELb1EEEEEvT_jjPNS7_10value_typeE
	.globl	_ZN7rocprim6detail31init_lookback_scan_state_kernelINS0_19lookback_scan_stateINS_5tupleIJ12hip_bfloat16bEEELb1ELb1EEEEEvT_jjPNS7_10value_typeE
	.p2align	8
	.type	_ZN7rocprim6detail31init_lookback_scan_state_kernelINS0_19lookback_scan_stateINS_5tupleIJ12hip_bfloat16bEEELb1ELb1EEEEEvT_jjPNS7_10value_typeE,@function
_ZN7rocprim6detail31init_lookback_scan_state_kernelINS0_19lookback_scan_stateINS_5tupleIJ12hip_bfloat16bEEELb1ELb1EEEEEvT_jjPNS7_10value_typeE: ; @_ZN7rocprim6detail31init_lookback_scan_state_kernelINS0_19lookback_scan_stateINS_5tupleIJ12hip_bfloat16bEEELb1ELb1EEEEEvT_jjPNS7_10value_typeE
; %bb.0:
	s_load_dword s3, s[0:1], 0x24
	s_load_dwordx2 s[8:9], s[0:1], 0x10
	s_load_dwordx4 s[4:7], s[0:1], 0x0
	s_waitcnt lgkmcnt(0)
	s_and_b32 s0, s3, 0xffff
	s_mul_i32 s2, s2, s0
	s_cmp_eq_u64 s[8:9], 0
	v_add_u32_e32 v0, s2, v0
	s_cbranch_scc1 .LBB49_9
; %bb.1:
	s_cmp_lt_u32 s7, s6
	s_cselect_b32 s0, s7, 0
	s_mov_b32 s3, 0
	v_cmp_eq_u32_e32 vcc, s0, v0
	s_and_saveexec_b64 s[0:1], vcc
	s_cbranch_execz .LBB49_8
; %bb.2:
	s_add_i32 s2, s7, 64
	s_lshl_b64 s[2:3], s[2:3], 3
	s_add_u32 s2, s4, s2
	s_addc_u32 s3, s5, s3
	v_mov_b32_e32 v2, 0
	global_load_dwordx2 v[4:5], v2, s[2:3] sc1
	s_waitcnt vmcnt(0)
	v_and_b32_e32 v3, 0xff, v5
	v_cmp_ne_u64_e32 vcc, 0, v[2:3]
	s_cbranch_vccnz .LBB49_7
; %bb.3:
	s_mov_b32 s7, 1
.LBB49_4:                               ; =>This Loop Header: Depth=1
                                        ;     Child Loop BB49_5 Depth 2
	s_max_u32 s10, s7, 1
.LBB49_5:                               ;   Parent Loop BB49_4 Depth=1
                                        ; =>  This Inner Loop Header: Depth=2
	s_add_i32 s10, s10, -1
	s_cmp_eq_u32 s10, 0
	s_sleep 1
	s_cbranch_scc0 .LBB49_5
; %bb.6:                                ;   in Loop: Header=BB49_4 Depth=1
	global_load_dwordx2 v[4:5], v2, s[2:3] sc1
	s_cmp_lt_u32 s7, 32
	s_cselect_b64 s[10:11], -1, 0
	s_cmp_lg_u64 s[10:11], 0
	s_addc_u32 s7, s7, 0
	s_waitcnt vmcnt(0)
	v_and_b32_e32 v3, 0xff, v5
	v_cmp_ne_u64_e32 vcc, 0, v[2:3]
	s_cbranch_vccz .LBB49_4
.LBB49_7:
	v_mov_b32_e32 v1, 0
	global_store_short v1, v4, s[8:9]
	global_store_byte_d16_hi v1, v4, s[8:9] offset:2
.LBB49_8:
	s_or_b64 exec, exec, s[0:1]
.LBB49_9:
	v_cmp_gt_u32_e32 vcc, s6, v0
	s_and_saveexec_b64 s[0:1], vcc
	s_cbranch_execnz .LBB49_12
; %bb.10:
	s_or_b64 exec, exec, s[0:1]
	v_cmp_gt_u32_e32 vcc, 64, v0
	s_and_saveexec_b64 s[0:1], vcc
	s_cbranch_execnz .LBB49_13
.LBB49_11:
	s_endpgm
.LBB49_12:
	v_add_u32_e32 v2, 64, v0
	v_mov_b32_e32 v3, 0
	v_lshl_add_u64 v[4:5], v[2:3], 3, s[4:5]
	v_mov_b32_e32 v2, v3
	global_store_dwordx2 v[4:5], v[2:3], off
	s_or_b64 exec, exec, s[0:1]
	v_cmp_gt_u32_e32 vcc, 64, v0
	s_and_saveexec_b64 s[0:1], vcc
	s_cbranch_execz .LBB49_11
.LBB49_13:
	v_mov_b32_e32 v1, 0
	v_lshl_add_u64 v[2:3], v[0:1], 3, s[4:5]
	v_mov_b32_e32 v5, 0xff
	v_mov_b32_e32 v4, v1
	global_store_dwordx2 v[2:3], v[4:5], off
	s_endpgm
	.section	.rodata,"a",@progbits
	.p2align	6, 0x0
	.amdhsa_kernel _ZN7rocprim6detail31init_lookback_scan_state_kernelINS0_19lookback_scan_stateINS_5tupleIJ12hip_bfloat16bEEELb1ELb1EEEEEvT_jjPNS7_10value_typeE
		.amdhsa_group_segment_fixed_size 0
		.amdhsa_private_segment_fixed_size 0
		.amdhsa_kernarg_size 280
		.amdhsa_user_sgpr_count 2
		.amdhsa_user_sgpr_dispatch_ptr 0
		.amdhsa_user_sgpr_queue_ptr 0
		.amdhsa_user_sgpr_kernarg_segment_ptr 1
		.amdhsa_user_sgpr_dispatch_id 0
		.amdhsa_user_sgpr_kernarg_preload_length 0
		.amdhsa_user_sgpr_kernarg_preload_offset 0
		.amdhsa_user_sgpr_private_segment_size 0
		.amdhsa_uses_dynamic_stack 0
		.amdhsa_enable_private_segment 0
		.amdhsa_system_sgpr_workgroup_id_x 1
		.amdhsa_system_sgpr_workgroup_id_y 0
		.amdhsa_system_sgpr_workgroup_id_z 0
		.amdhsa_system_sgpr_workgroup_info 0
		.amdhsa_system_vgpr_workitem_id 0
		.amdhsa_next_free_vgpr 6
		.amdhsa_next_free_sgpr 12
		.amdhsa_accum_offset 8
		.amdhsa_reserve_vcc 1
		.amdhsa_float_round_mode_32 0
		.amdhsa_float_round_mode_16_64 0
		.amdhsa_float_denorm_mode_32 3
		.amdhsa_float_denorm_mode_16_64 3
		.amdhsa_dx10_clamp 1
		.amdhsa_ieee_mode 1
		.amdhsa_fp16_overflow 0
		.amdhsa_tg_split 0
		.amdhsa_exception_fp_ieee_invalid_op 0
		.amdhsa_exception_fp_denorm_src 0
		.amdhsa_exception_fp_ieee_div_zero 0
		.amdhsa_exception_fp_ieee_overflow 0
		.amdhsa_exception_fp_ieee_underflow 0
		.amdhsa_exception_fp_ieee_inexact 0
		.amdhsa_exception_int_div_zero 0
	.end_amdhsa_kernel
	.section	.text._ZN7rocprim6detail31init_lookback_scan_state_kernelINS0_19lookback_scan_stateINS_5tupleIJ12hip_bfloat16bEEELb1ELb1EEEEEvT_jjPNS7_10value_typeE,"axG",@progbits,_ZN7rocprim6detail31init_lookback_scan_state_kernelINS0_19lookback_scan_stateINS_5tupleIJ12hip_bfloat16bEEELb1ELb1EEEEEvT_jjPNS7_10value_typeE,comdat
.Lfunc_end49:
	.size	_ZN7rocprim6detail31init_lookback_scan_state_kernelINS0_19lookback_scan_stateINS_5tupleIJ12hip_bfloat16bEEELb1ELb1EEEEEvT_jjPNS7_10value_typeE, .Lfunc_end49-_ZN7rocprim6detail31init_lookback_scan_state_kernelINS0_19lookback_scan_stateINS_5tupleIJ12hip_bfloat16bEEELb1ELb1EEEEEvT_jjPNS7_10value_typeE
                                        ; -- End function
	.section	.AMDGPU.csdata,"",@progbits
; Kernel info:
; codeLenInByte = 328
; NumSgprs: 18
; NumVgprs: 6
; NumAgprs: 0
; TotalNumVgprs: 6
; ScratchSize: 0
; MemoryBound: 0
; FloatMode: 240
; IeeeMode: 1
; LDSByteSize: 0 bytes/workgroup (compile time only)
; SGPRBlocks: 2
; VGPRBlocks: 0
; NumSGPRsForWavesPerEU: 18
; NumVGPRsForWavesPerEU: 6
; AccumOffset: 8
; Occupancy: 8
; WaveLimiterHint : 0
; COMPUTE_PGM_RSRC2:SCRATCH_EN: 0
; COMPUTE_PGM_RSRC2:USER_SGPR: 2
; COMPUTE_PGM_RSRC2:TRAP_HANDLER: 0
; COMPUTE_PGM_RSRC2:TGID_X_EN: 1
; COMPUTE_PGM_RSRC2:TGID_Y_EN: 0
; COMPUTE_PGM_RSRC2:TGID_Z_EN: 0
; COMPUTE_PGM_RSRC2:TIDIG_COMP_CNT: 0
; COMPUTE_PGM_RSRC3_GFX90A:ACCUM_OFFSET: 1
; COMPUTE_PGM_RSRC3_GFX90A:TG_SPLIT: 0
	.section	.text._ZN7rocprim6detail31init_lookback_scan_state_kernelINS0_19lookback_scan_stateINS_5tupleIJ12hip_bfloat16bEEELb0ELb1EEEEEvT_jjPNS7_10value_typeE,"axG",@progbits,_ZN7rocprim6detail31init_lookback_scan_state_kernelINS0_19lookback_scan_stateINS_5tupleIJ12hip_bfloat16bEEELb0ELb1EEEEEvT_jjPNS7_10value_typeE,comdat
	.protected	_ZN7rocprim6detail31init_lookback_scan_state_kernelINS0_19lookback_scan_stateINS_5tupleIJ12hip_bfloat16bEEELb0ELb1EEEEEvT_jjPNS7_10value_typeE ; -- Begin function _ZN7rocprim6detail31init_lookback_scan_state_kernelINS0_19lookback_scan_stateINS_5tupleIJ12hip_bfloat16bEEELb0ELb1EEEEEvT_jjPNS7_10value_typeE
	.globl	_ZN7rocprim6detail31init_lookback_scan_state_kernelINS0_19lookback_scan_stateINS_5tupleIJ12hip_bfloat16bEEELb0ELb1EEEEEvT_jjPNS7_10value_typeE
	.p2align	8
	.type	_ZN7rocprim6detail31init_lookback_scan_state_kernelINS0_19lookback_scan_stateINS_5tupleIJ12hip_bfloat16bEEELb0ELb1EEEEEvT_jjPNS7_10value_typeE,@function
_ZN7rocprim6detail31init_lookback_scan_state_kernelINS0_19lookback_scan_stateINS_5tupleIJ12hip_bfloat16bEEELb0ELb1EEEEEvT_jjPNS7_10value_typeE: ; @_ZN7rocprim6detail31init_lookback_scan_state_kernelINS0_19lookback_scan_stateINS_5tupleIJ12hip_bfloat16bEEELb0ELb1EEEEEvT_jjPNS7_10value_typeE
; %bb.0:
	s_load_dword s3, s[0:1], 0x24
	s_load_dwordx2 s[8:9], s[0:1], 0x10
	s_load_dwordx4 s[4:7], s[0:1], 0x0
	s_waitcnt lgkmcnt(0)
	s_and_b32 s0, s3, 0xffff
	s_mul_i32 s2, s2, s0
	s_cmp_eq_u64 s[8:9], 0
	v_add_u32_e32 v0, s2, v0
	s_cbranch_scc1 .LBB50_6
; %bb.1:
	s_cmp_lt_u32 s7, s6
	s_cselect_b32 s0, s7, 0
	s_mov_b32 s3, 0
	v_cmp_eq_u32_e32 vcc, s0, v0
	s_and_saveexec_b64 s[0:1], vcc
	s_cbranch_execz .LBB50_5
; %bb.2:
	s_add_i32 s2, s7, 64
	s_lshl_b64 s[2:3], s[2:3], 3
	s_add_u32 s2, s4, s2
	s_addc_u32 s3, s5, s3
	v_mov_b32_e32 v4, 0
	global_load_dwordx2 v[2:3], v4, s[2:3] sc1
	s_waitcnt vmcnt(0)
	v_and_b32_e32 v5, 0xff, v3
	v_cmp_ne_u64_e32 vcc, 0, v[4:5]
	s_cbranch_vccnz .LBB50_4
.LBB50_3:                               ; =>This Inner Loop Header: Depth=1
	global_load_dwordx2 v[2:3], v4, s[2:3] sc1
	s_waitcnt vmcnt(0)
	v_and_b32_e32 v5, 0xff, v3
	v_cmp_eq_u64_e32 vcc, 0, v[4:5]
	s_cbranch_vccnz .LBB50_3
.LBB50_4:
	v_mov_b32_e32 v1, 0
	global_store_short v1, v2, s[8:9]
	global_store_byte_d16_hi v1, v2, s[8:9] offset:2
.LBB50_5:
	s_or_b64 exec, exec, s[0:1]
.LBB50_6:
	v_cmp_gt_u32_e32 vcc, s6, v0
	s_and_saveexec_b64 s[0:1], vcc
	s_cbranch_execnz .LBB50_9
; %bb.7:
	s_or_b64 exec, exec, s[0:1]
	v_cmp_gt_u32_e32 vcc, 64, v0
	s_and_saveexec_b64 s[0:1], vcc
	s_cbranch_execnz .LBB50_10
.LBB50_8:
	s_endpgm
.LBB50_9:
	v_add_u32_e32 v2, 64, v0
	v_mov_b32_e32 v3, 0
	v_lshl_add_u64 v[4:5], v[2:3], 3, s[4:5]
	v_mov_b32_e32 v2, v3
	global_store_dwordx2 v[4:5], v[2:3], off
	s_or_b64 exec, exec, s[0:1]
	v_cmp_gt_u32_e32 vcc, 64, v0
	s_and_saveexec_b64 s[0:1], vcc
	s_cbranch_execz .LBB50_8
.LBB50_10:
	v_mov_b32_e32 v1, 0
	v_lshl_add_u64 v[2:3], v[0:1], 3, s[4:5]
	v_mov_b32_e32 v5, 0xff
	v_mov_b32_e32 v4, v1
	global_store_dwordx2 v[2:3], v[4:5], off
	s_endpgm
	.section	.rodata,"a",@progbits
	.p2align	6, 0x0
	.amdhsa_kernel _ZN7rocprim6detail31init_lookback_scan_state_kernelINS0_19lookback_scan_stateINS_5tupleIJ12hip_bfloat16bEEELb0ELb1EEEEEvT_jjPNS7_10value_typeE
		.amdhsa_group_segment_fixed_size 0
		.amdhsa_private_segment_fixed_size 0
		.amdhsa_kernarg_size 280
		.amdhsa_user_sgpr_count 2
		.amdhsa_user_sgpr_dispatch_ptr 0
		.amdhsa_user_sgpr_queue_ptr 0
		.amdhsa_user_sgpr_kernarg_segment_ptr 1
		.amdhsa_user_sgpr_dispatch_id 0
		.amdhsa_user_sgpr_kernarg_preload_length 0
		.amdhsa_user_sgpr_kernarg_preload_offset 0
		.amdhsa_user_sgpr_private_segment_size 0
		.amdhsa_uses_dynamic_stack 0
		.amdhsa_enable_private_segment 0
		.amdhsa_system_sgpr_workgroup_id_x 1
		.amdhsa_system_sgpr_workgroup_id_y 0
		.amdhsa_system_sgpr_workgroup_id_z 0
		.amdhsa_system_sgpr_workgroup_info 0
		.amdhsa_system_vgpr_workitem_id 0
		.amdhsa_next_free_vgpr 6
		.amdhsa_next_free_sgpr 10
		.amdhsa_accum_offset 8
		.amdhsa_reserve_vcc 1
		.amdhsa_float_round_mode_32 0
		.amdhsa_float_round_mode_16_64 0
		.amdhsa_float_denorm_mode_32 3
		.amdhsa_float_denorm_mode_16_64 3
		.amdhsa_dx10_clamp 1
		.amdhsa_ieee_mode 1
		.amdhsa_fp16_overflow 0
		.amdhsa_tg_split 0
		.amdhsa_exception_fp_ieee_invalid_op 0
		.amdhsa_exception_fp_denorm_src 0
		.amdhsa_exception_fp_ieee_div_zero 0
		.amdhsa_exception_fp_ieee_overflow 0
		.amdhsa_exception_fp_ieee_underflow 0
		.amdhsa_exception_fp_ieee_inexact 0
		.amdhsa_exception_int_div_zero 0
	.end_amdhsa_kernel
	.section	.text._ZN7rocprim6detail31init_lookback_scan_state_kernelINS0_19lookback_scan_stateINS_5tupleIJ12hip_bfloat16bEEELb0ELb1EEEEEvT_jjPNS7_10value_typeE,"axG",@progbits,_ZN7rocprim6detail31init_lookback_scan_state_kernelINS0_19lookback_scan_stateINS_5tupleIJ12hip_bfloat16bEEELb0ELb1EEEEEvT_jjPNS7_10value_typeE,comdat
.Lfunc_end50:
	.size	_ZN7rocprim6detail31init_lookback_scan_state_kernelINS0_19lookback_scan_stateINS_5tupleIJ12hip_bfloat16bEEELb0ELb1EEEEEvT_jjPNS7_10value_typeE, .Lfunc_end50-_ZN7rocprim6detail31init_lookback_scan_state_kernelINS0_19lookback_scan_stateINS_5tupleIJ12hip_bfloat16bEEELb0ELb1EEEEEvT_jjPNS7_10value_typeE
                                        ; -- End function
	.section	.AMDGPU.csdata,"",@progbits
; Kernel info:
; codeLenInByte = 288
; NumSgprs: 16
; NumVgprs: 6
; NumAgprs: 0
; TotalNumVgprs: 6
; ScratchSize: 0
; MemoryBound: 0
; FloatMode: 240
; IeeeMode: 1
; LDSByteSize: 0 bytes/workgroup (compile time only)
; SGPRBlocks: 1
; VGPRBlocks: 0
; NumSGPRsForWavesPerEU: 16
; NumVGPRsForWavesPerEU: 6
; AccumOffset: 8
; Occupancy: 8
; WaveLimiterHint : 0
; COMPUTE_PGM_RSRC2:SCRATCH_EN: 0
; COMPUTE_PGM_RSRC2:USER_SGPR: 2
; COMPUTE_PGM_RSRC2:TRAP_HANDLER: 0
; COMPUTE_PGM_RSRC2:TGID_X_EN: 1
; COMPUTE_PGM_RSRC2:TGID_Y_EN: 0
; COMPUTE_PGM_RSRC2:TGID_Z_EN: 0
; COMPUTE_PGM_RSRC2:TIDIG_COMP_CNT: 0
; COMPUTE_PGM_RSRC3_GFX90A:ACCUM_OFFSET: 1
; COMPUTE_PGM_RSRC3_GFX90A:TG_SPLIT: 0
	.section	.text._ZN7rocprim6detail25device_scan_by_key_kernelILNS0_25lookback_scan_determinismE0ELb0ENS0_26wrapped_scan_by_key_configINS_14default_configEi12hip_bfloat16EEPiN6hipcub22TransformInputIteratorIS5_NS8_6CastOpIS5_EEPS5_lEESC_S5_NS8_8EqualityENS8_3SumENS0_19lookback_scan_stateINS_5tupleIJS5_bEEELb1ELb1EEES5_EEvT2_T3_T4_T5_T6_T7_T8_mmmPKNSH_IJT9_bEEE,"axG",@progbits,_ZN7rocprim6detail25device_scan_by_key_kernelILNS0_25lookback_scan_determinismE0ELb0ENS0_26wrapped_scan_by_key_configINS_14default_configEi12hip_bfloat16EEPiN6hipcub22TransformInputIteratorIS5_NS8_6CastOpIS5_EEPS5_lEESC_S5_NS8_8EqualityENS8_3SumENS0_19lookback_scan_stateINS_5tupleIJS5_bEEELb1ELb1EEES5_EEvT2_T3_T4_T5_T6_T7_T8_mmmPKNSH_IJT9_bEEE,comdat
	.protected	_ZN7rocprim6detail25device_scan_by_key_kernelILNS0_25lookback_scan_determinismE0ELb0ENS0_26wrapped_scan_by_key_configINS_14default_configEi12hip_bfloat16EEPiN6hipcub22TransformInputIteratorIS5_NS8_6CastOpIS5_EEPS5_lEESC_S5_NS8_8EqualityENS8_3SumENS0_19lookback_scan_stateINS_5tupleIJS5_bEEELb1ELb1EEES5_EEvT2_T3_T4_T5_T6_T7_T8_mmmPKNSH_IJT9_bEEE ; -- Begin function _ZN7rocprim6detail25device_scan_by_key_kernelILNS0_25lookback_scan_determinismE0ELb0ENS0_26wrapped_scan_by_key_configINS_14default_configEi12hip_bfloat16EEPiN6hipcub22TransformInputIteratorIS5_NS8_6CastOpIS5_EEPS5_lEESC_S5_NS8_8EqualityENS8_3SumENS0_19lookback_scan_stateINS_5tupleIJS5_bEEELb1ELb1EEES5_EEvT2_T3_T4_T5_T6_T7_T8_mmmPKNSH_IJT9_bEEE
	.globl	_ZN7rocprim6detail25device_scan_by_key_kernelILNS0_25lookback_scan_determinismE0ELb0ENS0_26wrapped_scan_by_key_configINS_14default_configEi12hip_bfloat16EEPiN6hipcub22TransformInputIteratorIS5_NS8_6CastOpIS5_EEPS5_lEESC_S5_NS8_8EqualityENS8_3SumENS0_19lookback_scan_stateINS_5tupleIJS5_bEEELb1ELb1EEES5_EEvT2_T3_T4_T5_T6_T7_T8_mmmPKNSH_IJT9_bEEE
	.p2align	8
	.type	_ZN7rocprim6detail25device_scan_by_key_kernelILNS0_25lookback_scan_determinismE0ELb0ENS0_26wrapped_scan_by_key_configINS_14default_configEi12hip_bfloat16EEPiN6hipcub22TransformInputIteratorIS5_NS8_6CastOpIS5_EEPS5_lEESC_S5_NS8_8EqualityENS8_3SumENS0_19lookback_scan_stateINS_5tupleIJS5_bEEELb1ELb1EEES5_EEvT2_T3_T4_T5_T6_T7_T8_mmmPKNSH_IJT9_bEEE,@function
_ZN7rocprim6detail25device_scan_by_key_kernelILNS0_25lookback_scan_determinismE0ELb0ENS0_26wrapped_scan_by_key_configINS_14default_configEi12hip_bfloat16EEPiN6hipcub22TransformInputIteratorIS5_NS8_6CastOpIS5_EEPS5_lEESC_S5_NS8_8EqualityENS8_3SumENS0_19lookback_scan_stateINS_5tupleIJS5_bEEELb1ELb1EEES5_EEvT2_T3_T4_T5_T6_T7_T8_mmmPKNSH_IJT9_bEEE: ; @_ZN7rocprim6detail25device_scan_by_key_kernelILNS0_25lookback_scan_determinismE0ELb0ENS0_26wrapped_scan_by_key_configINS_14default_configEi12hip_bfloat16EEPiN6hipcub22TransformInputIteratorIS5_NS8_6CastOpIS5_EEPS5_lEESC_S5_NS8_8EqualityENS8_3SumENS0_19lookback_scan_stateINS_5tupleIJS5_bEEELb1ELb1EEES5_EEvT2_T3_T4_T5_T6_T7_T8_mmmPKNSH_IJT9_bEEE
; %bb.0:
	s_endpgm
	.section	.rodata,"a",@progbits
	.p2align	6, 0x0
	.amdhsa_kernel _ZN7rocprim6detail25device_scan_by_key_kernelILNS0_25lookback_scan_determinismE0ELb0ENS0_26wrapped_scan_by_key_configINS_14default_configEi12hip_bfloat16EEPiN6hipcub22TransformInputIteratorIS5_NS8_6CastOpIS5_EEPS5_lEESC_S5_NS8_8EqualityENS8_3SumENS0_19lookback_scan_stateINS_5tupleIJS5_bEEELb1ELb1EEES5_EEvT2_T3_T4_T5_T6_T7_T8_mmmPKNSH_IJT9_bEEE
		.amdhsa_group_segment_fixed_size 0
		.amdhsa_private_segment_fixed_size 0
		.amdhsa_kernarg_size 80
		.amdhsa_user_sgpr_count 2
		.amdhsa_user_sgpr_dispatch_ptr 0
		.amdhsa_user_sgpr_queue_ptr 0
		.amdhsa_user_sgpr_kernarg_segment_ptr 1
		.amdhsa_user_sgpr_dispatch_id 0
		.amdhsa_user_sgpr_kernarg_preload_length 0
		.amdhsa_user_sgpr_kernarg_preload_offset 0
		.amdhsa_user_sgpr_private_segment_size 0
		.amdhsa_uses_dynamic_stack 0
		.amdhsa_enable_private_segment 0
		.amdhsa_system_sgpr_workgroup_id_x 1
		.amdhsa_system_sgpr_workgroup_id_y 0
		.amdhsa_system_sgpr_workgroup_id_z 0
		.amdhsa_system_sgpr_workgroup_info 0
		.amdhsa_system_vgpr_workitem_id 0
		.amdhsa_next_free_vgpr 1
		.amdhsa_next_free_sgpr 0
		.amdhsa_accum_offset 4
		.amdhsa_reserve_vcc 0
		.amdhsa_float_round_mode_32 0
		.amdhsa_float_round_mode_16_64 0
		.amdhsa_float_denorm_mode_32 3
		.amdhsa_float_denorm_mode_16_64 3
		.amdhsa_dx10_clamp 1
		.amdhsa_ieee_mode 1
		.amdhsa_fp16_overflow 0
		.amdhsa_tg_split 0
		.amdhsa_exception_fp_ieee_invalid_op 0
		.amdhsa_exception_fp_denorm_src 0
		.amdhsa_exception_fp_ieee_div_zero 0
		.amdhsa_exception_fp_ieee_overflow 0
		.amdhsa_exception_fp_ieee_underflow 0
		.amdhsa_exception_fp_ieee_inexact 0
		.amdhsa_exception_int_div_zero 0
	.end_amdhsa_kernel
	.section	.text._ZN7rocprim6detail25device_scan_by_key_kernelILNS0_25lookback_scan_determinismE0ELb0ENS0_26wrapped_scan_by_key_configINS_14default_configEi12hip_bfloat16EEPiN6hipcub22TransformInputIteratorIS5_NS8_6CastOpIS5_EEPS5_lEESC_S5_NS8_8EqualityENS8_3SumENS0_19lookback_scan_stateINS_5tupleIJS5_bEEELb1ELb1EEES5_EEvT2_T3_T4_T5_T6_T7_T8_mmmPKNSH_IJT9_bEEE,"axG",@progbits,_ZN7rocprim6detail25device_scan_by_key_kernelILNS0_25lookback_scan_determinismE0ELb0ENS0_26wrapped_scan_by_key_configINS_14default_configEi12hip_bfloat16EEPiN6hipcub22TransformInputIteratorIS5_NS8_6CastOpIS5_EEPS5_lEESC_S5_NS8_8EqualityENS8_3SumENS0_19lookback_scan_stateINS_5tupleIJS5_bEEELb1ELb1EEES5_EEvT2_T3_T4_T5_T6_T7_T8_mmmPKNSH_IJT9_bEEE,comdat
.Lfunc_end51:
	.size	_ZN7rocprim6detail25device_scan_by_key_kernelILNS0_25lookback_scan_determinismE0ELb0ENS0_26wrapped_scan_by_key_configINS_14default_configEi12hip_bfloat16EEPiN6hipcub22TransformInputIteratorIS5_NS8_6CastOpIS5_EEPS5_lEESC_S5_NS8_8EqualityENS8_3SumENS0_19lookback_scan_stateINS_5tupleIJS5_bEEELb1ELb1EEES5_EEvT2_T3_T4_T5_T6_T7_T8_mmmPKNSH_IJT9_bEEE, .Lfunc_end51-_ZN7rocprim6detail25device_scan_by_key_kernelILNS0_25lookback_scan_determinismE0ELb0ENS0_26wrapped_scan_by_key_configINS_14default_configEi12hip_bfloat16EEPiN6hipcub22TransformInputIteratorIS5_NS8_6CastOpIS5_EEPS5_lEESC_S5_NS8_8EqualityENS8_3SumENS0_19lookback_scan_stateINS_5tupleIJS5_bEEELb1ELb1EEES5_EEvT2_T3_T4_T5_T6_T7_T8_mmmPKNSH_IJT9_bEEE
                                        ; -- End function
	.section	.AMDGPU.csdata,"",@progbits
; Kernel info:
; codeLenInByte = 4
; NumSgprs: 6
; NumVgprs: 0
; NumAgprs: 0
; TotalNumVgprs: 0
; ScratchSize: 0
; MemoryBound: 0
; FloatMode: 240
; IeeeMode: 1
; LDSByteSize: 0 bytes/workgroup (compile time only)
; SGPRBlocks: 0
; VGPRBlocks: 0
; NumSGPRsForWavesPerEU: 6
; NumVGPRsForWavesPerEU: 1
; AccumOffset: 4
; Occupancy: 8
; WaveLimiterHint : 0
; COMPUTE_PGM_RSRC2:SCRATCH_EN: 0
; COMPUTE_PGM_RSRC2:USER_SGPR: 2
; COMPUTE_PGM_RSRC2:TRAP_HANDLER: 0
; COMPUTE_PGM_RSRC2:TGID_X_EN: 1
; COMPUTE_PGM_RSRC2:TGID_Y_EN: 0
; COMPUTE_PGM_RSRC2:TGID_Z_EN: 0
; COMPUTE_PGM_RSRC2:TIDIG_COMP_CNT: 0
; COMPUTE_PGM_RSRC3_GFX90A:ACCUM_OFFSET: 0
; COMPUTE_PGM_RSRC3_GFX90A:TG_SPLIT: 0
	.section	.text._ZN7rocprim6detail25device_scan_by_key_kernelILNS0_25lookback_scan_determinismE0ELb0ENS0_26wrapped_scan_by_key_configINS_14default_configEi12hip_bfloat16EEPiN6hipcub22TransformInputIteratorIS5_NS8_6CastOpIS5_EEPS5_lEESC_S5_NS8_8EqualityENS8_3SumENS0_19lookback_scan_stateINS_5tupleIJS5_bEEELb0ELb1EEES5_EEvT2_T3_T4_T5_T6_T7_T8_mmmPKNSH_IJT9_bEEE,"axG",@progbits,_ZN7rocprim6detail25device_scan_by_key_kernelILNS0_25lookback_scan_determinismE0ELb0ENS0_26wrapped_scan_by_key_configINS_14default_configEi12hip_bfloat16EEPiN6hipcub22TransformInputIteratorIS5_NS8_6CastOpIS5_EEPS5_lEESC_S5_NS8_8EqualityENS8_3SumENS0_19lookback_scan_stateINS_5tupleIJS5_bEEELb0ELb1EEES5_EEvT2_T3_T4_T5_T6_T7_T8_mmmPKNSH_IJT9_bEEE,comdat
	.protected	_ZN7rocprim6detail25device_scan_by_key_kernelILNS0_25lookback_scan_determinismE0ELb0ENS0_26wrapped_scan_by_key_configINS_14default_configEi12hip_bfloat16EEPiN6hipcub22TransformInputIteratorIS5_NS8_6CastOpIS5_EEPS5_lEESC_S5_NS8_8EqualityENS8_3SumENS0_19lookback_scan_stateINS_5tupleIJS5_bEEELb0ELb1EEES5_EEvT2_T3_T4_T5_T6_T7_T8_mmmPKNSH_IJT9_bEEE ; -- Begin function _ZN7rocprim6detail25device_scan_by_key_kernelILNS0_25lookback_scan_determinismE0ELb0ENS0_26wrapped_scan_by_key_configINS_14default_configEi12hip_bfloat16EEPiN6hipcub22TransformInputIteratorIS5_NS8_6CastOpIS5_EEPS5_lEESC_S5_NS8_8EqualityENS8_3SumENS0_19lookback_scan_stateINS_5tupleIJS5_bEEELb0ELb1EEES5_EEvT2_T3_T4_T5_T6_T7_T8_mmmPKNSH_IJT9_bEEE
	.globl	_ZN7rocprim6detail25device_scan_by_key_kernelILNS0_25lookback_scan_determinismE0ELb0ENS0_26wrapped_scan_by_key_configINS_14default_configEi12hip_bfloat16EEPiN6hipcub22TransformInputIteratorIS5_NS8_6CastOpIS5_EEPS5_lEESC_S5_NS8_8EqualityENS8_3SumENS0_19lookback_scan_stateINS_5tupleIJS5_bEEELb0ELb1EEES5_EEvT2_T3_T4_T5_T6_T7_T8_mmmPKNSH_IJT9_bEEE
	.p2align	8
	.type	_ZN7rocprim6detail25device_scan_by_key_kernelILNS0_25lookback_scan_determinismE0ELb0ENS0_26wrapped_scan_by_key_configINS_14default_configEi12hip_bfloat16EEPiN6hipcub22TransformInputIteratorIS5_NS8_6CastOpIS5_EEPS5_lEESC_S5_NS8_8EqualityENS8_3SumENS0_19lookback_scan_stateINS_5tupleIJS5_bEEELb0ELb1EEES5_EEvT2_T3_T4_T5_T6_T7_T8_mmmPKNSH_IJT9_bEEE,@function
_ZN7rocprim6detail25device_scan_by_key_kernelILNS0_25lookback_scan_determinismE0ELb0ENS0_26wrapped_scan_by_key_configINS_14default_configEi12hip_bfloat16EEPiN6hipcub22TransformInputIteratorIS5_NS8_6CastOpIS5_EEPS5_lEESC_S5_NS8_8EqualityENS8_3SumENS0_19lookback_scan_stateINS_5tupleIJS5_bEEELb0ELb1EEES5_EEvT2_T3_T4_T5_T6_T7_T8_mmmPKNSH_IJT9_bEEE: ; @_ZN7rocprim6detail25device_scan_by_key_kernelILNS0_25lookback_scan_determinismE0ELb0ENS0_26wrapped_scan_by_key_configINS_14default_configEi12hip_bfloat16EEPiN6hipcub22TransformInputIteratorIS5_NS8_6CastOpIS5_EEPS5_lEESC_S5_NS8_8EqualityENS8_3SumENS0_19lookback_scan_stateINS_5tupleIJS5_bEEELb0ELb1EEES5_EEvT2_T3_T4_T5_T6_T7_T8_mmmPKNSH_IJT9_bEEE
; %bb.0:
	s_load_dwordx4 s[4:7], s[0:1], 0x0
	s_load_dwordx8 s[60:67], s[0:1], 0x28
	s_load_dwordx2 s[54:55], s[0:1], 0x48
	s_mul_i32 s8, s2, 0x1800
	s_mov_b32 s9, 0
	s_lshl_b64 s[10:11], s[8:9], 2
	s_waitcnt lgkmcnt(0)
	s_add_u32 s70, s4, s10
	s_addc_u32 s71, s5, s11
	s_lshl_b64 s[58:59], s[8:9], 1
	s_add_u32 s68, s6, s58
	s_addc_u32 s69, s7, s59
	s_add_u32 s4, s2, s64
	s_addc_u32 s5, 0, s65
	s_add_u32 s6, s66, -1
	s_addc_u32 s7, s67, -1
	v_mov_b64_e32 v[2:3], s[6:7]
	v_cmp_ge_u64_e64 s[56:57], s[4:5], v[2:3]
	s_mov_b64 s[8:9], -1
	s_and_b64 vcc, exec, s[56:57]
	s_mul_i32 s33, s6, 0xffffe800
	s_cbranch_vccz .LBB52_124
; %bb.1:
	s_load_dword s63, s[70:71], 0x0
	s_add_i32 s3, s33, s62
	v_mov_b32_e32 v3, 0
	v_lshlrev_b32_e32 v2, 2, v0
	v_lshl_add_u64 v[4:5], s[70:71], 0, v[2:3]
	v_cmp_gt_u32_e64 s[4:5], s3, v0
	s_waitcnt lgkmcnt(0)
	v_mov_b32_e32 v1, s63
	s_and_saveexec_b64 s[6:7], s[4:5]
	s_cbranch_execz .LBB52_3
; %bb.2:
	global_load_dword v1, v[4:5], off
.LBB52_3:
	s_or_b64 exec, exec, s[6:7]
	v_or_b32_e32 v3, 0x100, v0
	v_cmp_gt_u32_e64 s[6:7], s3, v3
	v_mov_b32_e32 v3, s63
	s_and_saveexec_b64 s[8:9], s[6:7]
	s_cbranch_execz .LBB52_5
; %bb.4:
	global_load_dword v3, v[4:5], off offset:1024
.LBB52_5:
	s_or_b64 exec, exec, s[8:9]
	v_or_b32_e32 v6, 0x200, v0
	v_cmp_gt_u32_e64 s[8:9], s3, v6
	v_mov_b32_e32 v6, s63
	s_and_saveexec_b64 s[10:11], s[8:9]
	s_cbranch_execz .LBB52_7
; %bb.6:
	global_load_dword v6, v[4:5], off offset:2048
.LBB52_7:
	;; [unrolled: 9-line block ×3, first 2 shown]
	s_or_b64 exec, exec, s[12:13]
	v_or_b32_e32 v8, 0x400, v0
	v_cmp_gt_u32_e64 s[12:13], s3, v8
	v_mov_b32_e32 v8, s63
	s_and_saveexec_b64 s[14:15], s[12:13]
	s_cbranch_execz .LBB52_11
; %bb.10:
	v_add_co_u32_e32 v8, vcc, 0x1000, v4
	s_nop 1
	v_addc_co_u32_e32 v9, vcc, 0, v5, vcc
	global_load_dword v8, v[8:9], off
.LBB52_11:
	s_or_b64 exec, exec, s[14:15]
	v_or_b32_e32 v9, 0x500, v0
	v_cmp_gt_u32_e64 s[14:15], s3, v9
	v_mov_b32_e32 v9, s63
	s_and_saveexec_b64 s[16:17], s[14:15]
	s_cbranch_execz .LBB52_13
; %bb.12:
	v_add_co_u32_e32 v10, vcc, 0x1000, v4
	s_nop 1
	v_addc_co_u32_e32 v11, vcc, 0, v5, vcc
	global_load_dword v9, v[10:11], off offset:1024
.LBB52_13:
	s_or_b64 exec, exec, s[16:17]
	v_or_b32_e32 v10, 0x600, v0
	v_cmp_gt_u32_e64 s[16:17], s3, v10
	v_mov_b32_e32 v10, s63
	s_and_saveexec_b64 s[18:19], s[16:17]
	s_cbranch_execz .LBB52_15
; %bb.14:
	v_add_co_u32_e32 v10, vcc, 0x1000, v4
	s_nop 1
	v_addc_co_u32_e32 v11, vcc, 0, v5, vcc
	global_load_dword v10, v[10:11], off offset:2048
.LBB52_15:
	s_or_b64 exec, exec, s[18:19]
	v_or_b32_e32 v11, 0x700, v0
	v_cmp_gt_u32_e64 s[18:19], s3, v11
	v_mov_b32_e32 v11, s63
	s_and_saveexec_b64 s[20:21], s[18:19]
	s_cbranch_execz .LBB52_17
; %bb.16:
	v_add_co_u32_e32 v12, vcc, 0x1000, v4
	s_nop 1
	v_addc_co_u32_e32 v13, vcc, 0, v5, vcc
	global_load_dword v11, v[12:13], off offset:3072
.LBB52_17:
	s_or_b64 exec, exec, s[20:21]
	v_or_b32_e32 v12, 0x800, v0
	v_cmp_gt_u32_e64 s[20:21], s3, v12
	v_mov_b32_e32 v12, s63
	s_and_saveexec_b64 s[22:23], s[20:21]
	s_cbranch_execz .LBB52_19
; %bb.18:
	v_add_co_u32_e32 v12, vcc, 0x2000, v4
	s_nop 1
	v_addc_co_u32_e32 v13, vcc, 0, v5, vcc
	global_load_dword v12, v[12:13], off
.LBB52_19:
	s_or_b64 exec, exec, s[22:23]
	v_or_b32_e32 v13, 0x900, v0
	v_cmp_gt_u32_e64 s[22:23], s3, v13
	v_mov_b32_e32 v13, s63
	s_and_saveexec_b64 s[24:25], s[22:23]
	s_cbranch_execz .LBB52_21
; %bb.20:
	v_add_co_u32_e32 v14, vcc, 0x2000, v4
	s_nop 1
	v_addc_co_u32_e32 v15, vcc, 0, v5, vcc
	global_load_dword v13, v[14:15], off offset:1024
.LBB52_21:
	s_or_b64 exec, exec, s[24:25]
	v_or_b32_e32 v14, 0xa00, v0
	v_cmp_gt_u32_e64 s[24:25], s3, v14
	v_mov_b32_e32 v14, s63
	s_and_saveexec_b64 s[26:27], s[24:25]
	s_cbranch_execz .LBB52_23
; %bb.22:
	v_add_co_u32_e32 v14, vcc, 0x2000, v4
	s_nop 1
	v_addc_co_u32_e32 v15, vcc, 0, v5, vcc
	global_load_dword v14, v[14:15], off offset:2048
.LBB52_23:
	s_or_b64 exec, exec, s[26:27]
	v_or_b32_e32 v15, 0xb00, v0
	v_cmp_gt_u32_e64 s[26:27], s3, v15
	v_mov_b32_e32 v15, s63
	s_and_saveexec_b64 s[28:29], s[26:27]
	s_cbranch_execz .LBB52_25
; %bb.24:
	v_add_co_u32_e32 v16, vcc, 0x2000, v4
	s_nop 1
	v_addc_co_u32_e32 v17, vcc, 0, v5, vcc
	global_load_dword v15, v[16:17], off offset:3072
.LBB52_25:
	;; [unrolled: 48-line block ×5, first 2 shown]
	s_or_b64 exec, exec, s[66:67]
	s_sub_u32 s66, 0, s2
	s_subb_u32 s67, 0, 0
	s_cmp_eq_u64 s[66:67], s[64:65]
	s_movk_i32 s63, 0x5c
	s_cselect_b32 s66, 0, -4
	s_waitcnt vmcnt(0)
	ds_write2st64_b32 v2, v1, v3 offset1:4
	ds_write2st64_b32 v2, v6, v7 offset0:8 offset1:12
	ds_write2st64_b32 v2, v8, v9 offset0:16 offset1:20
	ds_write2st64_b32 v2, v10, v11 offset0:24 offset1:28
	ds_write2st64_b32 v2, v12, v13 offset0:32 offset1:36
	ds_write2st64_b32 v2, v14, v15 offset0:40 offset1:44
	ds_write2st64_b32 v2, v16, v17 offset0:48 offset1:52
	ds_write2st64_b32 v2, v18, v19 offset0:56 offset1:60
	ds_write2st64_b32 v2, v20, v21 offset0:64 offset1:68
	ds_write2st64_b32 v2, v22, v23 offset0:72 offset1:76
	ds_write2st64_b32 v2, v24, v25 offset0:80 offset1:84
	ds_write2st64_b32 v2, v26, v27 offset0:88 offset1:92
	v_mad_u32_u24 v1, v0, s63, v2
	s_cselect_b32 s63, 0, -1
	s_add_u32 s66, s70, s66
	s_addc_u32 s67, s71, s63
	s_waitcnt lgkmcnt(0)
	s_barrier
	ds_read_b128 v[22:25], v1
	ds_read_b128 v[18:21], v1 offset:16
	ds_read_b128 v[14:17], v1 offset:32
	;; [unrolled: 1-line block ×5, first 2 shown]
	s_load_dword s63, s[66:67], 0x0
	s_movk_i32 s66, 0xffa4
	v_mad_i32_i24 v1, v0, s66, v1
	v_cmp_ne_u32_e32 vcc, 0, v0
	s_waitcnt lgkmcnt(0)
	ds_write_b32 v1, v5 offset:24576
	v_mov_b32_e32 v54, s63
	s_waitcnt lgkmcnt(0)
	s_barrier
	s_and_saveexec_b64 s[66:67], vcc
	s_cbranch_execz .LBB52_51
; %bb.50:
	ds_read_b32 v54, v1 offset:24572
.LBB52_51:
	s_or_b64 exec, exec, s[66:67]
	v_lshlrev_b32_e32 v26, 1, v0
	v_mov_b32_e32 v27, 0
	v_lshl_add_u64 v[28:29], s[68:69], 0, v[26:27]
	s_waitcnt lgkmcnt(0)
	s_barrier
	s_waitcnt lgkmcnt(0)
                                        ; implicit-def: $vgpr27
	s_and_saveexec_b64 s[66:67], s[4:5]
	s_cbranch_execz .LBB52_619
; %bb.52:
	global_load_ushort v27, v[28:29], off
	s_or_b64 exec, exec, s[66:67]
                                        ; implicit-def: $vgpr30
	s_and_saveexec_b64 s[4:5], s[6:7]
	s_cbranch_execnz .LBB52_620
.LBB52_53:
	s_or_b64 exec, exec, s[4:5]
                                        ; implicit-def: $vgpr31
	s_and_saveexec_b64 s[4:5], s[8:9]
	s_cbranch_execz .LBB52_621
.LBB52_54:
	global_load_ushort v31, v[28:29], off offset:1024
	s_or_b64 exec, exec, s[4:5]
                                        ; implicit-def: $vgpr32
	s_and_saveexec_b64 s[4:5], s[10:11]
	s_cbranch_execnz .LBB52_622
.LBB52_55:
	s_or_b64 exec, exec, s[4:5]
                                        ; implicit-def: $vgpr33
	s_and_saveexec_b64 s[4:5], s[12:13]
	s_cbranch_execz .LBB52_623
.LBB52_56:
	global_load_ushort v33, v[28:29], off offset:2048
	s_or_b64 exec, exec, s[4:5]
                                        ; implicit-def: $vgpr34
	s_and_saveexec_b64 s[4:5], s[14:15]
	s_cbranch_execnz .LBB52_624
.LBB52_57:
	s_or_b64 exec, exec, s[4:5]
                                        ; implicit-def: $vgpr35
	s_and_saveexec_b64 s[4:5], s[16:17]
	s_cbranch_execz .LBB52_625
.LBB52_58:
	global_load_ushort v35, v[28:29], off offset:3072
	s_or_b64 exec, exec, s[4:5]
                                        ; implicit-def: $vgpr36
	s_and_saveexec_b64 s[4:5], s[18:19]
	s_cbranch_execnz .LBB52_626
.LBB52_59:
	s_or_b64 exec, exec, s[4:5]
                                        ; implicit-def: $vgpr37
	s_and_saveexec_b64 s[4:5], s[20:21]
	s_cbranch_execz .LBB52_627
.LBB52_60:
	v_add_co_u32_e32 v38, vcc, 0x1000, v28
	s_nop 1
	v_addc_co_u32_e32 v39, vcc, 0, v29, vcc
	global_load_ushort v37, v[38:39], off
	s_or_b64 exec, exec, s[4:5]
                                        ; implicit-def: $vgpr38
	s_and_saveexec_b64 s[4:5], s[22:23]
	s_cbranch_execnz .LBB52_628
.LBB52_61:
	s_or_b64 exec, exec, s[4:5]
                                        ; implicit-def: $vgpr39
	s_and_saveexec_b64 s[4:5], s[24:25]
	s_cbranch_execz .LBB52_629
.LBB52_62:
	v_add_co_u32_e32 v40, vcc, 0x1000, v28
	s_nop 1
	v_addc_co_u32_e32 v41, vcc, 0, v29, vcc
	global_load_ushort v39, v[40:41], off offset:1024
	s_or_b64 exec, exec, s[4:5]
                                        ; implicit-def: $vgpr40
	s_and_saveexec_b64 s[4:5], s[26:27]
	s_cbranch_execnz .LBB52_630
.LBB52_63:
	s_or_b64 exec, exec, s[4:5]
                                        ; implicit-def: $vgpr41
	s_and_saveexec_b64 s[4:5], s[28:29]
	s_cbranch_execz .LBB52_631
.LBB52_64:
	v_add_co_u32_e32 v42, vcc, 0x1000, v28
	s_nop 1
	v_addc_co_u32_e32 v43, vcc, 0, v29, vcc
	global_load_ushort v41, v[42:43], off offset:2048
	s_or_b64 exec, exec, s[4:5]
                                        ; implicit-def: $vgpr42
	s_and_saveexec_b64 s[4:5], s[30:31]
	s_cbranch_execnz .LBB52_632
.LBB52_65:
	s_or_b64 exec, exec, s[4:5]
                                        ; implicit-def: $vgpr43
	s_and_saveexec_b64 s[4:5], s[34:35]
	s_cbranch_execz .LBB52_633
.LBB52_66:
	v_add_co_u32_e32 v44, vcc, 0x1000, v28
	s_nop 1
	v_addc_co_u32_e32 v45, vcc, 0, v29, vcc
	global_load_ushort v43, v[44:45], off offset:3072
	s_or_b64 exec, exec, s[4:5]
                                        ; implicit-def: $vgpr44
	s_and_saveexec_b64 s[4:5], s[36:37]
	s_cbranch_execnz .LBB52_634
.LBB52_67:
	s_or_b64 exec, exec, s[4:5]
                                        ; implicit-def: $vgpr45
	s_and_saveexec_b64 s[4:5], s[38:39]
	s_cbranch_execz .LBB52_635
.LBB52_68:
	v_add_co_u32_e32 v46, vcc, 0x2000, v28
	s_nop 1
	v_addc_co_u32_e32 v47, vcc, 0, v29, vcc
	global_load_ushort v45, v[46:47], off
	s_or_b64 exec, exec, s[4:5]
                                        ; implicit-def: $vgpr46
	s_and_saveexec_b64 s[4:5], s[40:41]
	s_cbranch_execnz .LBB52_636
.LBB52_69:
	s_or_b64 exec, exec, s[4:5]
                                        ; implicit-def: $vgpr47
	s_and_saveexec_b64 s[4:5], s[42:43]
	s_cbranch_execz .LBB52_637
.LBB52_70:
	v_add_co_u32_e32 v48, vcc, 0x2000, v28
	s_nop 1
	v_addc_co_u32_e32 v49, vcc, 0, v29, vcc
	global_load_ushort v47, v[48:49], off offset:1024
	s_or_b64 exec, exec, s[4:5]
                                        ; implicit-def: $vgpr48
	s_and_saveexec_b64 s[4:5], s[44:45]
	s_cbranch_execnz .LBB52_638
.LBB52_71:
	s_or_b64 exec, exec, s[4:5]
                                        ; implicit-def: $vgpr49
	s_and_saveexec_b64 s[4:5], s[46:47]
	s_cbranch_execz .LBB52_639
.LBB52_72:
	v_add_co_u32_e32 v50, vcc, 0x2000, v28
	s_nop 1
	v_addc_co_u32_e32 v51, vcc, 0, v29, vcc
	global_load_ushort v49, v[50:51], off offset:2048
	s_or_b64 exec, exec, s[4:5]
                                        ; implicit-def: $vgpr50
	s_and_saveexec_b64 s[4:5], s[48:49]
	s_cbranch_execnz .LBB52_640
.LBB52_73:
	s_or_b64 exec, exec, s[4:5]
                                        ; implicit-def: $vgpr51
	s_and_saveexec_b64 s[4:5], s[50:51]
	s_cbranch_execz .LBB52_75
.LBB52_74:
	v_add_co_u32_e32 v52, vcc, 0x2000, v28
	s_nop 1
	v_addc_co_u32_e32 v53, vcc, 0, v29, vcc
	global_load_ushort v51, v[52:53], off offset:3072
.LBB52_75:
	s_or_b64 exec, exec, s[4:5]
	v_mul_u32_u24_e32 v53, 24, v0
                                        ; implicit-def: $vgpr52
	s_and_saveexec_b64 s[4:5], s[52:53]
	s_cbranch_execz .LBB52_77
; %bb.76:
	v_add_co_u32_e32 v28, vcc, 0x2000, v28
	s_nop 1
	v_addc_co_u32_e32 v29, vcc, 0, v29, vcc
	global_load_ushort v52, v[28:29], off offset:3584
.LBB52_77:
	s_or_b64 exec, exec, s[4:5]
	s_mov_b32 s6, 0
	v_sub_u32_e32 v26, v1, v26
	s_mov_b32 s7, s6
	s_waitcnt vmcnt(0)
	ds_write_b16 v26, v27
	ds_write_b16 v26, v30 offset:512
	ds_write_b16 v26, v31 offset:1024
	;; [unrolled: 1-line block ×23, first 2 shown]
	v_cmp_gt_u32_e32 vcc, s3, v53
	s_mov_b64 s[8:9], 0
	v_mov_b64_e32 v[30:31], s[6:7]
	v_mov_b32_e32 v1, 0
	s_mov_b64 s[14:15], 0
	v_mov_b64_e32 v[32:33], s[6:7]
	v_mov_b64_e32 v[34:35], s[6:7]
	;; [unrolled: 1-line block ×10, first 2 shown]
	s_waitcnt lgkmcnt(0)
	s_barrier
	s_waitcnt lgkmcnt(0)
                                        ; implicit-def: $sgpr12_sgpr13
                                        ; implicit-def: $vgpr52
	s_and_saveexec_b64 s[10:11], vcc
	s_cbranch_execz .LBB52_123
; %bb.78:
	v_mad_u32_u24 v1, v0, 46, v26
	ds_read_u16 v1, v1
	v_cmp_ne_u32_e32 vcc, v54, v22
	s_mov_b32 s16, 0
	v_or_b32_e32 v27, 1, v53
	v_cndmask_b32_e64 v28, 0, 1, vcc
	v_mov_b32_e32 v50, 0
	s_mov_b32 s17, s16
	v_cmp_gt_u32_e32 vcc, s3, v27
	s_waitcnt lgkmcnt(0)
	v_lshl_or_b32 v51, v28, 16, v1
	s_mov_b64 s[4:5], 0
	v_mov_b64_e32 v[30:31], s[16:17]
	v_mov_b64_e32 v[32:33], s[16:17]
	;; [unrolled: 1-line block ×10, first 2 shown]
	v_mov_b32_e32 v1, v50
                                        ; implicit-def: $sgpr14_sgpr15
                                        ; implicit-def: $vgpr52
	s_and_saveexec_b64 s[12:13], vcc
	s_cbranch_execz .LBB52_122
; %bb.79:
	v_mul_u32_u24_e32 v1, 46, v0
	v_add_u32_e32 v54, v26, v1
	ds_read_b128 v[26:29], v54 offset:2
	v_or_b32_e32 v1, 2, v53
	v_cmp_ne_u32_e32 vcc, v22, v23
	v_mov_b64_e32 v[30:31], s[16:17]
	v_mov_b64_e32 v[32:33], v[30:31]
	v_cndmask_b32_e64 v22, 0, 1, vcc
	v_cmp_gt_u32_e32 vcc, s3, v1
	s_waitcnt lgkmcnt(0)
	v_and_b32_e32 v1, 0xffff, v26
	v_lshl_or_b32 v50, v22, 16, v1
	v_mov_b32_e32 v1, 0
	v_mov_b64_e32 v[34:35], v[30:31]
	v_mov_b64_e32 v[36:37], v[30:31]
	;; [unrolled: 1-line block ×8, first 2 shown]
                                        ; implicit-def: $sgpr16_sgpr17
                                        ; implicit-def: $vgpr52
	s_and_saveexec_b64 s[14:15], vcc
	s_cbranch_execz .LBB52_121
; %bb.80:
	v_cmp_ne_u32_e32 vcc, v23, v24
	s_mov_b32 s20, 0
	v_or_b32_e32 v1, 3, v53
	v_cndmask_b32_e64 v22, 0, 1, vcc
	v_mov_b32_e32 v49, 0
	s_mov_b32 s21, s20
	v_alignbit_b32 v48, v22, v26, 16
	v_cmp_gt_u32_e32 vcc, s3, v1
	v_mov_b64_e32 v[30:31], s[20:21]
	v_mov_b64_e32 v[32:33], s[20:21]
	;; [unrolled: 1-line block ×9, first 2 shown]
	v_mov_b32_e32 v1, v49
                                        ; implicit-def: $sgpr18_sgpr19
                                        ; implicit-def: $vgpr52
	s_and_saveexec_b64 s[16:17], vcc
	s_cbranch_execz .LBB52_120
; %bb.81:
	v_cmp_ne_u32_e32 vcc, v24, v25
	v_and_b32_e32 v1, 0xffff, v27
	v_or_b32_e32 v22, 4, v53
	v_cndmask_b32_e64 v23, 0, 1, vcc
	v_mov_b64_e32 v[30:31], s[20:21]
	v_lshl_or_b32 v49, v23, 16, v1
	v_cmp_gt_u32_e32 vcc, s3, v22
	v_mov_b32_e32 v1, 0
	v_mov_b64_e32 v[32:33], v[30:31]
	v_mov_b64_e32 v[34:35], v[30:31]
	;; [unrolled: 1-line block ×8, first 2 shown]
                                        ; implicit-def: $sgpr20_sgpr21
                                        ; implicit-def: $vgpr52
	s_and_saveexec_b64 s[18:19], vcc
	s_cbranch_execz .LBB52_119
; %bb.82:
	v_cmp_ne_u32_e32 vcc, v25, v18
	s_mov_b32 s24, 0
	v_or_b32_e32 v1, 5, v53
	v_cndmask_b32_e64 v22, 0, 1, vcc
	v_mov_b32_e32 v47, 0
	s_mov_b32 s25, s24
	v_alignbit_b32 v46, v22, v27, 16
	v_cmp_gt_u32_e32 vcc, s3, v1
	v_mov_b64_e32 v[30:31], s[24:25]
	v_mov_b64_e32 v[32:33], s[24:25]
	;; [unrolled: 1-line block ×8, first 2 shown]
	v_mov_b32_e32 v1, v47
                                        ; implicit-def: $sgpr22_sgpr23
                                        ; implicit-def: $vgpr52
	s_and_saveexec_b64 s[20:21], vcc
	s_cbranch_execz .LBB52_118
; %bb.83:
	v_cmp_ne_u32_e32 vcc, v18, v19
	v_and_b32_e32 v1, 0xffff, v28
	v_or_b32_e32 v22, 6, v53
	v_cndmask_b32_e64 v18, 0, 1, vcc
	v_mov_b64_e32 v[30:31], s[24:25]
	v_lshl_or_b32 v47, v18, 16, v1
	v_cmp_gt_u32_e32 vcc, s3, v22
	v_mov_b32_e32 v1, 0
	v_mov_b64_e32 v[32:33], v[30:31]
	v_mov_b64_e32 v[34:35], v[30:31]
	;; [unrolled: 1-line block ×7, first 2 shown]
                                        ; implicit-def: $sgpr24_sgpr25
                                        ; implicit-def: $vgpr52
	s_and_saveexec_b64 s[22:23], vcc
	s_cbranch_execz .LBB52_117
; %bb.84:
	v_cmp_ne_u32_e32 vcc, v19, v20
	s_mov_b32 s28, 0
	v_or_b32_e32 v1, 7, v53
	v_cndmask_b32_e64 v18, 0, 1, vcc
	v_mov_b32_e32 v45, 0
	s_mov_b32 s29, s28
	v_alignbit_b32 v44, v18, v28, 16
	v_cmp_gt_u32_e32 vcc, s3, v1
	v_mov_b64_e32 v[30:31], s[28:29]
	v_mov_b64_e32 v[32:33], s[28:29]
	;; [unrolled: 1-line block ×7, first 2 shown]
	v_mov_b32_e32 v1, v45
                                        ; implicit-def: $sgpr26_sgpr27
                                        ; implicit-def: $vgpr52
	s_and_saveexec_b64 s[24:25], vcc
	s_cbranch_execz .LBB52_116
; %bb.85:
	v_cmp_ne_u32_e32 vcc, v20, v21
	v_and_b32_e32 v1, 0xffff, v29
	v_add_u32_e32 v18, 8, v53
	v_cndmask_b32_e64 v19, 0, 1, vcc
	v_mov_b64_e32 v[30:31], s[28:29]
	v_lshl_or_b32 v45, v19, 16, v1
	v_cmp_gt_u32_e32 vcc, s3, v18
	v_mov_b32_e32 v1, 0
	v_mov_b64_e32 v[32:33], v[30:31]
	v_mov_b64_e32 v[34:35], v[30:31]
	;; [unrolled: 1-line block ×6, first 2 shown]
                                        ; implicit-def: $sgpr28_sgpr29
                                        ; implicit-def: $vgpr52
	s_and_saveexec_b64 s[26:27], vcc
	s_cbranch_execz .LBB52_115
; %bb.86:
	v_cmp_ne_u32_e32 vcc, v21, v14
	s_mov_b32 s34, 0
	v_add_u32_e32 v1, 9, v53
	v_cndmask_b32_e64 v18, 0, 1, vcc
	v_mov_b32_e32 v43, 0
	s_mov_b32 s35, s34
	v_alignbit_b32 v42, v18, v29, 16
	v_cmp_gt_u32_e32 vcc, s3, v1
	v_mov_b64_e32 v[30:31], s[34:35]
	v_mov_b64_e32 v[32:33], s[34:35]
	;; [unrolled: 1-line block ×6, first 2 shown]
	v_mov_b32_e32 v1, v43
                                        ; implicit-def: $sgpr30_sgpr31
                                        ; implicit-def: $vgpr52
	s_and_saveexec_b64 s[28:29], vcc
	s_cbranch_execz .LBB52_114
; %bb.87:
	ds_read_b128 v[18:21], v54 offset:18
	v_add_u32_e32 v1, 10, v53
	v_cmp_ne_u32_e32 vcc, v14, v15
	v_mov_b64_e32 v[30:31], s[34:35]
	v_mov_b64_e32 v[32:33], v[30:31]
	v_cndmask_b32_e64 v14, 0, 1, vcc
	v_cmp_gt_u32_e32 vcc, s3, v1
	s_waitcnt lgkmcnt(0)
	v_and_b32_e32 v1, 0xffff, v18
	v_lshl_or_b32 v43, v14, 16, v1
	v_mov_b32_e32 v1, 0
	v_mov_b64_e32 v[34:35], v[30:31]
	v_mov_b64_e32 v[36:37], v[30:31]
	;; [unrolled: 1-line block ×4, first 2 shown]
                                        ; implicit-def: $sgpr34_sgpr35
                                        ; implicit-def: $vgpr52
	s_and_saveexec_b64 s[30:31], vcc
	s_cbranch_execz .LBB52_113
; %bb.88:
	v_cmp_ne_u32_e32 vcc, v15, v16
	s_mov_b32 s38, 0
	v_add_u32_e32 v1, 11, v53
	v_cndmask_b32_e64 v14, 0, 1, vcc
	v_mov_b32_e32 v41, 0
	s_mov_b32 s39, s38
	v_alignbit_b32 v40, v14, v18, 16
	v_cmp_gt_u32_e32 vcc, s3, v1
	v_mov_b64_e32 v[30:31], s[38:39]
	v_mov_b64_e32 v[32:33], s[38:39]
	;; [unrolled: 1-line block ×5, first 2 shown]
	v_mov_b32_e32 v1, v41
                                        ; implicit-def: $sgpr36_sgpr37
                                        ; implicit-def: $vgpr52
	s_and_saveexec_b64 s[34:35], vcc
	s_cbranch_execz .LBB52_112
; %bb.89:
	v_cmp_ne_u32_e32 vcc, v16, v17
	v_and_b32_e32 v1, 0xffff, v19
	v_add_u32_e32 v14, 12, v53
	v_cndmask_b32_e64 v15, 0, 1, vcc
	v_mov_b64_e32 v[30:31], s[38:39]
	v_lshl_or_b32 v41, v15, 16, v1
	v_cmp_gt_u32_e32 vcc, s3, v14
	v_mov_b32_e32 v1, 0
	v_mov_b64_e32 v[32:33], v[30:31]
	v_mov_b64_e32 v[34:35], v[30:31]
	;; [unrolled: 1-line block ×4, first 2 shown]
                                        ; implicit-def: $sgpr38_sgpr39
                                        ; implicit-def: $vgpr52
	s_and_saveexec_b64 s[36:37], vcc
	s_cbranch_execz .LBB52_111
; %bb.90:
	v_cmp_ne_u32_e32 vcc, v17, v10
	s_mov_b32 s42, 0
	v_add_u32_e32 v1, 13, v53
	v_cndmask_b32_e64 v14, 0, 1, vcc
	v_mov_b32_e32 v39, 0
	s_mov_b32 s43, s42
	v_alignbit_b32 v38, v14, v19, 16
	v_cmp_gt_u32_e32 vcc, s3, v1
	v_mov_b64_e32 v[30:31], s[42:43]
	v_mov_b64_e32 v[32:33], s[42:43]
	;; [unrolled: 1-line block ×4, first 2 shown]
	v_mov_b32_e32 v1, v39
                                        ; implicit-def: $sgpr40_sgpr41
                                        ; implicit-def: $vgpr52
	s_and_saveexec_b64 s[38:39], vcc
	s_cbranch_execz .LBB52_110
; %bb.91:
	v_cmp_ne_u32_e32 vcc, v10, v11
	v_and_b32_e32 v1, 0xffff, v20
	v_add_u32_e32 v14, 14, v53
	v_cndmask_b32_e64 v10, 0, 1, vcc
	v_mov_b64_e32 v[30:31], s[42:43]
	v_lshl_or_b32 v39, v10, 16, v1
	v_cmp_gt_u32_e32 vcc, s3, v14
	v_mov_b32_e32 v1, 0
	v_mov_b64_e32 v[32:33], v[30:31]
	v_mov_b64_e32 v[34:35], v[30:31]
	v_mov_b64_e32 v[36:37], v[30:31]
                                        ; implicit-def: $sgpr42_sgpr43
                                        ; implicit-def: $vgpr52
	s_and_saveexec_b64 s[40:41], vcc
	s_cbranch_execz .LBB52_109
; %bb.92:
	v_cmp_ne_u32_e32 vcc, v11, v12
	s_mov_b32 s46, 0
	v_add_u32_e32 v1, 15, v53
	v_cndmask_b32_e64 v10, 0, 1, vcc
	v_mov_b32_e32 v37, 0
	s_mov_b32 s47, s46
	v_alignbit_b32 v36, v10, v20, 16
	v_cmp_gt_u32_e32 vcc, s3, v1
	v_mov_b64_e32 v[30:31], s[46:47]
	v_mov_b64_e32 v[32:33], s[46:47]
	;; [unrolled: 1-line block ×3, first 2 shown]
	v_mov_b32_e32 v1, v37
                                        ; implicit-def: $sgpr44_sgpr45
                                        ; implicit-def: $vgpr52
	s_and_saveexec_b64 s[42:43], vcc
	s_cbranch_execz .LBB52_108
; %bb.93:
	v_cmp_ne_u32_e32 vcc, v12, v13
	v_and_b32_e32 v1, 0xffff, v21
	v_add_u32_e32 v10, 16, v53
	v_cndmask_b32_e64 v11, 0, 1, vcc
	v_mov_b64_e32 v[30:31], s[46:47]
	v_lshl_or_b32 v37, v11, 16, v1
	v_cmp_gt_u32_e32 vcc, s3, v10
	v_mov_b32_e32 v1, 0
	v_mov_b64_e32 v[32:33], v[30:31]
	v_mov_b64_e32 v[34:35], v[30:31]
                                        ; implicit-def: $sgpr46_sgpr47
                                        ; implicit-def: $vgpr52
	s_and_saveexec_b64 s[44:45], vcc
	s_cbranch_execz .LBB52_107
; %bb.94:
	v_cmp_ne_u32_e32 vcc, v13, v6
	s_mov_b32 s50, 0
	v_add_u32_e32 v1, 17, v53
	v_cndmask_b32_e64 v10, 0, 1, vcc
	v_mov_b32_e32 v35, 0
	s_mov_b32 s51, s50
	v_alignbit_b32 v34, v10, v21, 16
	v_cmp_gt_u32_e32 vcc, s3, v1
	v_mov_b64_e32 v[30:31], s[50:51]
	v_mov_b64_e32 v[32:33], s[50:51]
	v_mov_b32_e32 v1, v35
                                        ; implicit-def: $sgpr48_sgpr49
                                        ; implicit-def: $vgpr52
	s_and_saveexec_b64 s[46:47], vcc
	s_cbranch_execz .LBB52_106
; %bb.95:
	ds_read_b96 v[10:12], v54 offset:34
	v_add_u32_e32 v1, 18, v53
	v_cmp_ne_u32_e32 vcc, v6, v7
	v_mov_b64_e32 v[30:31], s[50:51]
	v_mov_b64_e32 v[32:33], v[30:31]
	v_cndmask_b32_e64 v6, 0, 1, vcc
	v_cmp_gt_u32_e32 vcc, s3, v1
	s_waitcnt lgkmcnt(0)
	v_and_b32_e32 v1, 0xffff, v10
	v_lshl_or_b32 v35, v6, 16, v1
	v_mov_b32_e32 v1, 0
                                        ; implicit-def: $sgpr50_sgpr51
                                        ; implicit-def: $vgpr52
	s_and_saveexec_b64 s[48:49], vcc
	s_cbranch_execz .LBB52_105
; %bb.96:
	v_cmp_ne_u32_e32 vcc, v7, v8
	s_mov_b32 s66, 0
	v_add_u32_e32 v1, 19, v53
	v_cndmask_b32_e64 v6, 0, 1, vcc
	v_mov_b32_e32 v33, 0
	s_mov_b32 s67, s66
	v_alignbit_b32 v32, v6, v10, 16
	v_cmp_gt_u32_e32 vcc, s3, v1
	v_mov_b64_e32 v[30:31], s[66:67]
	v_mov_b32_e32 v1, v33
                                        ; implicit-def: $sgpr52_sgpr53
                                        ; implicit-def: $vgpr52
	s_and_saveexec_b64 s[50:51], vcc
	s_cbranch_execz .LBB52_104
; %bb.97:
	v_cmp_ne_u32_e32 vcc, v8, v9
	v_and_b32_e32 v1, 0xffff, v11
	v_add_u32_e32 v6, 20, v53
	v_cndmask_b32_e64 v7, 0, 1, vcc
	v_lshl_or_b32 v33, v7, 16, v1
	v_cmp_gt_u32_e32 vcc, s3, v6
	v_mov_b64_e32 v[30:31], s[66:67]
	v_mov_b32_e32 v1, 0
                                        ; implicit-def: $sgpr66_sgpr67
                                        ; implicit-def: $vgpr52
	s_and_saveexec_b64 s[52:53], vcc
	s_cbranch_execz .LBB52_103
; %bb.98:
	v_cmp_ne_u32_e32 vcc, v9, v2
	v_add_u32_e32 v1, 21, v53
	v_mov_b32_e32 v31, 0
	v_cndmask_b32_e64 v6, 0, 1, vcc
	v_alignbit_b32 v30, v6, v11, 16
	v_cmp_gt_u32_e32 vcc, s3, v1
	v_mov_b32_e32 v1, v31
                                        ; implicit-def: $sgpr72_sgpr73
                                        ; implicit-def: $vgpr52
	s_and_saveexec_b64 s[66:67], vcc
	s_cbranch_execz .LBB52_102
; %bb.99:
	v_cmp_ne_u32_e32 vcc, v2, v3
	v_and_b32_e32 v1, 0xffff, v12
	v_add_u32_e32 v6, 22, v53
	v_cndmask_b32_e64 v2, 0, 1, vcc
	v_lshl_or_b32 v31, v2, 16, v1
	v_cmp_gt_u32_e32 vcc, s3, v6
	v_mov_b32_e32 v1, 0
                                        ; implicit-def: $sgpr72_sgpr73
                                        ; implicit-def: $vgpr52
	s_and_saveexec_b64 s[74:75], vcc
	s_xor_b64 s[74:75], exec, s[74:75]
	s_cbranch_execz .LBB52_101
; %bb.100:
	ds_read_u16 v52, v54 offset:46
	v_add_u32_e32 v2, 23, v53
	v_cmp_ne_u32_e64 s[4:5], v3, v4
	v_cmp_ne_u32_e32 vcc, v4, v5
	s_and_b64 s[72:73], vcc, exec
	v_cndmask_b32_e64 v1, 0, 1, s[4:5]
	v_cmp_gt_u32_e64 s[4:5], s3, v2
	v_alignbit_b32 v1, v1, v12, 16
	s_and_b64 s[4:5], s[4:5], exec
.LBB52_101:
	s_or_b64 exec, exec, s[74:75]
	s_and_b64 s[72:73], s[72:73], exec
	s_and_b64 s[4:5], s[4:5], exec
.LBB52_102:
	s_or_b64 exec, exec, s[66:67]
	s_and_b64 s[66:67], s[72:73], exec
	s_and_b64 s[4:5], s[4:5], exec
.LBB52_103:
	s_or_b64 exec, exec, s[52:53]
	s_and_b64 s[52:53], s[66:67], exec
	s_and_b64 s[4:5], s[4:5], exec
.LBB52_104:
	s_or_b64 exec, exec, s[50:51]
	s_and_b64 s[50:51], s[52:53], exec
	s_and_b64 s[4:5], s[4:5], exec
.LBB52_105:
	s_or_b64 exec, exec, s[48:49]
	s_and_b64 s[48:49], s[50:51], exec
	s_and_b64 s[4:5], s[4:5], exec
.LBB52_106:
	s_or_b64 exec, exec, s[46:47]
	s_and_b64 s[46:47], s[48:49], exec
	s_and_b64 s[4:5], s[4:5], exec
.LBB52_107:
	s_or_b64 exec, exec, s[44:45]
	s_and_b64 s[44:45], s[46:47], exec
	s_and_b64 s[4:5], s[4:5], exec
.LBB52_108:
	s_or_b64 exec, exec, s[42:43]
	s_and_b64 s[42:43], s[44:45], exec
	s_and_b64 s[4:5], s[4:5], exec
.LBB52_109:
	s_or_b64 exec, exec, s[40:41]
	s_and_b64 s[40:41], s[42:43], exec
	s_and_b64 s[4:5], s[4:5], exec
.LBB52_110:
	s_or_b64 exec, exec, s[38:39]
	s_and_b64 s[38:39], s[40:41], exec
	s_and_b64 s[4:5], s[4:5], exec
.LBB52_111:
	s_or_b64 exec, exec, s[36:37]
	s_and_b64 s[36:37], s[38:39], exec
	s_and_b64 s[4:5], s[4:5], exec
.LBB52_112:
	s_or_b64 exec, exec, s[34:35]
	s_and_b64 s[34:35], s[36:37], exec
	s_and_b64 s[4:5], s[4:5], exec
.LBB52_113:
	s_or_b64 exec, exec, s[30:31]
	s_and_b64 s[30:31], s[34:35], exec
	s_and_b64 s[4:5], s[4:5], exec
.LBB52_114:
	s_or_b64 exec, exec, s[28:29]
	s_and_b64 s[28:29], s[30:31], exec
	s_and_b64 s[4:5], s[4:5], exec
.LBB52_115:
	s_or_b64 exec, exec, s[26:27]
	s_and_b64 s[26:27], s[28:29], exec
	s_and_b64 s[4:5], s[4:5], exec
.LBB52_116:
	s_or_b64 exec, exec, s[24:25]
	s_and_b64 s[24:25], s[26:27], exec
	s_and_b64 s[4:5], s[4:5], exec
.LBB52_117:
	s_or_b64 exec, exec, s[22:23]
	s_and_b64 s[22:23], s[24:25], exec
	s_and_b64 s[4:5], s[4:5], exec
.LBB52_118:
	s_or_b64 exec, exec, s[20:21]
	s_and_b64 s[20:21], s[22:23], exec
	s_and_b64 s[4:5], s[4:5], exec
.LBB52_119:
	s_or_b64 exec, exec, s[18:19]
	s_and_b64 s[18:19], s[20:21], exec
	s_and_b64 s[4:5], s[4:5], exec
.LBB52_120:
	s_or_b64 exec, exec, s[16:17]
	s_and_b64 s[16:17], s[18:19], exec
	s_and_b64 s[4:5], s[4:5], exec
.LBB52_121:
	s_or_b64 exec, exec, s[14:15]
	s_and_b64 s[14:15], s[16:17], exec
	s_and_b64 s[4:5], s[4:5], exec
.LBB52_122:
	s_or_b64 exec, exec, s[12:13]
	s_and_b64 s[12:13], s[14:15], exec
	s_and_b64 s[14:15], s[4:5], exec
.LBB52_123:
	s_or_b64 exec, exec, s[10:11]
	s_and_b64 vcc, exec, s[8:9]
	v_cmp_ne_u32_e64 s[4:5], 0, v0
	s_cbranch_vccnz .LBB52_125
	s_branch .LBB52_128
.LBB52_124:
	s_mov_b64 s[14:15], 0
                                        ; implicit-def: $sgpr12_sgpr13
                                        ; implicit-def: $vgpr30_vgpr31
                                        ; implicit-def: $vgpr32_vgpr33
                                        ; implicit-def: $vgpr34_vgpr35
                                        ; implicit-def: $vgpr36_vgpr37
                                        ; implicit-def: $vgpr38_vgpr39
                                        ; implicit-def: $vgpr40_vgpr41
                                        ; implicit-def: $vgpr42_vgpr43
                                        ; implicit-def: $vgpr44_vgpr45
                                        ; implicit-def: $vgpr46_vgpr47
                                        ; implicit-def: $vgpr48_vgpr49
                                        ; implicit-def: $vgpr50_vgpr51
                                        ; implicit-def: $vgpr52
                                        ; implicit-def: $vgpr1
                                        ; implicit-def: $sgpr6
	s_and_b64 vcc, exec, s[8:9]
	v_cmp_ne_u32_e64 s[4:5], 0, v0
	s_cbranch_vccz .LBB52_128
.LBB52_125:
	v_mov_b32_e32 v9, 0
	v_lshlrev_b32_e32 v8, 2, v0
	v_lshl_add_u64 v[2:3], s[70:71], 0, v[8:9]
	v_add_co_u32_e32 v4, vcc, 0x1000, v2
	global_load_dword v10, v8, s[70:71]
	global_load_dword v11, v8, s[70:71] offset:1024
	global_load_dword v12, v8, s[70:71] offset:2048
	;; [unrolled: 1-line block ×3, first 2 shown]
	v_addc_co_u32_e32 v5, vcc, 0, v3, vcc
	v_add_co_u32_e32 v6, vcc, 0x2000, v2
	s_movk_i32 s7, 0x5c
	s_nop 0
	v_addc_co_u32_e32 v7, vcc, 0, v3, vcc
	global_load_dword v14, v[4:5], off
	global_load_dword v15, v[4:5], off offset:1024
	global_load_dword v16, v[4:5], off offset:2048
	;; [unrolled: 1-line block ×3, first 2 shown]
	global_load_dword v18, v[6:7], off
	global_load_dword v19, v[6:7], off offset:1024
	global_load_dword v20, v[6:7], off offset:2048
	;; [unrolled: 1-line block ×3, first 2 shown]
	v_add_co_u32_e32 v4, vcc, 0x3000, v2
	s_sub_u32 s6, 0, s2
	s_nop 0
	v_addc_co_u32_e32 v5, vcc, 0, v3, vcc
	v_add_co_u32_e32 v6, vcc, 0x4000, v2
	v_mad_u32_u24 v30, v0, s7, v8
	s_nop 0
	v_addc_co_u32_e32 v7, vcc, 0, v3, vcc
	v_add_co_u32_e32 v2, vcc, 0x5000, v2
	global_load_dword v22, v[4:5], off
	global_load_dword v23, v[4:5], off offset:1024
	global_load_dword v24, v[4:5], off offset:2048
	;; [unrolled: 1-line block ×3, first 2 shown]
	global_load_dword v26, v[6:7], off
	global_load_dword v27, v[6:7], off offset:1024
	global_load_dword v28, v[6:7], off offset:2048
	;; [unrolled: 1-line block ×3, first 2 shown]
	v_addc_co_u32_e32 v3, vcc, 0, v3, vcc
	global_load_dword v4, v[2:3], off
	global_load_dword v5, v[2:3], off offset:1024
	global_load_dword v6, v[2:3], off offset:2048
	;; [unrolled: 1-line block ×3, first 2 shown]
	s_subb_u32 s7, 0, 0
	s_cmp_eq_u64 s[6:7], s[64:65]
	s_cselect_b32 s6, 0, -4
	s_cselect_b32 s7, 0, -1
	s_add_u32 s6, s70, s6
	s_addc_u32 s7, s71, s7
	s_movk_i32 s9, 0xffa4
	s_movk_i32 s8, 0x1000
	;; [unrolled: 1-line block ×3, first 2 shown]
	v_mad_i32_i24 v1, v0, s9, v30
	s_waitcnt vmcnt(22)
	ds_write2st64_b32 v8, v10, v11 offset1:4
	s_waitcnt vmcnt(20)
	ds_write2st64_b32 v8, v12, v13 offset0:8 offset1:12
	s_waitcnt vmcnt(18)
	ds_write2st64_b32 v8, v14, v15 offset0:16 offset1:20
	;; [unrolled: 2-line block ×11, first 2 shown]
	s_waitcnt lgkmcnt(0)
	s_barrier
	ds_read_b96 v[2:4], v30
	ds_read2_b32 v[26:27], v30 offset0:3 offset1:4
	ds_read2_b32 v[24:25], v30 offset0:5 offset1:6
	;; [unrolled: 1-line block ×6, first 2 shown]
	ds_read_b32 v28, v30 offset:92
	ds_read2_b32 v[16:17], v30 offset0:13 offset1:14
	ds_read2_b32 v[14:15], v30 offset0:15 offset1:16
	;; [unrolled: 1-line block ×4, first 2 shown]
	s_load_dword s6, s[6:7], 0x0
	s_waitcnt lgkmcnt(0)
	ds_write_b32 v1, v28 offset:24576
	s_waitcnt lgkmcnt(0)
	s_barrier
	v_mov_b32_e32 v5, s6
	s_and_saveexec_b64 s[6:7], s[4:5]
	s_cbranch_execz .LBB52_127
; %bb.126:
	ds_read_b32 v5, v1 offset:24572
.LBB52_127:
	s_or_b64 exec, exec, s[6:7]
	v_lshlrev_b32_e32 v8, 1, v0
	v_lshl_add_u64 v[30:31], s[68:69], 0, v[8:9]
	v_add_co_u32_e32 v32, vcc, s8, v30
	s_waitcnt lgkmcnt(0)
	s_nop 0
	v_addc_co_u32_e32 v33, vcc, 0, v31, vcc
	v_add_co_u32_e32 v30, vcc, s3, v30
	s_barrier
	global_load_ushort v9, v8, s[68:69]
	v_addc_co_u32_e32 v31, vcc, 0, v31, vcc
	global_load_ushort v29, v8, s[68:69] offset:512
	global_load_ushort v34, v8, s[68:69] offset:1024
	;; [unrolled: 1-line block ×7, first 2 shown]
	global_load_ushort v40, v[30:31], off offset:-4096
	global_load_ushort v41, v[32:33], off offset:512
	global_load_ushort v42, v[32:33], off offset:1024
	;; [unrolled: 1-line block ×7, first 2 shown]
                                        ; kill: killed $vgpr32 killed $vgpr33
                                        ; kill: killed $sgpr68 killed $sgpr69
	s_nop 0
	global_load_ushort v32, v[30:31], off
	global_load_ushort v33, v[30:31], off offset:512
	global_load_ushort v48, v[30:31], off offset:1024
	;; [unrolled: 1-line block ×7, first 2 shown]
	v_cmp_ne_u32_e32 vcc, v2, v3
	v_sub_u32_e32 v1, v1, v8
	v_mad_u32_u24 v8, v0, 46, v1
	v_cndmask_b32_e64 v54, 0, 1, vcc
	v_cmp_ne_u32_e32 vcc, v5, v2
	v_cmp_ne_u32_e64 s[12:13], v7, v28
	s_mov_b64 s[14:15], -1
	v_cndmask_b32_e64 v55, 0, 1, vcc
	v_cmp_ne_u32_e32 vcc, v4, v26
                                        ; implicit-def: $sgpr6
	s_waitcnt vmcnt(23)
	ds_write_b16 v1, v9
	s_waitcnt vmcnt(22)
	ds_write_b16 v1, v29 offset:512
	s_waitcnt vmcnt(21)
	ds_write_b16 v1, v34 offset:1024
	s_waitcnt vmcnt(20)
	ds_write_b16 v1, v35 offset:1536
	s_waitcnt vmcnt(19)
	ds_write_b16 v1, v36 offset:2048
	s_waitcnt vmcnt(18)
	ds_write_b16 v1, v37 offset:2560
	s_waitcnt vmcnt(17)
	ds_write_b16 v1, v38 offset:3072
	s_waitcnt vmcnt(16)
	ds_write_b16 v1, v39 offset:3584
	s_waitcnt vmcnt(15)
	ds_write_b16 v1, v40 offset:4096
	s_waitcnt vmcnt(14)
	ds_write_b16 v1, v41 offset:4608
	s_waitcnt vmcnt(13)
	ds_write_b16 v1, v42 offset:5120
	s_waitcnt vmcnt(12)
	ds_write_b16 v1, v43 offset:5632
	s_waitcnt vmcnt(11)
	ds_write_b16 v1, v44 offset:6144
	s_waitcnt vmcnt(10)
	ds_write_b16 v1, v45 offset:6656
	s_waitcnt vmcnt(9)
	ds_write_b16 v1, v46 offset:7168
	s_waitcnt vmcnt(8)
	ds_write_b16 v1, v47 offset:7680
	s_waitcnt vmcnt(7)
	ds_write_b16 v1, v32 offset:8192
	s_waitcnt vmcnt(6)
	ds_write_b16 v1, v33 offset:8704
	s_waitcnt vmcnt(5)
	ds_write_b16 v1, v48 offset:9216
	s_waitcnt vmcnt(4)
	ds_write_b16 v1, v49 offset:9728
	s_waitcnt vmcnt(3)
	ds_write_b16 v1, v50 offset:10240
	s_waitcnt vmcnt(2)
	ds_write_b16 v1, v51 offset:10752
	s_waitcnt vmcnt(1)
	ds_write_b16 v1, v52 offset:11264
	s_waitcnt vmcnt(0)
	ds_write_b16 v1, v53 offset:11776
	v_cndmask_b32_e64 v56, 0, 1, vcc
	v_cmp_ne_u32_e32 vcc, v3, v4
	s_waitcnt lgkmcnt(0)
	s_barrier
	ds_read_b128 v[2:5], v8 offset:32
	ds_read_b128 v[28:31], v8
	v_cndmask_b32_e64 v57, 0, 1, vcc
	v_cmp_ne_u32_e32 vcc, v27, v24
	ds_read_b128 v[32:35], v8 offset:16
	s_waitcnt lgkmcnt(2)
	v_lshrrev_b32_e32 v52, 16, v5
	v_cndmask_b32_e64 v1, 0, 1, vcc
	v_cmp_ne_u32_e32 vcc, v26, v27
	s_waitcnt lgkmcnt(1)
	v_and_b32_e32 v8, 0xffff, v28
	v_alignbit_b32 v47, v1, v30, 16
	v_cndmask_b32_e64 v1, 0, 1, vcc
	v_cmp_ne_u32_e32 vcc, v25, v22
	v_alignbit_b32 v50, v54, v28, 16
	v_and_b32_e32 v28, 0xffff, v30
	v_lshl_or_b32 v51, v55, 16, v8
	v_cndmask_b32_e64 v8, 0, 1, vcc
	v_cmp_ne_u32_e32 vcc, v24, v25
	v_lshl_or_b32 v46, v1, 16, v28
	v_and_b32_e32 v1, 0xffff, v31
	v_alignbit_b32 v45, v8, v31, 16
	v_cndmask_b32_e64 v8, 0, 1, vcc
	v_cmp_ne_u32_e32 vcc, v23, v20
	v_lshl_or_b32 v44, v8, 16, v1
	s_waitcnt lgkmcnt(0)
	v_and_b32_e32 v1, 0xffff, v32
	v_cndmask_b32_e64 v8, 0, 1, vcc
	v_cmp_ne_u32_e32 vcc, v22, v23
	v_alignbit_b32 v43, v8, v32, 16
	v_and_b32_e32 v9, 0xffff, v29
	v_cndmask_b32_e64 v8, 0, 1, vcc
	v_cmp_ne_u32_e32 vcc, v21, v18
	v_lshl_or_b32 v42, v8, 16, v1
	v_and_b32_e32 v1, 0xffff, v33
	v_cndmask_b32_e64 v8, 0, 1, vcc
	v_cmp_ne_u32_e32 vcc, v20, v21
	v_alignbit_b32 v41, v8, v33, 16
	v_alignbit_b32 v49, v56, v29, 16
	v_cndmask_b32_e64 v8, 0, 1, vcc
	v_cmp_ne_u32_e32 vcc, v19, v16
	v_lshl_or_b32 v40, v8, 16, v1
	v_and_b32_e32 v1, 0xffff, v34
	v_cndmask_b32_e64 v8, 0, 1, vcc
	v_cmp_ne_u32_e32 vcc, v18, v19
	v_alignbit_b32 v39, v8, v34, 16
	v_lshl_or_b32 v48, v57, 16, v9
	v_cndmask_b32_e64 v8, 0, 1, vcc
	v_cmp_ne_u32_e32 vcc, v17, v14
	v_lshl_or_b32 v38, v8, 16, v1
	v_and_b32_e32 v1, 0xffff, v35
	v_cndmask_b32_e64 v8, 0, 1, vcc
	v_cmp_ne_u32_e32 vcc, v16, v17
	v_alignbit_b32 v37, v8, v35, 16
	s_nop 0
	v_cndmask_b32_e64 v8, 0, 1, vcc
	v_cmp_ne_u32_e32 vcc, v15, v12
	v_lshl_or_b32 v36, v8, 16, v1
	v_and_b32_e32 v1, 0xffff, v2
	v_cndmask_b32_e64 v8, 0, 1, vcc
	v_cmp_ne_u32_e32 vcc, v14, v15
	v_alignbit_b32 v35, v8, v2, 16
	s_nop 0
	;; [unrolled: 8-line block ×4, first 2 shown]
	v_cndmask_b32_e64 v2, 0, 1, vcc
	v_cmp_ne_u32_e32 vcc, v6, v7
	v_lshl_or_b32 v30, v2, 16, v1
	v_and_b32_e32 v1, 0xffff, v5
	v_cndmask_b32_e64 v2, 0, 1, vcc
	v_lshl_or_b32 v1, v2, 16, v1
.LBB52_128:
	v_mov_b32_e32 v5, s6
	s_and_saveexec_b64 s[4:5], s[14:15]
	s_cbranch_execz .LBB52_130
; %bb.129:
	v_mov_b32_e32 v2, 0x10000
	v_cndmask_b32_e64 v2, 0, v2, s[12:13]
	s_waitcnt lgkmcnt(0)
	v_or_b32_sdwa v5, v2, v52 dst_sel:DWORD dst_unused:UNUSED_PAD src0_sel:DWORD src1_sel:WORD_0
.LBB52_130:
	s_or_b64 exec, exec, s[4:5]
	s_cmp_lg_u32 s2, 0
	s_waitcnt lgkmcnt(0)
	s_barrier
	s_cbranch_scc0 .LBB52_641
; %bb.131:
	s_mov_b32 s3, 0x10000
	v_cmp_gt_u32_e64 s[4:5], s3, v50
	v_mov_b32_e32 v2, v50
	s_and_saveexec_b64 s[6:7], s[4:5]
	s_cbranch_execz .LBB52_137
; %bb.132:
	v_lshlrev_b32_e32 v2, 16, v51
	v_lshlrev_b32_e32 v4, 16, v50
	v_pk_add_f32 v[2:3], v[2:3], v[4:5] op_sel_hi:[0,1]
	s_mov_b32 s3, 0x7f800000
	v_and_b32_e32 v3, 0x7f800000, v2
	v_cmp_ne_u32_e32 vcc, s3, v3
                                        ; implicit-def: $vgpr4
	s_and_saveexec_b64 s[8:9], vcc
	s_xor_b64 s[8:9], exec, s[8:9]
; %bb.133:
	v_bfe_u32 v3, v2, 16, 1
	s_movk_i32 s3, 0x7fff
	v_add3_u32 v4, v2, v3, s3
                                        ; implicit-def: $vgpr2_vgpr3
; %bb.134:
	s_andn2_saveexec_b64 s[8:9], s[8:9]
; %bb.135:
	v_mov_b32_e32 v3, 0
	v_or_b32_e32 v4, 0x10000, v2
	v_cmp_eq_u32_sdwa vcc, v2, v3 src0_sel:WORD_0 src1_sel:DWORD
	s_nop 1
	v_cndmask_b32_e32 v4, v4, v2, vcc
; %bb.136:
	s_or_b64 exec, exec, s[8:9]
	v_lshrrev_b32_e32 v2, 16, v4
.LBB52_137:
	s_or_b64 exec, exec, s[6:7]
	s_mov_b32 s3, 0x10000
	v_cmp_gt_u32_e64 s[6:7], s3, v48
	v_mov_b32_e32 v3, v48
	s_and_saveexec_b64 s[8:9], s[6:7]
	s_cbranch_execz .LBB52_143
; %bb.138:
	v_lshlrev_b32_e32 v2, 16, v2
	v_lshlrev_b32_e32 v4, 16, v48
	v_pk_add_f32 v[2:3], v[2:3], v[4:5] op_sel_hi:[0,1]
	s_mov_b32 s3, 0x7f800000
	v_and_b32_e32 v3, 0x7f800000, v2
	v_cmp_ne_u32_e32 vcc, s3, v3
                                        ; implicit-def: $vgpr4
	s_and_saveexec_b64 s[10:11], vcc
	s_xor_b64 s[10:11], exec, s[10:11]
; %bb.139:
	v_bfe_u32 v3, v2, 16, 1
	s_movk_i32 s3, 0x7fff
	v_add3_u32 v4, v2, v3, s3
                                        ; implicit-def: $vgpr2_vgpr3
; %bb.140:
	s_andn2_saveexec_b64 s[10:11], s[10:11]
; %bb.141:
	v_mov_b32_e32 v3, 0
	v_or_b32_e32 v4, 0x10000, v2
	v_cmp_eq_u32_sdwa vcc, v2, v3 src0_sel:WORD_0 src1_sel:DWORD
	s_nop 1
	v_cndmask_b32_e32 v4, v4, v2, vcc
; %bb.142:
	s_or_b64 exec, exec, s[10:11]
	v_lshrrev_b32_e32 v3, 16, v4
.LBB52_143:
	s_or_b64 exec, exec, s[8:9]
	;; [unrolled: 33-line block ×23, first 2 shown]
	v_or3_b32 v3, v1, v31, v30
	v_or3_b32 v3, v3, v33, v32
	;; [unrolled: 1-line block ×11, first 2 shown]
	v_and_b32_e32 v3, 0x10000, v3
	v_and_b32_e32 v2, 0x10000, v51
	v_mov_b32_e32 v4, 0x10000
	v_cmp_ne_u32_e32 vcc, 0, v3
	v_mov_b32_e32 v8, v6
	s_nop 0
	v_cndmask_b32_e32 v7, v2, v4, vcc
	v_or_b32_sdwa v4, v6, v7 dst_sel:DWORD dst_unused:UNUSED_PAD src0_sel:WORD_0 src1_sel:DWORD
	v_cmp_eq_u32_e32 vcc, 0, v7
	s_nop 0
	v_mov_b32_dpp v9, v4 row_shr:1 row_mask:0xf bank_mask:0xf
	s_and_saveexec_b64 s[52:53], vcc
	s_xor_b64 s[52:53], exec, s[52:53]
	s_cbranch_execz .LBB52_275
; %bb.270:
	v_mov_b32_e32 v3, 16
	v_lshlrev_b32_e32 v2, 16, v9
	v_lshlrev_b32_sdwa v8, v3, v6 dst_sel:DWORD dst_unused:UNUSED_PAD src0_sel:DWORD src1_sel:WORD_0
	v_pk_add_f32 v[2:3], v[2:3], v[8:9] op_sel_hi:[0,1]
	s_mov_b32 s3, 0x7f800000
	v_and_b32_e32 v3, 0x7f800000, v2
	v_cmp_ne_u32_e32 vcc, s3, v3
                                        ; implicit-def: $vgpr8
	s_and_saveexec_b64 s[64:65], vcc
	s_xor_b64 s[64:65], exec, s[64:65]
; %bb.271:
	v_bfe_u32 v3, v2, 16, 1
	s_movk_i32 s3, 0x7fff
	v_add3_u32 v8, v2, v3, s3
                                        ; implicit-def: $vgpr2_vgpr3
; %bb.272:
	s_andn2_saveexec_b64 s[64:65], s[64:65]
; %bb.273:
	v_mov_b32_e32 v3, 0
	v_or_b32_e32 v8, 0x10000, v2
	v_cmp_eq_u32_sdwa vcc, v2, v3 src0_sel:WORD_0 src1_sel:DWORD
	s_nop 1
	v_cndmask_b32_e32 v8, v8, v2, vcc
; %bb.274:
	s_or_b64 exec, exec, s[64:65]
	v_lshrrev_b32_e32 v8, 16, v8
.LBB52_275:
	s_or_b64 exec, exec, s[52:53]
	v_mbcnt_lo_u32_b32 v2, -1, 0
	v_mbcnt_hi_u32_b32 v16, -1, v2
	v_and_b32_e32 v2, 0x10000, v7
	v_mov_b32_e32 v3, 1
	v_and_b32_sdwa v3, v9, v3 dst_sel:DWORD dst_unused:UNUSED_PAD src0_sel:WORD_1 src1_sel:DWORD
	v_cmp_ne_u32_e32 vcc, 0, v2
	v_and_b32_e32 v10, 15, v16
	s_mov_b32 s3, 0x10000
	v_cndmask_b32_e64 v9, v3, 1, vcc
	v_lshlrev_b32_e32 v2, 16, v9
	v_or_b32_sdwa v2, v2, v8 dst_sel:DWORD dst_unused:UNUSED_PAD src0_sel:DWORD src1_sel:WORD_0
	v_cmp_eq_u32_e32 vcc, 0, v10
	s_nop 1
	v_cndmask_b32_e32 v4, v2, v4, vcc
	v_cmp_gt_u32_e64 s[52:53], s3, v4
	v_mov_b32_e32 v2, v4
	v_mov_b32_dpp v11, v4 row_shr:2 row_mask:0xf bank_mask:0xf
	s_and_saveexec_b64 s[64:65], s[52:53]
	s_cbranch_execz .LBB52_281
; %bb.276:
	v_lshlrev_b32_e32 v2, 16, v4
	v_lshlrev_b32_e32 v12, 16, v11
	v_pk_add_f32 v[2:3], v[2:3], v[12:13] op_sel_hi:[0,1]
	s_mov_b32 s3, 0x7f800000
	v_and_b32_e32 v3, 0x7f800000, v2
	v_cmp_ne_u32_e64 s[52:53], s3, v3
                                        ; implicit-def: $vgpr12
	s_and_saveexec_b64 s[66:67], s[52:53]
	s_xor_b64 s[52:53], exec, s[66:67]
; %bb.277:
	v_bfe_u32 v3, v2, 16, 1
	s_movk_i32 s3, 0x7fff
	v_add3_u32 v12, v2, v3, s3
                                        ; implicit-def: $vgpr2_vgpr3
; %bb.278:
	s_andn2_saveexec_b64 s[66:67], s[52:53]
; %bb.279:
	v_mov_b32_e32 v3, 0
	v_or_b32_e32 v12, 0x10000, v2
	v_cmp_eq_u32_sdwa s[52:53], v2, v3 src0_sel:WORD_0 src1_sel:DWORD
	s_nop 1
	v_cndmask_b32_e64 v12, v12, v2, s[52:53]
; %bb.280:
	s_or_b64 exec, exec, s[66:67]
	v_lshrrev_b32_e32 v2, 16, v12
.LBB52_281:
	s_or_b64 exec, exec, s[64:65]
	v_lshrrev_b32_e32 v3, 16, v7
	v_cndmask_b32_e32 v7, v8, v6, vcc
	v_cndmask_b32_e32 v6, v9, v3, vcc
	v_lshrrev_b32_e32 v8, 16, v4
	v_cmp_lt_u32_e32 vcc, 1, v10
	v_mov_b32_e32 v9, v4
	s_and_saveexec_b64 s[52:53], vcc
; %bb.282:
	v_and_b32_e32 v3, 0x10000, v4
	v_mov_b32_e32 v4, 1
	v_and_b32_sdwa v4, v11, v4 dst_sel:DWORD dst_unused:UNUSED_PAD src0_sel:WORD_1 src1_sel:DWORD
	v_cmp_ne_u32_e32 vcc, 0, v3
	v_mov_b32_e32 v7, v2
	s_nop 0
	v_cndmask_b32_e64 v6, v4, 1, vcc
	v_lshlrev_b32_e32 v3, 16, v6
	v_or_b32_sdwa v9, v3, v2 dst_sel:DWORD dst_unused:UNUSED_PAD src0_sel:DWORD src1_sel:WORD_0
	v_mov_b32_e32 v8, v6
	v_mov_b32_e32 v4, v2
; %bb.283:
	s_or_b64 exec, exec, s[52:53]
	v_mov_b32_dpp v11, v9 row_shr:4 row_mask:0xf bank_mask:0xf
	v_cmp_eq_u16_e32 vcc, 0, v8
	v_mov_b32_e32 v2, v4
	s_and_saveexec_b64 s[52:53], vcc
	s_cbranch_execz .LBB52_289
; %bb.284:
	v_lshlrev_b32_e32 v2, 16, v11
	v_lshlrev_b32_e32 v12, 16, v4
	v_pk_add_f32 v[2:3], v[2:3], v[12:13] op_sel_hi:[0,1]
	s_mov_b32 s3, 0x7f800000
	v_and_b32_e32 v3, 0x7f800000, v2
	v_cmp_ne_u32_e32 vcc, s3, v3
                                        ; implicit-def: $vgpr12
	s_and_saveexec_b64 s[64:65], vcc
	s_xor_b64 s[64:65], exec, s[64:65]
; %bb.285:
	v_bfe_u32 v3, v2, 16, 1
	s_movk_i32 s3, 0x7fff
	v_add3_u32 v12, v2, v3, s3
                                        ; implicit-def: $vgpr2_vgpr3
; %bb.286:
	s_andn2_saveexec_b64 s[64:65], s[64:65]
; %bb.287:
	v_mov_b32_e32 v3, 0
	v_or_b32_e32 v12, 0x10000, v2
	v_cmp_eq_u32_sdwa vcc, v2, v3 src0_sel:WORD_0 src1_sel:DWORD
	s_nop 1
	v_cndmask_b32_e32 v12, v12, v2, vcc
; %bb.288:
	s_or_b64 exec, exec, s[64:65]
	v_lshrrev_b32_e32 v2, 16, v12
.LBB52_289:
	s_or_b64 exec, exec, s[52:53]
	v_cmp_lt_u32_e32 vcc, 3, v10
	s_and_saveexec_b64 s[52:53], vcc
; %bb.290:
	v_and_b32_e32 v3, 1, v8
	v_mov_b32_e32 v4, 1
	v_and_b32_sdwa v4, v11, v4 dst_sel:DWORD dst_unused:UNUSED_PAD src0_sel:WORD_1 src1_sel:DWORD
	v_cmp_eq_u32_e32 vcc, 1, v3
	v_mov_b32_e32 v7, v2
	s_nop 0
	v_cndmask_b32_e64 v6, v4, 1, vcc
	v_lshlrev_b32_e32 v3, 16, v6
	v_or_b32_sdwa v9, v3, v2 dst_sel:DWORD dst_unused:UNUSED_PAD src0_sel:DWORD src1_sel:WORD_0
	v_mov_b32_e32 v8, v6
	v_mov_b32_e32 v4, v2
; %bb.291:
	s_or_b64 exec, exec, s[52:53]
	v_mov_b32_dpp v11, v9 row_shr:8 row_mask:0xf bank_mask:0xf
	v_cmp_eq_u16_e32 vcc, 0, v8
	v_mov_b32_e32 v2, v4
	s_and_saveexec_b64 s[52:53], vcc
	s_cbranch_execz .LBB52_297
; %bb.292:
	v_lshlrev_b32_e32 v2, 16, v11
	v_lshlrev_b32_e32 v12, 16, v4
	v_pk_add_f32 v[2:3], v[2:3], v[12:13] op_sel_hi:[0,1]
	s_mov_b32 s3, 0x7f800000
	v_and_b32_e32 v3, 0x7f800000, v2
	v_cmp_ne_u32_e32 vcc, s3, v3
                                        ; implicit-def: $vgpr12
	s_and_saveexec_b64 s[64:65], vcc
	s_xor_b64 s[64:65], exec, s[64:65]
; %bb.293:
	v_bfe_u32 v3, v2, 16, 1
	s_movk_i32 s3, 0x7fff
	v_add3_u32 v12, v2, v3, s3
                                        ; implicit-def: $vgpr2_vgpr3
; %bb.294:
	s_andn2_saveexec_b64 s[64:65], s[64:65]
; %bb.295:
	v_mov_b32_e32 v3, 0
	v_or_b32_e32 v12, 0x10000, v2
	v_cmp_eq_u32_sdwa vcc, v2, v3 src0_sel:WORD_0 src1_sel:DWORD
	s_nop 1
	v_cndmask_b32_e32 v12, v12, v2, vcc
; %bb.296:
	s_or_b64 exec, exec, s[64:65]
	v_lshrrev_b32_e32 v2, 16, v12
.LBB52_297:
	s_or_b64 exec, exec, s[52:53]
	v_cmp_lt_u32_e32 vcc, 7, v10
	s_and_saveexec_b64 s[52:53], vcc
; %bb.298:
	v_and_b32_e32 v3, 1, v8
	v_mov_b32_e32 v4, 1
	v_and_b32_sdwa v4, v11, v4 dst_sel:DWORD dst_unused:UNUSED_PAD src0_sel:WORD_1 src1_sel:DWORD
	v_cmp_eq_u32_e32 vcc, 1, v3
	v_mov_b32_e32 v7, v2
	s_nop 0
	v_cndmask_b32_e64 v6, v4, 1, vcc
	v_lshlrev_b32_e32 v3, 16, v6
	v_or_b32_sdwa v9, v3, v2 dst_sel:DWORD dst_unused:UNUSED_PAD src0_sel:DWORD src1_sel:WORD_0
	v_mov_b32_e32 v8, v6
	v_mov_b32_e32 v4, v2
; %bb.299:
	s_or_b64 exec, exec, s[52:53]
	v_mov_b32_dpp v10, v9 row_bcast:15 row_mask:0xf bank_mask:0xf
	v_cmp_eq_u16_e32 vcc, 0, v8
	v_mov_b32_e32 v2, v4
	s_and_saveexec_b64 s[52:53], vcc
	s_cbranch_execz .LBB52_305
; %bb.300:
	v_lshlrev_b32_e32 v2, 16, v10
	v_lshlrev_b32_e32 v12, 16, v4
	v_pk_add_f32 v[2:3], v[2:3], v[12:13] op_sel_hi:[0,1]
	s_mov_b32 s3, 0x7f800000
	v_and_b32_e32 v3, 0x7f800000, v2
	v_cmp_ne_u32_e32 vcc, s3, v3
                                        ; implicit-def: $vgpr11
	s_and_saveexec_b64 s[64:65], vcc
	s_xor_b64 s[64:65], exec, s[64:65]
; %bb.301:
	v_bfe_u32 v3, v2, 16, 1
	s_movk_i32 s3, 0x7fff
	v_add3_u32 v11, v2, v3, s3
                                        ; implicit-def: $vgpr2_vgpr3
; %bb.302:
	s_andn2_saveexec_b64 s[64:65], s[64:65]
; %bb.303:
	v_mov_b32_e32 v3, 0
	v_or_b32_e32 v11, 0x10000, v2
	v_cmp_eq_u32_sdwa vcc, v2, v3 src0_sel:WORD_0 src1_sel:DWORD
	s_nop 1
	v_cndmask_b32_e32 v11, v11, v2, vcc
; %bb.304:
	s_or_b64 exec, exec, s[64:65]
	v_lshrrev_b32_e32 v2, 16, v11
.LBB52_305:
	s_or_b64 exec, exec, s[52:53]
	v_and_b32_e32 v3, 16, v16
	v_cmp_ne_u32_e32 vcc, 0, v3
	s_and_saveexec_b64 s[52:53], vcc
; %bb.306:
	v_and_b32_e32 v3, 1, v8
	v_mov_b32_e32 v4, 1
	v_and_b32_sdwa v4, v10, v4 dst_sel:DWORD dst_unused:UNUSED_PAD src0_sel:WORD_1 src1_sel:DWORD
	v_cmp_eq_u32_e32 vcc, 1, v3
	v_mov_b32_e32 v7, v2
	s_nop 0
	v_cndmask_b32_e64 v6, v4, 1, vcc
	v_lshlrev_b32_e32 v3, 16, v6
	v_or_b32_sdwa v9, v3, v2 dst_sel:DWORD dst_unused:UNUSED_PAD src0_sel:DWORD src1_sel:WORD_0
	v_mov_b32_e32 v8, v6
	v_mov_b32_e32 v4, v2
; %bb.307:
	s_or_b64 exec, exec, s[52:53]
	v_mov_b32_dpp v9, v9 row_bcast:31 row_mask:0xf bank_mask:0xf
	v_cmp_eq_u16_e32 vcc, 0, v8
	s_and_saveexec_b64 s[52:53], vcc
	s_cbranch_execz .LBB52_313
; %bb.308:
	v_lshlrev_b32_e32 v2, 16, v9
	v_lshlrev_b32_e32 v4, 16, v4
	v_pk_add_f32 v[2:3], v[2:3], v[4:5] op_sel_hi:[0,1]
	s_mov_b32 s3, 0x7f800000
	v_and_b32_e32 v3, 0x7f800000, v2
	v_cmp_ne_u32_e32 vcc, s3, v3
                                        ; implicit-def: $vgpr4
	s_and_saveexec_b64 s[64:65], vcc
	s_xor_b64 s[64:65], exec, s[64:65]
; %bb.309:
	v_bfe_u32 v3, v2, 16, 1
	s_movk_i32 s3, 0x7fff
	v_add3_u32 v4, v2, v3, s3
                                        ; implicit-def: $vgpr2_vgpr3
; %bb.310:
	s_andn2_saveexec_b64 s[64:65], s[64:65]
; %bb.311:
	v_mov_b32_e32 v3, 0
	v_or_b32_e32 v4, 0x10000, v2
	v_cmp_eq_u32_sdwa vcc, v2, v3 src0_sel:WORD_0 src1_sel:DWORD
	s_nop 1
	v_cndmask_b32_e32 v4, v4, v2, vcc
; %bb.312:
	s_or_b64 exec, exec, s[64:65]
	v_lshrrev_b32_e32 v4, 16, v4
.LBB52_313:
	s_or_b64 exec, exec, s[52:53]
	v_and_b32_e32 v2, 1, v8
	v_mov_b32_e32 v3, 1
	v_and_b32_sdwa v3, v9, v3 dst_sel:DWORD dst_unused:UNUSED_PAD src0_sel:WORD_1 src1_sel:DWORD
	v_cmp_eq_u32_e32 vcc, 1, v2
	v_lshrrev_b32_e32 v8, 6, v0
	s_nop 0
	v_cndmask_b32_e64 v2, v3, 1, vcc
	v_cmp_lt_u32_e32 vcc, 31, v16
	s_nop 1
	v_cndmask_b32_e32 v6, v6, v2, vcc
	v_or_b32_e32 v2, 63, v0
	v_cndmask_b32_e32 v7, v7, v4, vcc
	v_cmp_eq_u32_e32 vcc, v2, v0
	s_and_saveexec_b64 s[52:53], vcc
	s_cbranch_execz .LBB52_315
; %bb.314:
	v_lshlrev_b32_e32 v2, 2, v8
	ds_write_b16 v2, v7
	ds_write_b8 v2, v6 offset:2
.LBB52_315:
	s_or_b64 exec, exec, s[52:53]
	v_cmp_gt_u32_e32 vcc, 4, v0
	s_waitcnt lgkmcnt(0)
	s_barrier
	s_and_saveexec_b64 s[52:53], vcc
	s_cbranch_execz .LBB52_331
; %bb.316:
	v_lshlrev_b32_e32 v4, 2, v0
	ds_read_b32 v9, v4
	v_mov_b32_e32 v2, 0
	s_waitcnt lgkmcnt(0)
	v_lshrrev_b32_e32 v10, 16, v9
	v_mov_b32_dpp v12, v9 row_shr:1 row_mask:0xf bank_mask:0xf
	v_cmp_eq_u16_sdwa s[66:67], v10, v2 src0_sel:BYTE_0 src1_sel:DWORD
	v_mov_b32_e32 v2, v9
	s_and_saveexec_b64 s[64:65], s[66:67]
	s_cbranch_execz .LBB52_322
; %bb.317:
	v_lshlrev_b32_e32 v2, 16, v12
	v_lshlrev_b32_e32 v14, 16, v9
	v_pk_add_f32 v[2:3], v[2:3], v[14:15] op_sel_hi:[0,1]
	s_mov_b32 s3, 0x7f800000
	v_and_b32_e32 v3, 0x7f800000, v2
	v_cmp_ne_u32_e32 vcc, s3, v3
                                        ; implicit-def: $vgpr11
	s_and_saveexec_b64 s[66:67], vcc
	s_xor_b64 s[66:67], exec, s[66:67]
; %bb.318:
	v_bfe_u32 v3, v2, 16, 1
	s_movk_i32 s3, 0x7fff
	v_add3_u32 v11, v2, v3, s3
                                        ; implicit-def: $vgpr2_vgpr3
; %bb.319:
	s_andn2_saveexec_b64 s[66:67], s[66:67]
; %bb.320:
	v_mov_b32_e32 v3, 0
	v_or_b32_e32 v11, 0x10000, v2
	v_cmp_eq_u32_sdwa vcc, v2, v3 src0_sel:WORD_0 src1_sel:DWORD
	s_nop 1
	v_cndmask_b32_e32 v11, v11, v2, vcc
; %bb.321:
	s_or_b64 exec, exec, s[66:67]
	v_lshrrev_b32_e32 v2, 16, v11
.LBB52_322:
	s_or_b64 exec, exec, s[64:65]
	v_and_b32_e32 v11, 3, v16
	v_cmp_ne_u32_e32 vcc, 0, v11
	v_mov_b32_e32 v13, v9
	s_and_saveexec_b64 s[64:65], vcc
; %bb.323:
	v_and_b32_e32 v3, 0xff000000, v9
	v_and_b32_e32 v9, 0x10000, v9
	v_mov_b32_e32 v10, 1
	v_and_b32_sdwa v10, v12, v10 dst_sel:DWORD dst_unused:UNUSED_PAD src0_sel:WORD_1 src1_sel:DWORD
	v_cmp_ne_u32_e32 vcc, 0, v9
	v_and_b32_e32 v12, 0xffff, v2
	s_nop 0
	v_cndmask_b32_e64 v10, v10, 1, vcc
	v_lshlrev_b32_e32 v9, 16, v10
	v_or3_b32 v13, v9, v3, v12
	v_mov_b32_e32 v9, v2
; %bb.324:
	s_or_b64 exec, exec, s[64:65]
	v_and_b32_e32 v2, 0xff0000, v13
	v_mov_b32_dpp v12, v13 row_shr:2 row_mask:0xf bank_mask:0xf
	v_cmp_eq_u32_e32 vcc, 0, v2
	v_mov_b32_e32 v2, v13
	s_and_saveexec_b64 s[64:65], vcc
	s_cbranch_execz .LBB52_330
; %bb.325:
	v_lshlrev_b32_e32 v2, 16, v12
	v_lshlrev_b32_e32 v14, 16, v13
	v_pk_add_f32 v[2:3], v[2:3], v[14:15] op_sel_hi:[0,1]
	s_mov_b32 s3, 0x7f800000
	v_and_b32_e32 v3, 0x7f800000, v2
	v_cmp_ne_u32_e32 vcc, s3, v3
                                        ; implicit-def: $vgpr14
	s_and_saveexec_b64 s[66:67], vcc
	s_xor_b64 s[66:67], exec, s[66:67]
; %bb.326:
	v_bfe_u32 v3, v2, 16, 1
	s_movk_i32 s3, 0x7fff
	v_add3_u32 v14, v2, v3, s3
                                        ; implicit-def: $vgpr2_vgpr3
; %bb.327:
	s_andn2_saveexec_b64 s[66:67], s[66:67]
; %bb.328:
	v_mov_b32_e32 v3, 0
	v_or_b32_e32 v14, 0x10000, v2
	v_cmp_eq_u32_sdwa vcc, v2, v3 src0_sel:WORD_0 src1_sel:DWORD
	s_nop 1
	v_cndmask_b32_e32 v14, v14, v2, vcc
; %bb.329:
	s_or_b64 exec, exec, s[66:67]
	v_lshrrev_b32_e32 v2, 16, v14
.LBB52_330:
	s_or_b64 exec, exec, s[64:65]
	v_and_b32_e32 v3, 0x10000, v13
	v_mov_b32_e32 v13, 1
	v_and_b32_sdwa v12, v12, v13 dst_sel:DWORD dst_unused:UNUSED_PAD src0_sel:WORD_1 src1_sel:DWORD
	v_cmp_eq_u32_e32 vcc, 0, v3
	s_nop 1
	v_cndmask_b32_e32 v3, 1, v12, vcc
	v_cmp_lt_u32_e32 vcc, 1, v11
	s_nop 1
	v_cndmask_b32_e32 v2, v9, v2, vcc
	v_cndmask_b32_e32 v3, v10, v3, vcc
	ds_write_b16 v4, v2
	ds_write_b8 v4, v3 offset:2
.LBB52_331:
	s_or_b64 exec, exec, s[52:53]
	v_cmp_gt_u32_e32 vcc, 64, v0
	v_cmp_lt_u32_e64 s[52:53], 63, v0
	v_mov_b32_e32 v4, 0
	v_mov_b32_e32 v14, 0
	s_waitcnt lgkmcnt(0)
	s_barrier
	s_and_saveexec_b64 s[64:65], s[52:53]
	s_cbranch_execz .LBB52_339
; %bb.332:
	v_lshl_add_u32 v2, v8, 2, -4
	ds_read_u16 v14, v2
	ds_read_u8 v4, v2 offset:2
	v_cmp_eq_u16_e64 s[52:53], 0, v6
	s_and_saveexec_b64 s[66:67], s[52:53]
	s_cbranch_execz .LBB52_338
; %bb.333:
	s_waitcnt lgkmcnt(1)
	v_lshlrev_b32_e32 v2, 16, v14
	v_lshlrev_b32_e32 v8, 16, v7
	v_pk_add_f32 v[2:3], v[2:3], v[8:9] op_sel_hi:[0,1]
	s_mov_b32 s3, 0x7f800000
	v_and_b32_e32 v3, 0x7f800000, v2
	v_cmp_ne_u32_e64 s[52:53], s3, v3
                                        ; implicit-def: $vgpr7
	s_and_saveexec_b64 s[68:69], s[52:53]
	s_xor_b64 s[52:53], exec, s[68:69]
; %bb.334:
	v_bfe_u32 v3, v2, 16, 1
	s_movk_i32 s3, 0x7fff
	v_add3_u32 v7, v2, v3, s3
                                        ; implicit-def: $vgpr2_vgpr3
; %bb.335:
	s_andn2_saveexec_b64 s[68:69], s[52:53]
; %bb.336:
	v_mov_b32_e32 v3, 0
	v_or_b32_e32 v7, 0x10000, v2
	v_cmp_eq_u32_sdwa s[52:53], v2, v3 src0_sel:WORD_0 src1_sel:DWORD
	s_nop 1
	v_cndmask_b32_e64 v7, v7, v2, s[52:53]
; %bb.337:
	s_or_b64 exec, exec, s[68:69]
	v_lshrrev_b32_e32 v7, 16, v7
.LBB52_338:
	s_or_b64 exec, exec, s[66:67]
	v_and_b32_e32 v2, 1, v6
	v_cmp_eq_u32_e64 s[52:53], 1, v2
	s_waitcnt lgkmcnt(0)
	s_nop 0
	v_cndmask_b32_e64 v6, v4, 1, s[52:53]
.LBB52_339:
	s_or_b64 exec, exec, s[64:65]
	v_and_b32_e32 v2, 0xff, v6
	v_and_b32_e32 v3, 0xffff, v7
	v_lshl_or_b32 v2, v2, 16, v3
	v_add_u32_e32 v3, -1, v16
	v_and_b32_e32 v6, 64, v16
	v_cmp_lt_i32_e64 s[52:53], v3, v6
	s_nop 1
	v_cndmask_b32_e64 v3, v3, v16, s[52:53]
	v_lshlrev_b32_e32 v3, 2, v3
	ds_bpermute_b32 v15, v3, v2
	v_cmp_eq_u32_e64 s[52:53], 0, v16
	s_and_saveexec_b64 s[64:65], vcc
	s_cbranch_execz .LBB52_466
; %bb.340:
	v_mov_b32_e32 v9, 0
	ds_read_b32 v2, v9 offset:12
	s_waitcnt lgkmcnt(0)
	v_readfirstlane_b32 s3, v2
	s_and_saveexec_b64 s[66:67], s[52:53]
	s_cbranch_execz .LBB52_342
; %bb.341:
	s_add_i32 s68, s2, 64
	s_mov_b32 s69, 0
	s_lshl_b64 s[68:69], s[68:69], 3
	s_add_u32 s68, s60, s68
	s_addc_u32 s69, s61, s69
	v_mov_b32_e32 v2, s3
	v_mov_b32_e32 v3, 1
	global_store_dwordx2 v9, v[2:3], s[68:69] sc1
.LBB52_342:
	s_or_b64 exec, exec, s[66:67]
	v_xad_u32 v2, v16, -1, s2
	v_add_u32_e32 v8, 64, v2
	v_lshl_add_u64 v[12:13], v[8:9], 3, s[60:61]
	global_load_dwordx2 v[6:7], v[12:13], off sc1
	s_waitcnt vmcnt(0)
	v_cmp_eq_u16_sdwa s[68:69], v7, v9 src0_sel:BYTE_0 src1_sel:DWORD
	v_mov_b64_e32 v[10:11], v[6:7]
	s_and_saveexec_b64 s[66:67], s[68:69]
	s_cbranch_execz .LBB52_346
; %bb.343:
	s_mov_b64 s[68:69], 0
	v_mov_b32_e32 v3, 0
.LBB52_344:                             ; =>This Inner Loop Header: Depth=1
	global_load_dwordx2 v[6:7], v[12:13], off sc1
	s_waitcnt vmcnt(0)
	v_cmp_ne_u16_sdwa s[70:71], v7, v3 src0_sel:BYTE_0 src1_sel:DWORD
	s_or_b64 s[68:69], s[70:71], s[68:69]
	s_andn2_b64 exec, exec, s[68:69]
	s_cbranch_execnz .LBB52_344
; %bb.345:
	s_or_b64 exec, exec, s[68:69]
	v_mov_b64_e32 v[10:11], v[6:7]
.LBB52_346:
	s_or_b64 exec, exec, s[66:67]
	v_mov_b32_e32 v3, 2
	v_cmp_eq_u16_sdwa s[66:67], v7, v3 src0_sel:BYTE_0 src1_sel:DWORD
	v_lshlrev_b64 v[8:9], v16, -1
	v_and_b32_e32 v26, 0xffffff, v10
	v_and_b32_e32 v3, s67, v9
	v_or_b32_e32 v3, 0x80000000, v3
	v_and_b32_e32 v6, s66, v8
	v_ffbl_b32_e32 v3, v3
	v_add_u32_e32 v3, 32, v3
	v_ffbl_b32_e32 v6, v6
	v_min_u32_e32 v3, v6, v3
	v_and_b32_e32 v6, 63, v16
	v_cmp_ne_u32_e32 vcc, 63, v6
	v_add_u32_e32 v13, 1, v16
	v_bfe_u32 v27, v10, 16, 8
	v_addc_co_u32_e32 v11, vcc, 0, v16, vcc
	v_lshlrev_b32_e32 v12, 2, v11
	ds_bpermute_b32 v17, v12, v26
	v_lshrrev_b32_e32 v11, 16, v10
	v_cmp_le_u32_e32 vcc, v13, v3
	s_and_saveexec_b64 s[66:67], vcc
	s_cbranch_execz .LBB52_354
; %bb.347:
	v_and_b32_e32 v18, 0xff0000, v10
	v_cmp_eq_u32_e32 vcc, 0, v18
	s_and_saveexec_b64 s[68:69], vcc
	s_cbranch_execz .LBB52_353
; %bb.348:
	s_waitcnt lgkmcnt(0)
	v_lshlrev_b32_e32 v20, 16, v17
	v_lshlrev_b32_e32 v10, 16, v10
	v_pk_add_f32 v[10:11], v[20:21], v[10:11] op_sel_hi:[0,1]
	s_mov_b32 s63, 0x7f800000
	v_and_b32_e32 v11, 0x7f800000, v10
	v_cmp_ne_u32_e32 vcc, s63, v11
                                        ; implicit-def: $vgpr19
	s_and_saveexec_b64 s[70:71], vcc
	s_xor_b64 s[70:71], exec, s[70:71]
; %bb.349:
	v_bfe_u32 v11, v10, 16, 1
	s_movk_i32 s63, 0x7fff
	v_add3_u32 v19, v10, v11, s63
                                        ; implicit-def: $vgpr10_vgpr11
; %bb.350:
	s_andn2_saveexec_b64 s[70:71], s[70:71]
; %bb.351:
	v_mov_b32_e32 v11, 0
	v_or_b32_e32 v19, 0x10000, v10
	v_cmp_eq_u32_sdwa vcc, v10, v11 src0_sel:WORD_0 src1_sel:DWORD
	s_nop 1
	v_cndmask_b32_e32 v19, v19, v10, vcc
; %bb.352:
	s_or_b64 exec, exec, s[70:71]
	v_lshrrev_b32_e32 v10, 16, v19
.LBB52_353:
	s_or_b64 exec, exec, s[68:69]
	v_and_b32_e32 v11, 0x10000, v18
	v_mov_b32_e32 v18, 1
	s_waitcnt lgkmcnt(0)
	v_and_b32_sdwa v17, v17, v18 dst_sel:DWORD dst_unused:UNUSED_PAD src0_sel:WORD_1 src1_sel:DWORD
	v_cmp_ne_u32_e32 vcc, 0, v11
	s_nop 1
	v_cndmask_b32_e64 v27, v17, 1, vcc
	v_lshlrev_b32_e32 v11, 16, v27
	v_or_b32_sdwa v26, v11, v10 dst_sel:DWORD dst_unused:UNUSED_PAD src0_sel:DWORD src1_sel:WORD_0
	v_mov_b32_e32 v11, v27
.LBB52_354:
	s_or_b64 exec, exec, s[66:67]
	v_cmp_gt_u32_e32 vcc, 62, v6
	v_add_u32_e32 v18, 2, v16
	s_waitcnt lgkmcnt(0)
	v_cndmask_b32_e64 v17, 0, 1, vcc
	v_lshlrev_b32_e32 v17, 1, v17
	v_add_lshl_u32 v17, v17, v16, 2
	ds_bpermute_b32 v19, v17, v26
	v_cmp_le_u32_e32 vcc, v18, v3
	s_and_saveexec_b64 s[66:67], vcc
	s_cbranch_execz .LBB52_362
; %bb.355:
	v_cmp_eq_u16_e32 vcc, 0, v27
	s_and_saveexec_b64 s[68:69], vcc
	s_cbranch_execz .LBB52_361
; %bb.356:
	s_waitcnt lgkmcnt(0)
	v_lshlrev_b32_e32 v20, 16, v19
	v_lshlrev_b32_e32 v10, 16, v10
	v_pk_add_f32 v[10:11], v[20:21], v[10:11] op_sel_hi:[0,1]
	s_mov_b32 s63, 0x7f800000
	v_and_b32_e32 v11, 0x7f800000, v10
	v_cmp_ne_u32_e32 vcc, s63, v11
                                        ; implicit-def: $vgpr20
	s_and_saveexec_b64 s[70:71], vcc
	s_xor_b64 s[70:71], exec, s[70:71]
; %bb.357:
	v_bfe_u32 v11, v10, 16, 1
	s_movk_i32 s63, 0x7fff
	v_add3_u32 v20, v10, v11, s63
                                        ; implicit-def: $vgpr10_vgpr11
; %bb.358:
	s_andn2_saveexec_b64 s[70:71], s[70:71]
; %bb.359:
	v_mov_b32_e32 v11, 0
	v_or_b32_e32 v20, 0x10000, v10
	v_cmp_eq_u32_sdwa vcc, v10, v11 src0_sel:WORD_0 src1_sel:DWORD
	s_nop 1
	v_cndmask_b32_e32 v20, v20, v10, vcc
; %bb.360:
	s_or_b64 exec, exec, s[70:71]
	v_lshrrev_b32_e32 v10, 16, v20
.LBB52_361:
	s_or_b64 exec, exec, s[68:69]
	v_and_b32_e32 v11, 1, v27
	v_mov_b32_e32 v20, 1
	s_waitcnt lgkmcnt(0)
	v_and_b32_sdwa v19, v19, v20 dst_sel:DWORD dst_unused:UNUSED_PAD src0_sel:WORD_1 src1_sel:DWORD
	v_cmp_eq_u32_e32 vcc, 1, v11
	s_nop 1
	v_cndmask_b32_e64 v27, v19, 1, vcc
	v_lshlrev_b32_e32 v11, 16, v27
	v_or_b32_sdwa v26, v11, v10 dst_sel:DWORD dst_unused:UNUSED_PAD src0_sel:DWORD src1_sel:WORD_0
	v_mov_b32_e32 v11, v27
.LBB52_362:
	s_or_b64 exec, exec, s[66:67]
	v_cmp_gt_u32_e32 vcc, 60, v6
	v_add_u32_e32 v20, 4, v16
	s_waitcnt lgkmcnt(0)
	v_cndmask_b32_e64 v19, 0, 1, vcc
	v_lshlrev_b32_e32 v19, 2, v19
	v_add_lshl_u32 v19, v19, v16, 2
	ds_bpermute_b32 v21, v19, v26
	v_cmp_le_u32_e32 vcc, v20, v3
	s_and_saveexec_b64 s[66:67], vcc
	s_cbranch_execz .LBB52_370
; %bb.363:
	v_cmp_eq_u16_e32 vcc, 0, v27
	s_and_saveexec_b64 s[68:69], vcc
	s_cbranch_execz .LBB52_369
; %bb.364:
	s_waitcnt lgkmcnt(0)
	v_lshlrev_b32_e32 v22, 16, v21
	v_lshlrev_b32_e32 v10, 16, v10
	v_pk_add_f32 v[10:11], v[22:23], v[10:11] op_sel_hi:[0,1]
	s_mov_b32 s63, 0x7f800000
	v_and_b32_e32 v11, 0x7f800000, v10
	v_cmp_ne_u32_e32 vcc, s63, v11
                                        ; implicit-def: $vgpr22
	s_and_saveexec_b64 s[70:71], vcc
	s_xor_b64 s[70:71], exec, s[70:71]
; %bb.365:
	v_bfe_u32 v11, v10, 16, 1
	s_movk_i32 s63, 0x7fff
	v_add3_u32 v22, v10, v11, s63
                                        ; implicit-def: $vgpr10_vgpr11
; %bb.366:
	s_andn2_saveexec_b64 s[70:71], s[70:71]
; %bb.367:
	v_mov_b32_e32 v11, 0
	v_or_b32_e32 v22, 0x10000, v10
	v_cmp_eq_u32_sdwa vcc, v10, v11 src0_sel:WORD_0 src1_sel:DWORD
	s_nop 1
	v_cndmask_b32_e32 v22, v22, v10, vcc
; %bb.368:
	s_or_b64 exec, exec, s[70:71]
	v_lshrrev_b32_e32 v10, 16, v22
.LBB52_369:
	s_or_b64 exec, exec, s[68:69]
	v_and_b32_e32 v11, 1, v27
	v_mov_b32_e32 v22, 1
	s_waitcnt lgkmcnt(0)
	v_and_b32_sdwa v21, v21, v22 dst_sel:DWORD dst_unused:UNUSED_PAD src0_sel:WORD_1 src1_sel:DWORD
	v_cmp_eq_u32_e32 vcc, 1, v11
	s_nop 1
	v_cndmask_b32_e64 v27, v21, 1, vcc
	v_lshlrev_b32_e32 v11, 16, v27
	v_or_b32_sdwa v26, v11, v10 dst_sel:DWORD dst_unused:UNUSED_PAD src0_sel:DWORD src1_sel:WORD_0
	v_mov_b32_e32 v11, v27
.LBB52_370:
	s_or_b64 exec, exec, s[66:67]
	v_cmp_gt_u32_e32 vcc, 56, v6
	v_add_u32_e32 v22, 8, v16
	s_waitcnt lgkmcnt(0)
	v_cndmask_b32_e64 v21, 0, 1, vcc
	v_lshlrev_b32_e32 v21, 3, v21
	v_add_lshl_u32 v21, v21, v16, 2
	ds_bpermute_b32 v23, v21, v26
	v_cmp_le_u32_e32 vcc, v22, v3
	s_and_saveexec_b64 s[66:67], vcc
	s_cbranch_execz .LBB52_378
; %bb.371:
	v_cmp_eq_u16_e32 vcc, 0, v27
	s_and_saveexec_b64 s[68:69], vcc
	s_cbranch_execz .LBB52_377
; %bb.372:
	s_waitcnt lgkmcnt(0)
	v_lshlrev_b32_e32 v24, 16, v23
	v_lshlrev_b32_e32 v10, 16, v10
	v_pk_add_f32 v[10:11], v[24:25], v[10:11] op_sel_hi:[0,1]
	s_mov_b32 s63, 0x7f800000
	v_and_b32_e32 v11, 0x7f800000, v10
	v_cmp_ne_u32_e32 vcc, s63, v11
                                        ; implicit-def: $vgpr24
	s_and_saveexec_b64 s[70:71], vcc
	s_xor_b64 s[70:71], exec, s[70:71]
; %bb.373:
	v_bfe_u32 v11, v10, 16, 1
	s_movk_i32 s63, 0x7fff
	v_add3_u32 v24, v10, v11, s63
                                        ; implicit-def: $vgpr10_vgpr11
; %bb.374:
	s_andn2_saveexec_b64 s[70:71], s[70:71]
; %bb.375:
	v_mov_b32_e32 v11, 0
	v_or_b32_e32 v24, 0x10000, v10
	v_cmp_eq_u32_sdwa vcc, v10, v11 src0_sel:WORD_0 src1_sel:DWORD
	s_nop 1
	v_cndmask_b32_e32 v24, v24, v10, vcc
; %bb.376:
	s_or_b64 exec, exec, s[70:71]
	v_lshrrev_b32_e32 v10, 16, v24
.LBB52_377:
	s_or_b64 exec, exec, s[68:69]
	v_and_b32_e32 v11, 1, v27
	v_mov_b32_e32 v24, 1
	s_waitcnt lgkmcnt(0)
	v_and_b32_sdwa v23, v23, v24 dst_sel:DWORD dst_unused:UNUSED_PAD src0_sel:WORD_1 src1_sel:DWORD
	v_cmp_eq_u32_e32 vcc, 1, v11
	s_nop 1
	v_cndmask_b32_e64 v27, v23, 1, vcc
	v_lshlrev_b32_e32 v11, 16, v27
	v_or_b32_sdwa v26, v11, v10 dst_sel:DWORD dst_unused:UNUSED_PAD src0_sel:DWORD src1_sel:WORD_0
	v_mov_b32_e32 v11, v27
.LBB52_378:
	s_or_b64 exec, exec, s[66:67]
	v_cmp_gt_u32_e32 vcc, 48, v6
	v_add_u32_e32 v24, 16, v16
	s_waitcnt lgkmcnt(0)
	v_cndmask_b32_e64 v23, 0, 1, vcc
	v_lshlrev_b32_e32 v23, 4, v23
	v_add_lshl_u32 v23, v23, v16, 2
	ds_bpermute_b32 v25, v23, v26
	v_cmp_le_u32_e32 vcc, v24, v3
	s_and_saveexec_b64 s[66:67], vcc
	s_cbranch_execz .LBB52_386
; %bb.379:
	v_cmp_eq_u16_e32 vcc, 0, v27
	s_and_saveexec_b64 s[68:69], vcc
	s_cbranch_execz .LBB52_385
; %bb.380:
	s_waitcnt lgkmcnt(0)
	v_lshlrev_b32_e32 v26, 16, v25
	v_lshlrev_b32_e32 v10, 16, v10
	v_pk_add_f32 v[10:11], v[26:27], v[10:11] op_sel_hi:[0,1]
	s_mov_b32 s63, 0x7f800000
	v_and_b32_e32 v11, 0x7f800000, v10
	v_cmp_ne_u32_e32 vcc, s63, v11
                                        ; implicit-def: $vgpr26
	s_and_saveexec_b64 s[70:71], vcc
	s_xor_b64 s[70:71], exec, s[70:71]
; %bb.381:
	v_bfe_u32 v11, v10, 16, 1
	s_movk_i32 s63, 0x7fff
	v_add3_u32 v26, v10, v11, s63
                                        ; implicit-def: $vgpr10_vgpr11
; %bb.382:
	s_andn2_saveexec_b64 s[70:71], s[70:71]
; %bb.383:
	v_mov_b32_e32 v11, 0
	v_or_b32_e32 v26, 0x10000, v10
	v_cmp_eq_u32_sdwa vcc, v10, v11 src0_sel:WORD_0 src1_sel:DWORD
	s_nop 1
	v_cndmask_b32_e32 v26, v26, v10, vcc
; %bb.384:
	s_or_b64 exec, exec, s[70:71]
	v_lshrrev_b32_e32 v10, 16, v26
.LBB52_385:
	s_or_b64 exec, exec, s[68:69]
	v_and_b32_e32 v11, 1, v27
	v_mov_b32_e32 v26, 1
	s_waitcnt lgkmcnt(0)
	v_and_b32_sdwa v25, v25, v26 dst_sel:DWORD dst_unused:UNUSED_PAD src0_sel:WORD_1 src1_sel:DWORD
	v_cmp_eq_u32_e32 vcc, 1, v11
	s_nop 1
	v_cndmask_b32_e64 v27, v25, 1, vcc
	v_lshlrev_b32_e32 v11, 16, v27
	v_or_b32_sdwa v26, v11, v10 dst_sel:DWORD dst_unused:UNUSED_PAD src0_sel:DWORD src1_sel:WORD_0
	v_mov_b32_e32 v11, v27
.LBB52_386:
	s_or_b64 exec, exec, s[66:67]
	v_cmp_gt_u32_e32 vcc, 32, v6
	s_nop 1
	v_cndmask_b32_e64 v6, 0, 1, vcc
	v_lshlrev_b32_e32 v6, 5, v6
	s_waitcnt lgkmcnt(0)
	v_add_lshl_u32 v25, v6, v16, 2
	ds_bpermute_b32 v6, v25, v26
	v_add_u32_e32 v26, 32, v16
	v_cmp_le_u32_e32 vcc, v26, v3
	s_and_saveexec_b64 s[66:67], vcc
	s_cbranch_execz .LBB52_394
; %bb.387:
	v_cmp_eq_u16_e32 vcc, 0, v27
	s_and_saveexec_b64 s[68:69], vcc
	s_cbranch_execz .LBB52_393
; %bb.388:
	s_waitcnt lgkmcnt(0)
	v_lshlrev_b32_e32 v16, 16, v6
	v_lshlrev_b32_e32 v10, 16, v10
	v_pk_add_f32 v[10:11], v[16:17], v[10:11] op_sel_hi:[0,1]
	s_mov_b32 s63, 0x7f800000
	v_and_b32_e32 v3, 0x7f800000, v10
	v_cmp_ne_u32_e32 vcc, s63, v3
                                        ; implicit-def: $vgpr3
	s_and_saveexec_b64 s[70:71], vcc
	s_xor_b64 s[70:71], exec, s[70:71]
; %bb.389:
	v_bfe_u32 v3, v10, 16, 1
	s_movk_i32 s63, 0x7fff
	v_add3_u32 v3, v10, v3, s63
                                        ; implicit-def: $vgpr10_vgpr11
; %bb.390:
	s_andn2_saveexec_b64 s[70:71], s[70:71]
; %bb.391:
	v_mov_b32_e32 v3, 0
	v_or_b32_e32 v11, 0x10000, v10
	v_cmp_eq_u32_sdwa vcc, v10, v3 src0_sel:WORD_0 src1_sel:DWORD
	s_nop 1
	v_cndmask_b32_e32 v3, v11, v10, vcc
; %bb.392:
	s_or_b64 exec, exec, s[70:71]
	v_lshrrev_b32_e32 v10, 16, v3
.LBB52_393:
	s_or_b64 exec, exec, s[68:69]
	v_and_b32_e32 v3, 1, v27
	v_mov_b32_e32 v11, 1
	s_waitcnt lgkmcnt(0)
	v_and_b32_sdwa v6, v6, v11 dst_sel:DWORD dst_unused:UNUSED_PAD src0_sel:WORD_1 src1_sel:DWORD
	v_cmp_eq_u32_e32 vcc, 1, v3
	s_nop 1
	v_cndmask_b32_e64 v11, v6, 1, vcc
.LBB52_394:
	s_or_b64 exec, exec, s[66:67]
	v_mov_b32_e32 v3, 0
	s_mov_b32 s63, 0x7f800000
	s_movk_i32 s72, 0x7fff
	v_mov_b32_e32 v28, 2
	v_mov_b32_e32 v29, 1
	s_branch .LBB52_396
.LBB52_395:                             ;   in Loop: Header=BB52_396 Depth=1
                                        ; implicit-def: $vgpr11
                                        ; implicit-def: $vgpr10
                                        ; implicit-def: $vgpr7
	s_cbranch_execnz .LBB52_456
.LBB52_396:                             ; =>This Loop Header: Depth=1
                                        ;     Child Loop BB52_399 Depth 2
	v_cmp_ne_u16_sdwa s[66:67], v7, v28 src0_sel:BYTE_0 src1_sel:DWORD
	v_mov_b32_e32 v16, v11
	v_mov_b32_e32 v27, v10
	s_waitcnt lgkmcnt(0)
	v_cndmask_b32_e64 v6, 0, 1, s[66:67]
	;;#ASMSTART
	;;#ASMEND
	s_nop 0
	v_cmp_ne_u32_e32 vcc, 0, v6
	s_cmp_lg_u64 vcc, exec
	s_cbranch_scc1 .LBB52_395
; %bb.397:                              ;   in Loop: Header=BB52_396 Depth=1
	v_lshl_add_u64 v[10:11], v[2:3], 3, s[60:61]
	global_load_dwordx2 v[6:7], v[10:11], off sc1
	s_waitcnt vmcnt(0)
	v_cmp_eq_u16_sdwa s[68:69], v7, v3 src0_sel:BYTE_0 src1_sel:DWORD
	s_and_saveexec_b64 s[66:67], s[68:69]
	s_cbranch_execz .LBB52_401
; %bb.398:                              ;   in Loop: Header=BB52_396 Depth=1
	s_mov_b64 s[68:69], 0
.LBB52_399:                             ;   Parent Loop BB52_396 Depth=1
                                        ; =>  This Inner Loop Header: Depth=2
	global_load_dwordx2 v[6:7], v[10:11], off sc1
	s_waitcnt vmcnt(0)
	v_cmp_ne_u16_sdwa s[70:71], v7, v3 src0_sel:BYTE_0 src1_sel:DWORD
	s_or_b64 s[68:69], s[70:71], s[68:69]
	s_andn2_b64 exec, exec, s[68:69]
	s_cbranch_execnz .LBB52_399
; %bb.400:                              ;   in Loop: Header=BB52_396 Depth=1
	s_or_b64 exec, exec, s[68:69]
.LBB52_401:                             ;   in Loop: Header=BB52_396 Depth=1
	s_or_b64 exec, exec, s[66:67]
	v_cmp_eq_u16_sdwa s[66:67], v7, v28 src0_sel:BYTE_0 src1_sel:DWORD
	v_lshrrev_b32_e32 v54, 16, v6
	v_bfe_u32 v53, v6, 16, 8
	v_and_b32_e32 v10, s67, v9
	v_or_b32_e32 v10, 0x80000000, v10
	v_ffbl_b32_e32 v10, v10
	v_add_u32_e32 v52, 32, v10
	v_and_b32_e32 v10, 0xffffff, v6
	ds_bpermute_b32 v55, v12, v10
	v_and_b32_e32 v11, s66, v8
	v_ffbl_b32_e32 v11, v11
	v_min_u32_e32 v52, v11, v52
	v_cmp_le_u32_e32 vcc, v13, v52
	s_and_saveexec_b64 s[66:67], vcc
	s_cbranch_execz .LBB52_409
; %bb.402:                              ;   in Loop: Header=BB52_396 Depth=1
	v_and_b32_e32 v53, 0xff0000, v6
	v_cmp_eq_u32_e32 vcc, 0, v53
	s_and_saveexec_b64 s[68:69], vcc
	s_cbranch_execz .LBB52_408
; %bb.403:                              ;   in Loop: Header=BB52_396 Depth=1
	s_waitcnt lgkmcnt(0)
	v_lshlrev_b32_e32 v10, 16, v55
	v_lshlrev_b32_e32 v6, 16, v6
	v_pk_add_f32 v[10:11], v[10:11], v[6:7] op_sel_hi:[0,1]
	v_and_b32_e32 v6, 0x7f800000, v10
	v_cmp_ne_u32_e32 vcc, s63, v6
                                        ; implicit-def: $vgpr6
	s_and_saveexec_b64 s[70:71], vcc
	s_xor_b64 s[70:71], exec, s[70:71]
; %bb.404:                              ;   in Loop: Header=BB52_396 Depth=1
	v_bfe_u32 v6, v10, 16, 1
	v_add3_u32 v6, v10, v6, s72
                                        ; implicit-def: $vgpr10_vgpr11
; %bb.405:                              ;   in Loop: Header=BB52_396 Depth=1
	s_andn2_saveexec_b64 s[70:71], s[70:71]
; %bb.406:                              ;   in Loop: Header=BB52_396 Depth=1
	v_or_b32_e32 v6, 0x10000, v10
	v_cmp_eq_u32_sdwa vcc, v10, v3 src0_sel:WORD_0 src1_sel:DWORD
	s_nop 1
	v_cndmask_b32_e32 v6, v6, v10, vcc
; %bb.407:                              ;   in Loop: Header=BB52_396 Depth=1
	s_or_b64 exec, exec, s[70:71]
	v_lshrrev_b32_e32 v6, 16, v6
.LBB52_408:                             ;   in Loop: Header=BB52_396 Depth=1
	s_or_b64 exec, exec, s[68:69]
	v_and_b32_e32 v10, 0x10000, v53
	s_waitcnt lgkmcnt(0)
	v_and_b32_sdwa v11, v55, v29 dst_sel:DWORD dst_unused:UNUSED_PAD src0_sel:WORD_1 src1_sel:DWORD
	v_cmp_ne_u32_e32 vcc, 0, v10
	s_nop 1
	v_cndmask_b32_e64 v53, v11, 1, vcc
	v_lshlrev_b32_e32 v10, 16, v53
	v_or_b32_sdwa v10, v10, v6 dst_sel:DWORD dst_unused:UNUSED_PAD src0_sel:DWORD src1_sel:WORD_0
	v_mov_b32_e32 v54, v53
.LBB52_409:                             ;   in Loop: Header=BB52_396 Depth=1
	s_or_b64 exec, exec, s[66:67]
	s_waitcnt lgkmcnt(0)
	ds_bpermute_b32 v55, v17, v10
	v_cmp_le_u32_e32 vcc, v18, v52
	s_and_saveexec_b64 s[66:67], vcc
	s_cbranch_execz .LBB52_417
; %bb.410:                              ;   in Loop: Header=BB52_396 Depth=1
	v_cmp_eq_u16_e32 vcc, 0, v53
	s_and_saveexec_b64 s[68:69], vcc
	s_cbranch_execz .LBB52_416
; %bb.411:                              ;   in Loop: Header=BB52_396 Depth=1
	s_waitcnt lgkmcnt(0)
	v_lshlrev_b32_e32 v10, 16, v55
	v_lshlrev_b32_e32 v6, 16, v6
	v_pk_add_f32 v[10:11], v[10:11], v[6:7] op_sel_hi:[0,1]
	v_and_b32_e32 v6, 0x7f800000, v10
	v_cmp_ne_u32_e32 vcc, s63, v6
                                        ; implicit-def: $vgpr6
	s_and_saveexec_b64 s[70:71], vcc
	s_xor_b64 s[70:71], exec, s[70:71]
; %bb.412:                              ;   in Loop: Header=BB52_396 Depth=1
	v_bfe_u32 v6, v10, 16, 1
	v_add3_u32 v6, v10, v6, s72
                                        ; implicit-def: $vgpr10_vgpr11
; %bb.413:                              ;   in Loop: Header=BB52_396 Depth=1
	s_andn2_saveexec_b64 s[70:71], s[70:71]
; %bb.414:                              ;   in Loop: Header=BB52_396 Depth=1
	v_or_b32_e32 v6, 0x10000, v10
	v_cmp_eq_u32_sdwa vcc, v10, v3 src0_sel:WORD_0 src1_sel:DWORD
	s_nop 1
	v_cndmask_b32_e32 v6, v6, v10, vcc
; %bb.415:                              ;   in Loop: Header=BB52_396 Depth=1
	s_or_b64 exec, exec, s[70:71]
	v_lshrrev_b32_e32 v6, 16, v6
.LBB52_416:                             ;   in Loop: Header=BB52_396 Depth=1
	s_or_b64 exec, exec, s[68:69]
	v_and_b32_e32 v10, 1, v53
	s_waitcnt lgkmcnt(0)
	v_and_b32_sdwa v11, v55, v29 dst_sel:DWORD dst_unused:UNUSED_PAD src0_sel:WORD_1 src1_sel:DWORD
	v_cmp_eq_u32_e32 vcc, 1, v10
	s_nop 1
	v_cndmask_b32_e64 v53, v11, 1, vcc
	v_lshlrev_b32_e32 v10, 16, v53
	v_or_b32_sdwa v10, v10, v6 dst_sel:DWORD dst_unused:UNUSED_PAD src0_sel:DWORD src1_sel:WORD_0
	v_mov_b32_e32 v54, v53
.LBB52_417:                             ;   in Loop: Header=BB52_396 Depth=1
	s_or_b64 exec, exec, s[66:67]
	s_waitcnt lgkmcnt(0)
	ds_bpermute_b32 v55, v19, v10
	v_cmp_le_u32_e32 vcc, v20, v52
	s_and_saveexec_b64 s[66:67], vcc
	s_cbranch_execz .LBB52_425
; %bb.418:                              ;   in Loop: Header=BB52_396 Depth=1
	v_cmp_eq_u16_e32 vcc, 0, v53
	s_and_saveexec_b64 s[68:69], vcc
	s_cbranch_execz .LBB52_424
; %bb.419:                              ;   in Loop: Header=BB52_396 Depth=1
	s_waitcnt lgkmcnt(0)
	v_lshlrev_b32_e32 v10, 16, v55
	v_lshlrev_b32_e32 v6, 16, v6
	v_pk_add_f32 v[10:11], v[10:11], v[6:7] op_sel_hi:[0,1]
	v_and_b32_e32 v6, 0x7f800000, v10
	v_cmp_ne_u32_e32 vcc, s63, v6
                                        ; implicit-def: $vgpr6
	s_and_saveexec_b64 s[70:71], vcc
	s_xor_b64 s[70:71], exec, s[70:71]
; %bb.420:                              ;   in Loop: Header=BB52_396 Depth=1
	v_bfe_u32 v6, v10, 16, 1
	v_add3_u32 v6, v10, v6, s72
                                        ; implicit-def: $vgpr10_vgpr11
; %bb.421:                              ;   in Loop: Header=BB52_396 Depth=1
	s_andn2_saveexec_b64 s[70:71], s[70:71]
; %bb.422:                              ;   in Loop: Header=BB52_396 Depth=1
	v_or_b32_e32 v6, 0x10000, v10
	v_cmp_eq_u32_sdwa vcc, v10, v3 src0_sel:WORD_0 src1_sel:DWORD
	s_nop 1
	v_cndmask_b32_e32 v6, v6, v10, vcc
; %bb.423:                              ;   in Loop: Header=BB52_396 Depth=1
	s_or_b64 exec, exec, s[70:71]
	v_lshrrev_b32_e32 v6, 16, v6
.LBB52_424:                             ;   in Loop: Header=BB52_396 Depth=1
	s_or_b64 exec, exec, s[68:69]
	v_and_b32_e32 v10, 1, v53
	s_waitcnt lgkmcnt(0)
	v_and_b32_sdwa v11, v55, v29 dst_sel:DWORD dst_unused:UNUSED_PAD src0_sel:WORD_1 src1_sel:DWORD
	v_cmp_eq_u32_e32 vcc, 1, v10
	s_nop 1
	v_cndmask_b32_e64 v53, v11, 1, vcc
	v_lshlrev_b32_e32 v10, 16, v53
	v_or_b32_sdwa v10, v10, v6 dst_sel:DWORD dst_unused:UNUSED_PAD src0_sel:DWORD src1_sel:WORD_0
	v_mov_b32_e32 v54, v53
.LBB52_425:                             ;   in Loop: Header=BB52_396 Depth=1
	;; [unrolled: 46-line block ×4, first 2 shown]
	s_or_b64 exec, exec, s[66:67]
	s_waitcnt lgkmcnt(0)
	ds_bpermute_b32 v55, v25, v10
	v_cmp_le_u32_e32 vcc, v26, v52
	s_and_saveexec_b64 s[66:67], vcc
	s_cbranch_execz .LBB52_449
; %bb.442:                              ;   in Loop: Header=BB52_396 Depth=1
	v_cmp_eq_u16_e32 vcc, 0, v53
	s_and_saveexec_b64 s[68:69], vcc
	s_cbranch_execz .LBB52_448
; %bb.443:                              ;   in Loop: Header=BB52_396 Depth=1
	s_waitcnt lgkmcnt(0)
	v_lshlrev_b32_e32 v10, 16, v55
	v_lshlrev_b32_e32 v6, 16, v6
	v_pk_add_f32 v[10:11], v[10:11], v[6:7] op_sel_hi:[0,1]
	v_and_b32_e32 v6, 0x7f800000, v10
	v_cmp_ne_u32_e32 vcc, s63, v6
                                        ; implicit-def: $vgpr6
	s_and_saveexec_b64 s[70:71], vcc
	s_xor_b64 s[70:71], exec, s[70:71]
; %bb.444:                              ;   in Loop: Header=BB52_396 Depth=1
	v_bfe_u32 v6, v10, 16, 1
	v_add3_u32 v6, v10, v6, s72
                                        ; implicit-def: $vgpr10_vgpr11
; %bb.445:                              ;   in Loop: Header=BB52_396 Depth=1
	s_andn2_saveexec_b64 s[70:71], s[70:71]
; %bb.446:                              ;   in Loop: Header=BB52_396 Depth=1
	v_or_b32_e32 v6, 0x10000, v10
	v_cmp_eq_u32_sdwa vcc, v10, v3 src0_sel:WORD_0 src1_sel:DWORD
	s_nop 1
	v_cndmask_b32_e32 v6, v6, v10, vcc
; %bb.447:                              ;   in Loop: Header=BB52_396 Depth=1
	s_or_b64 exec, exec, s[70:71]
	v_lshrrev_b32_e32 v6, 16, v6
.LBB52_448:                             ;   in Loop: Header=BB52_396 Depth=1
	s_or_b64 exec, exec, s[68:69]
	v_and_b32_e32 v10, 1, v53
	s_waitcnt lgkmcnt(0)
	v_lshrrev_b32_e32 v11, 16, v55
	v_cmp_eq_u32_e32 vcc, 1, v10
	s_nop 1
	v_cndmask_b32_e64 v54, v11, 1, vcc
.LBB52_449:                             ;   in Loop: Header=BB52_396 Depth=1
	s_or_b64 exec, exec, s[66:67]
	v_cmp_eq_u16_sdwa s[68:69], v16, v3 src0_sel:BYTE_0 src1_sel:DWORD
	v_mov_b32_e32 v10, v27
	s_and_saveexec_b64 s[66:67], s[68:69]
	s_cbranch_execz .LBB52_455
; %bb.450:                              ;   in Loop: Header=BB52_396 Depth=1
	v_lshlrev_b32_e32 v6, 16, v6
	v_lshlrev_b32_e32 v10, 16, v27
	v_pk_add_f32 v[10:11], v[6:7], v[10:11] op_sel_hi:[0,1]
	v_and_b32_e32 v6, 0x7f800000, v10
	v_cmp_ne_u32_e32 vcc, s63, v6
                                        ; implicit-def: $vgpr6
	s_and_saveexec_b64 s[68:69], vcc
	s_xor_b64 s[68:69], exec, s[68:69]
; %bb.451:                              ;   in Loop: Header=BB52_396 Depth=1
	v_bfe_u32 v6, v10, 16, 1
	v_add3_u32 v6, v10, v6, s72
                                        ; implicit-def: $vgpr10_vgpr11
; %bb.452:                              ;   in Loop: Header=BB52_396 Depth=1
	s_andn2_saveexec_b64 s[68:69], s[68:69]
; %bb.453:                              ;   in Loop: Header=BB52_396 Depth=1
	v_or_b32_e32 v6, 0x10000, v10
	v_cmp_eq_u32_sdwa vcc, v10, v3 src0_sel:WORD_0 src1_sel:DWORD
	s_nop 1
	v_cndmask_b32_e32 v6, v6, v10, vcc
; %bb.454:                              ;   in Loop: Header=BB52_396 Depth=1
	s_or_b64 exec, exec, s[68:69]
	v_lshrrev_b32_e32 v10, 16, v6
.LBB52_455:                             ;   in Loop: Header=BB52_396 Depth=1
	s_or_b64 exec, exec, s[66:67]
	v_and_b32_e32 v6, 1, v16
	v_and_b32_e32 v11, 1, v54
	v_cmp_eq_u32_e32 vcc, 1, v6
	v_subrev_u32_e32 v2, 64, v2
	s_nop 0
	v_cndmask_b32_e64 v11, v11, 1, vcc
	s_branch .LBB52_396
.LBB52_456:
	s_and_saveexec_b64 s[66:67], s[52:53]
	s_cbranch_execz .LBB52_464
; %bb.457:
	s_and_b32 s63, s3, 0xff0000
	s_cmp_lg_u32 s63, 0
	v_mov_b32_e32 v2, s3
	s_cbranch_scc1 .LBB52_463
; %bb.458:
	s_lshl_b32 s68, s3, 16
	v_lshlrev_b32_e32 v2, 16, v27
	v_pk_add_f32 v[2:3], v[2:3], s[68:69] op_sel_hi:[0,1]
	s_mov_b32 s63, 0x7f800000
	v_and_b32_e32 v3, 0x7f800000, v2
	v_cmp_ne_u32_e32 vcc, s63, v3
                                        ; implicit-def: $vgpr6
	s_and_saveexec_b64 s[68:69], vcc
	s_xor_b64 s[68:69], exec, s[68:69]
; %bb.459:
	v_bfe_u32 v3, v2, 16, 1
	s_movk_i32 s63, 0x7fff
	v_add3_u32 v6, v2, v3, s63
                                        ; implicit-def: $vgpr2_vgpr3
; %bb.460:
	s_andn2_saveexec_b64 s[68:69], s[68:69]
; %bb.461:
	v_mov_b32_e32 v3, 0
	v_or_b32_e32 v6, 0x10000, v2
	v_cmp_eq_u32_sdwa vcc, v2, v3 src0_sel:WORD_0 src1_sel:DWORD
	s_nop 1
	v_cndmask_b32_e32 v6, v6, v2, vcc
; %bb.462:
	s_or_b64 exec, exec, s[68:69]
	v_lshrrev_b32_e32 v2, 16, v6
.LBB52_463:
	s_bitcmp0_b32 s3, 16
	s_mov_b32 s3, 0
	v_mov_b32_e32 v3, 1
	s_cselect_b64 vcc, -1, 0
	s_add_i32 s2, s2, 64
	v_and_b32_sdwa v3, v16, v3 dst_sel:WORD_1 dst_unused:UNUSED_PAD src0_sel:DWORD src1_sel:DWORD
	v_mov_b32_e32 v6, 0x10000
	s_lshl_b64 s[2:3], s[2:3], 3
	v_cndmask_b32_e32 v3, v6, v3, vcc
	s_mov_b32 s63, 0xffff
	s_add_u32 s2, s60, s2
	v_and_or_b32 v2, v2, s63, v3
	s_addc_u32 s3, s61, s3
	v_mov_b32_e32 v6, 0
	v_mov_b32_e32 v3, 2
	global_store_dwordx2 v6, v[2:3], s[2:3] sc1
.LBB52_464:
	s_or_b64 exec, exec, s[66:67]
	v_cmp_eq_u32_e32 vcc, 0, v0
	s_and_b64 exec, exec, vcc
	s_cbranch_execz .LBB52_466
; %bb.465:
	v_mov_b32_e32 v2, 0
	ds_write_b16 v2, v27 offset:12
	ds_write_b8 v2, v16 offset:14
.LBB52_466:
	s_or_b64 exec, exec, s[64:65]
	v_mov_b32_e32 v2, 0
	s_waitcnt lgkmcnt(0)
	s_barrier
	ds_read2_b32 v[2:3], v2 offset0:3 offset1:4
	v_lshrrev_b32_e32 v6, 16, v51
	v_cmp_ne_u32_e32 vcc, 0, v0
	s_waitcnt lgkmcnt(0)
	v_mov_b32_e32 v3, v51
	s_and_saveexec_b64 s[2:3], vcc
	s_cbranch_execz .LBB52_474
; %bb.467:
	s_mov_b32 s63, 0x10000
	v_cmp_gt_u32_e32 vcc, s63, v51
	v_mov_b32_e32 v3, v51
	s_and_saveexec_b64 s[64:65], vcc
	s_cbranch_execz .LBB52_473
; %bb.468:
	v_cndmask_b32_e64 v3, v15, v14, s[52:53]
	v_lshlrev_b32_e32 v6, 16, v3
	v_lshlrev_b32_e32 v8, 16, v51
	v_pk_add_f32 v[6:7], v[6:7], v[8:9] op_sel_hi:[0,1]
	s_mov_b32 s63, 0x7f800000
	v_and_b32_e32 v3, 0x7f800000, v6
	v_cmp_ne_u32_e32 vcc, s63, v3
                                        ; implicit-def: $vgpr3
	s_and_saveexec_b64 s[66:67], vcc
	s_xor_b64 s[66:67], exec, s[66:67]
; %bb.469:
	v_bfe_u32 v3, v6, 16, 1
	s_movk_i32 s63, 0x7fff
	v_add3_u32 v3, v6, v3, s63
                                        ; implicit-def: $vgpr6_vgpr7
; %bb.470:
	s_andn2_saveexec_b64 s[66:67], s[66:67]
; %bb.471:
	v_mov_b32_e32 v3, 0
	v_or_b32_e32 v7, 0x10000, v6
	v_cmp_eq_u32_sdwa vcc, v6, v3 src0_sel:WORD_0 src1_sel:DWORD
	s_nop 1
	v_cndmask_b32_e32 v3, v7, v6, vcc
; %bb.472:
	s_or_b64 exec, exec, s[66:67]
	v_lshrrev_b32_e32 v3, 16, v3
.LBB52_473:
	s_or_b64 exec, exec, s[64:65]
	v_lshrrev_b32_e32 v6, 16, v15
	v_cndmask_b32_e64 v4, v6, v4, s[52:53]
	v_and_b32_e32 v6, 0x10000, v51
	v_and_b32_e32 v4, 1, v4
	v_cmp_ne_u32_e32 vcc, 0, v6
	s_nop 1
	v_cndmask_b32_e64 v6, v4, 1, vcc
.LBB52_474:
	s_or_b64 exec, exec, s[2:3]
	v_mov_b32_e32 v4, 0
	v_cmp_eq_u16_sdwa s[52:53], v6, v4 src0_sel:BYTE_0 src1_sel:DWORD
	s_and_saveexec_b64 s[2:3], s[52:53]
	s_cbranch_execz .LBB52_480
; %bb.475:
	v_lshlrev_b32_e32 v2, 16, v2
	v_lshlrev_b32_e32 v4, 16, v3
	v_pk_add_f32 v[2:3], v[4:5], v[2:3] op_sel_hi:[0,1]
	s_mov_b32 s52, 0x7f800000
	v_and_b32_e32 v3, 0x7f800000, v2
	v_cmp_ne_u32_e32 vcc, s52, v3
                                        ; implicit-def: $vgpr4
	s_and_saveexec_b64 s[52:53], vcc
	s_xor_b64 s[52:53], exec, s[52:53]
; %bb.476:
	v_bfe_u32 v3, v2, 16, 1
	s_movk_i32 s63, 0x7fff
	v_add3_u32 v4, v2, v3, s63
                                        ; implicit-def: $vgpr2_vgpr3
; %bb.477:
	s_andn2_saveexec_b64 s[52:53], s[52:53]
; %bb.478:
	v_mov_b32_e32 v3, 0
	v_or_b32_e32 v4, 0x10000, v2
	v_cmp_eq_u32_sdwa vcc, v2, v3 src0_sel:WORD_0 src1_sel:DWORD
	s_nop 1
	v_cndmask_b32_e32 v4, v4, v2, vcc
; %bb.479:
	s_or_b64 exec, exec, s[52:53]
	v_lshrrev_b32_e32 v3, 16, v4
.LBB52_480:
	s_or_b64 exec, exec, s[2:3]
	v_and_b32_e32 v6, 0xffff, v3
	v_mov_b32_e32 v2, v50
	s_and_saveexec_b64 s[2:3], s[4:5]
	s_cbranch_execz .LBB52_486
; %bb.481:
	v_lshlrev_b32_e32 v2, 16, v6
	v_lshlrev_b32_e32 v4, 16, v50
	v_pk_add_f32 v[2:3], v[2:3], v[4:5] op_sel_hi:[0,1]
	s_mov_b32 s4, 0x7f800000
	v_and_b32_e32 v3, 0x7f800000, v2
	v_cmp_ne_u32_e32 vcc, s4, v3
                                        ; implicit-def: $vgpr4
	s_and_saveexec_b64 s[4:5], vcc
	s_xor_b64 s[4:5], exec, s[4:5]
; %bb.482:
	v_bfe_u32 v3, v2, 16, 1
	s_movk_i32 s52, 0x7fff
	v_add3_u32 v4, v2, v3, s52
                                        ; implicit-def: $vgpr2_vgpr3
; %bb.483:
	s_andn2_saveexec_b64 s[4:5], s[4:5]
; %bb.484:
	v_mov_b32_e32 v3, 0
	v_or_b32_e32 v4, 0x10000, v2
	v_cmp_eq_u32_sdwa vcc, v2, v3 src0_sel:WORD_0 src1_sel:DWORD
	s_nop 1
	v_cndmask_b32_e32 v4, v4, v2, vcc
; %bb.485:
	s_or_b64 exec, exec, s[4:5]
	v_lshrrev_b32_e32 v2, 16, v4
.LBB52_486:
	s_or_b64 exec, exec, s[2:3]
	v_and_b32_e32 v7, 0xffff, v2
	v_mov_b32_e32 v2, v48
	;; [unrolled: 32-line block ×21, first 2 shown]
	s_and_saveexec_b64 s[2:3], s[48:49]
	s_cbranch_execz .LBB52_606
; %bb.601:
	v_lshlrev_b32_e32 v4, 16, v2
	v_lshlrev_b32_e32 v26, 16, v31
	v_pk_add_f32 v[26:27], v[4:5], v[26:27] op_sel_hi:[0,1]
	s_mov_b32 s4, 0x7f800000
	v_and_b32_e32 v3, 0x7f800000, v26
	v_cmp_ne_u32_e32 vcc, s4, v3
                                        ; implicit-def: $vgpr3
	s_and_saveexec_b64 s[4:5], vcc
	s_xor_b64 s[4:5], exec, s[4:5]
; %bb.602:
	v_bfe_u32 v3, v26, 16, 1
	s_movk_i32 s6, 0x7fff
	v_add3_u32 v3, v26, v3, s6
                                        ; implicit-def: $vgpr26_vgpr27
; %bb.603:
	s_andn2_saveexec_b64 s[4:5], s[4:5]
; %bb.604:
	v_mov_b32_e32 v3, 0
	v_or_b32_e32 v4, 0x10000, v26
	v_cmp_eq_u32_sdwa vcc, v26, v3 src0_sel:WORD_0 src1_sel:DWORD
	s_nop 1
	v_cndmask_b32_e32 v3, v4, v26, vcc
; %bb.605:
	s_or_b64 exec, exec, s[4:5]
	v_lshrrev_b32_e32 v3, 16, v3
.LBB52_606:
	s_or_b64 exec, exec, s[2:3]
	v_and_b32_e32 v3, 0xffff, v3
	v_mov_b32_e32 v4, v1
	s_and_saveexec_b64 s[2:3], s[50:51]
	s_cbranch_execz .LBB52_612
; %bb.607:
	v_lshlrev_b32_e32 v4, 16, v3
	v_lshlrev_b32_e32 v26, 16, v1
	v_pk_add_f32 v[26:27], v[4:5], v[26:27] op_sel_hi:[0,1]
	s_mov_b32 s4, 0x7f800000
	v_and_b32_e32 v4, 0x7f800000, v26
	v_cmp_ne_u32_e32 vcc, s4, v4
                                        ; implicit-def: $vgpr4
	s_and_saveexec_b64 s[4:5], vcc
	s_xor_b64 s[4:5], exec, s[4:5]
; %bb.608:
	v_bfe_u32 v4, v26, 16, 1
	s_movk_i32 s6, 0x7fff
	v_add3_u32 v4, v26, v4, s6
                                        ; implicit-def: $vgpr26_vgpr27
; %bb.609:
	s_andn2_saveexec_b64 s[4:5], s[4:5]
; %bb.610:
	v_mov_b32_e32 v4, 0
	v_or_b32_e32 v27, 0x10000, v26
	v_cmp_eq_u32_sdwa vcc, v26, v4 src0_sel:WORD_0 src1_sel:DWORD
	s_nop 1
	v_cndmask_b32_e32 v4, v27, v26, vcc
; %bb.611:
	s_or_b64 exec, exec, s[4:5]
	v_lshrrev_b32_e32 v4, 16, v4
.LBB52_612:
	s_or_b64 exec, exec, s[2:3]
	v_and_b32_e32 v4, 0xffff, v4
	v_mov_b64_e32 v[28:29], v[4:5]
	v_mov_b64_e32 v[26:27], v[2:3]
	s_and_saveexec_b64 s[2:3], s[44:45]
	s_cbranch_execz .LBB52_618
; %bb.613:
	v_lshlrev_b32_e32 v26, 16, v4
	v_lshlrev_b32_e32 v28, 16, v5
	v_pk_add_f32 v[26:27], v[26:27], v[28:29] op_sel_hi:[0,1]
	s_mov_b32 s4, 0x7f800000
	v_and_b32_e32 v27, 0x7f800000, v26
	v_cmp_ne_u32_e32 vcc, s4, v27
                                        ; implicit-def: $vgpr28
	s_and_saveexec_b64 s[4:5], vcc
	s_xor_b64 s[4:5], exec, s[4:5]
; %bb.614:
	v_bfe_u32 v27, v26, 16, 1
	s_movk_i32 s6, 0x7fff
	v_add3_u32 v28, v26, v27, s6
                                        ; implicit-def: $vgpr26_vgpr27
; %bb.615:
	s_andn2_saveexec_b64 s[4:5], s[4:5]
; %bb.616:
	v_mov_b32_e32 v27, 0
	v_or_b32_e32 v28, 0x10000, v26
	v_cmp_eq_u32_sdwa vcc, v26, v27 src0_sel:WORD_0 src1_sel:DWORD
	s_nop 1
	v_cndmask_b32_e32 v28, v28, v26, vcc
; %bb.617:
	s_or_b64 exec, exec, s[4:5]
	v_lshrrev_b32_e32 v52, 16, v28
	v_mov_b64_e32 v[28:29], v[4:5]
	v_mov_b64_e32 v[26:27], v[2:3]
	v_mov_b32_e32 v29, v52
.LBB52_618:
	s_or_b64 exec, exec, s[2:3]
	s_branch .LBB52_935
.LBB52_619:
	s_or_b64 exec, exec, s[66:67]
                                        ; implicit-def: $vgpr30
	s_and_saveexec_b64 s[4:5], s[6:7]
	s_cbranch_execz .LBB52_53
.LBB52_620:
	global_load_ushort v30, v[28:29], off offset:512
	s_or_b64 exec, exec, s[4:5]
                                        ; implicit-def: $vgpr31
	s_and_saveexec_b64 s[4:5], s[8:9]
	s_cbranch_execnz .LBB52_54
.LBB52_621:
	s_or_b64 exec, exec, s[4:5]
                                        ; implicit-def: $vgpr32
	s_and_saveexec_b64 s[4:5], s[10:11]
	s_cbranch_execz .LBB52_55
.LBB52_622:
	global_load_ushort v32, v[28:29], off offset:1536
	s_or_b64 exec, exec, s[4:5]
                                        ; implicit-def: $vgpr33
	s_and_saveexec_b64 s[4:5], s[12:13]
	s_cbranch_execnz .LBB52_56
.LBB52_623:
	s_or_b64 exec, exec, s[4:5]
                                        ; implicit-def: $vgpr34
	s_and_saveexec_b64 s[4:5], s[14:15]
	s_cbranch_execz .LBB52_57
.LBB52_624:
	global_load_ushort v34, v[28:29], off offset:2560
	s_or_b64 exec, exec, s[4:5]
                                        ; implicit-def: $vgpr35
	s_and_saveexec_b64 s[4:5], s[16:17]
	s_cbranch_execnz .LBB52_58
.LBB52_625:
	s_or_b64 exec, exec, s[4:5]
                                        ; implicit-def: $vgpr36
	s_and_saveexec_b64 s[4:5], s[18:19]
	s_cbranch_execz .LBB52_59
.LBB52_626:
	global_load_ushort v36, v[28:29], off offset:3584
	s_or_b64 exec, exec, s[4:5]
                                        ; implicit-def: $vgpr37
	s_and_saveexec_b64 s[4:5], s[20:21]
	s_cbranch_execnz .LBB52_60
.LBB52_627:
	s_or_b64 exec, exec, s[4:5]
                                        ; implicit-def: $vgpr38
	s_and_saveexec_b64 s[4:5], s[22:23]
	s_cbranch_execz .LBB52_61
.LBB52_628:
	v_add_co_u32_e32 v38, vcc, 0x1000, v28
	s_nop 1
	v_addc_co_u32_e32 v39, vcc, 0, v29, vcc
	global_load_ushort v38, v[38:39], off offset:512
	s_or_b64 exec, exec, s[4:5]
                                        ; implicit-def: $vgpr39
	s_and_saveexec_b64 s[4:5], s[24:25]
	s_cbranch_execnz .LBB52_62
.LBB52_629:
	s_or_b64 exec, exec, s[4:5]
                                        ; implicit-def: $vgpr40
	s_and_saveexec_b64 s[4:5], s[26:27]
	s_cbranch_execz .LBB52_63
.LBB52_630:
	v_add_co_u32_e32 v40, vcc, 0x1000, v28
	s_nop 1
	v_addc_co_u32_e32 v41, vcc, 0, v29, vcc
	global_load_ushort v40, v[40:41], off offset:1536
	s_or_b64 exec, exec, s[4:5]
                                        ; implicit-def: $vgpr41
	s_and_saveexec_b64 s[4:5], s[28:29]
	s_cbranch_execnz .LBB52_64
.LBB52_631:
	s_or_b64 exec, exec, s[4:5]
                                        ; implicit-def: $vgpr42
	s_and_saveexec_b64 s[4:5], s[30:31]
	s_cbranch_execz .LBB52_65
.LBB52_632:
	v_add_co_u32_e32 v42, vcc, 0x1000, v28
	s_nop 1
	v_addc_co_u32_e32 v43, vcc, 0, v29, vcc
	global_load_ushort v42, v[42:43], off offset:2560
	s_or_b64 exec, exec, s[4:5]
                                        ; implicit-def: $vgpr43
	s_and_saveexec_b64 s[4:5], s[34:35]
	s_cbranch_execnz .LBB52_66
.LBB52_633:
	s_or_b64 exec, exec, s[4:5]
                                        ; implicit-def: $vgpr44
	s_and_saveexec_b64 s[4:5], s[36:37]
	s_cbranch_execz .LBB52_67
.LBB52_634:
	v_add_co_u32_e32 v44, vcc, 0x1000, v28
	s_nop 1
	v_addc_co_u32_e32 v45, vcc, 0, v29, vcc
	global_load_ushort v44, v[44:45], off offset:3584
	s_or_b64 exec, exec, s[4:5]
                                        ; implicit-def: $vgpr45
	s_and_saveexec_b64 s[4:5], s[38:39]
	s_cbranch_execnz .LBB52_68
.LBB52_635:
	s_or_b64 exec, exec, s[4:5]
                                        ; implicit-def: $vgpr46
	s_and_saveexec_b64 s[4:5], s[40:41]
	s_cbranch_execz .LBB52_69
.LBB52_636:
	v_add_co_u32_e32 v46, vcc, 0x2000, v28
	s_nop 1
	v_addc_co_u32_e32 v47, vcc, 0, v29, vcc
	global_load_ushort v46, v[46:47], off offset:512
	s_or_b64 exec, exec, s[4:5]
                                        ; implicit-def: $vgpr47
	s_and_saveexec_b64 s[4:5], s[42:43]
	s_cbranch_execnz .LBB52_70
.LBB52_637:
	s_or_b64 exec, exec, s[4:5]
                                        ; implicit-def: $vgpr48
	s_and_saveexec_b64 s[4:5], s[44:45]
	s_cbranch_execz .LBB52_71
.LBB52_638:
	v_add_co_u32_e32 v48, vcc, 0x2000, v28
	s_nop 1
	v_addc_co_u32_e32 v49, vcc, 0, v29, vcc
	global_load_ushort v48, v[48:49], off offset:1536
	s_or_b64 exec, exec, s[4:5]
                                        ; implicit-def: $vgpr49
	s_and_saveexec_b64 s[4:5], s[46:47]
	s_cbranch_execnz .LBB52_72
.LBB52_639:
	s_or_b64 exec, exec, s[4:5]
                                        ; implicit-def: $vgpr50
	s_and_saveexec_b64 s[4:5], s[48:49]
	s_cbranch_execz .LBB52_73
.LBB52_640:
	v_add_co_u32_e32 v50, vcc, 0x2000, v28
	s_nop 1
	v_addc_co_u32_e32 v51, vcc, 0, v29, vcc
	global_load_ushort v50, v[50:51], off offset:2560
	s_or_b64 exec, exec, s[4:5]
                                        ; implicit-def: $vgpr51
	s_and_saveexec_b64 s[4:5], s[50:51]
	s_cbranch_execz .LBB52_75
	s_branch .LBB52_74
.LBB52_641:
                                        ; implicit-def: $vgpr26_vgpr27_vgpr28_vgpr29
                                        ; implicit-def: $vgpr22_vgpr23_vgpr24_vgpr25
                                        ; implicit-def: $vgpr18_vgpr19_vgpr20_vgpr21
                                        ; implicit-def: $vgpr14_vgpr15_vgpr16_vgpr17
                                        ; implicit-def: $vgpr10_vgpr11_vgpr12_vgpr13
                                        ; implicit-def: $vgpr6_vgpr7_vgpr8_vgpr9
	s_cbranch_execz .LBB52_935
; %bb.642:
	s_cmp_lg_u64 s[54:55], 0
	s_cselect_b64 s[2:3], -1, 0
	v_cmp_eq_u32_e32 vcc, 0, v0
	v_cmp_ne_u32_e64 s[4:5], 0, v0
	s_and_b64 s[2:3], vcc, s[2:3]
	s_and_saveexec_b64 s[6:7], s[2:3]
	s_cbranch_execz .LBB52_650
; %bb.643:
	v_mov_b32_e32 v3, 0
	global_load_ubyte v4, v3, s[54:55] offset:2
	s_mov_b32 s2, 0x10000
	v_cmp_gt_u32_e64 s[2:3], s2, v51
	v_mov_b32_e32 v2, v51
	s_and_saveexec_b64 s[8:9], s[2:3]
	s_cbranch_execz .LBB52_649
; %bb.644:
	global_load_ushort v3, v3, s[54:55]
	v_lshlrev_b32_e32 v2, 16, v51
	s_mov_b32 s2, 0x7f800000
	s_waitcnt vmcnt(0)
	v_lshlrev_b32_e32 v6, 16, v3
	v_pk_add_f32 v[2:3], v[6:7], v[2:3] op_sel_hi:[0,1]
	v_and_b32_e32 v3, 0x7f800000, v2
	v_cmp_ne_u32_e64 s[2:3], s2, v3
                                        ; implicit-def: $vgpr6
	s_and_saveexec_b64 s[10:11], s[2:3]
	s_xor_b64 s[2:3], exec, s[10:11]
; %bb.645:
	v_bfe_u32 v3, v2, 16, 1
	s_movk_i32 s10, 0x7fff
	v_add3_u32 v6, v2, v3, s10
                                        ; implicit-def: $vgpr2_vgpr3
; %bb.646:
	s_andn2_saveexec_b64 s[10:11], s[2:3]
; %bb.647:
	v_mov_b32_e32 v3, 0
	v_or_b32_e32 v6, 0x10000, v2
	v_cmp_eq_u32_sdwa s[2:3], v2, v3 src0_sel:WORD_0 src1_sel:DWORD
	s_nop 1
	v_cndmask_b32_e64 v6, v6, v2, s[2:3]
; %bb.648:
	s_or_b64 exec, exec, s[10:11]
	v_lshrrev_b32_e32 v2, 16, v6
.LBB52_649:
	s_or_b64 exec, exec, s[8:9]
	v_and_b32_e32 v3, 0x10000, v51
	v_mov_b32_e32 v6, 1
	s_waitcnt vmcnt(0)
	v_and_b32_sdwa v4, v4, v6 dst_sel:WORD_1 dst_unused:UNUSED_PAD src0_sel:DWORD src1_sel:DWORD
	v_mov_b32_e32 v6, 0x10000
	v_cmp_eq_u32_e64 s[2:3], 0, v3
	s_nop 1
	v_cndmask_b32_e64 v3, v6, v4, s[2:3]
	s_mov_b32 s2, 0xffff
	v_and_or_b32 v51, v2, s2, v3
.LBB52_650:
	s_or_b64 exec, exec, s[6:7]
	s_mov_b32 s2, 0x10000
	v_cmp_gt_u32_e64 s[6:7], s2, v50
	v_lshlrev_b32_e32 v2, 16, v50
	v_mov_b32_e32 v3, v50
	s_and_saveexec_b64 s[8:9], s[6:7]
	s_cbranch_execz .LBB52_656
; %bb.651:
	v_lshlrev_b32_e32 v4, 16, v51
	v_pk_add_f32 v[6:7], v[4:5], v[2:3] op_sel_hi:[0,1]
	s_mov_b32 s2, 0x7f800000
	v_and_b32_e32 v3, 0x7f800000, v6
	v_cmp_ne_u32_e64 s[2:3], s2, v3
                                        ; implicit-def: $vgpr3
	s_and_saveexec_b64 s[10:11], s[2:3]
	s_xor_b64 s[2:3], exec, s[10:11]
; %bb.652:
	v_bfe_u32 v3, v6, 16, 1
	s_movk_i32 s10, 0x7fff
	v_add3_u32 v3, v6, v3, s10
                                        ; implicit-def: $vgpr6_vgpr7
; %bb.653:
	s_andn2_saveexec_b64 s[10:11], s[2:3]
; %bb.654:
	v_mov_b32_e32 v3, 0
	v_or_b32_e32 v4, 0x10000, v6
	v_cmp_eq_u32_sdwa s[2:3], v6, v3 src0_sel:WORD_0 src1_sel:DWORD
	s_nop 1
	v_cndmask_b32_e64 v3, v4, v6, s[2:3]
; %bb.655:
	s_or_b64 exec, exec, s[10:11]
	v_lshrrev_b32_e32 v3, 16, v3
.LBB52_656:
	s_or_b64 exec, exec, s[8:9]
	s_mov_b32 s2, 0x10000
	v_cmp_gt_u32_e64 s[8:9], s2, v48
	v_lshlrev_b32_e32 v4, 16, v48
	v_mov_b32_e32 v6, v48
	s_and_saveexec_b64 s[10:11], s[8:9]
	s_cbranch_execz .LBB52_662
; %bb.657:
	v_lshlrev_b32_e32 v6, 16, v3
	v_pk_add_f32 v[6:7], v[6:7], v[4:5] op_sel_hi:[0,1]
	s_mov_b32 s2, 0x7f800000
	v_and_b32_e32 v3, 0x7f800000, v6
	v_cmp_ne_u32_e64 s[2:3], s2, v3
                                        ; implicit-def: $vgpr3
	s_and_saveexec_b64 s[12:13], s[2:3]
	s_xor_b64 s[2:3], exec, s[12:13]
; %bb.658:
	v_bfe_u32 v3, v6, 16, 1
	s_movk_i32 s12, 0x7fff
	v_add3_u32 v3, v6, v3, s12
                                        ; implicit-def: $vgpr6_vgpr7
; %bb.659:
	s_andn2_saveexec_b64 s[12:13], s[2:3]
; %bb.660:
	v_mov_b32_e32 v3, 0
	v_or_b32_e32 v7, 0x10000, v6
	v_cmp_eq_u32_sdwa s[2:3], v6, v3 src0_sel:WORD_0 src1_sel:DWORD
	s_nop 1
	v_cndmask_b32_e64 v3, v7, v6, s[2:3]
; %bb.661:
	s_or_b64 exec, exec, s[12:13]
	v_lshrrev_b32_e32 v6, 16, v3
.LBB52_662:
	;; [unrolled: 33-line block ×23, first 2 shown]
	s_or_b64 exec, exec, s[54:55]
	v_or3_b32 v6, v1, v31, v30
	v_or3_b32 v6, v6, v33, v32
	;; [unrolled: 1-line block ×11, first 2 shown]
	v_and_b32_e32 v6, 0x10000, v6
	v_and_b32_e32 v3, 0x10000, v51
	v_mov_b32_e32 v7, 0x10000
	v_cmp_ne_u32_e64 s[2:3], 0, v6
	v_mov_b32_e32 v13, v9
	s_nop 0
	v_cndmask_b32_e64 v11, v3, v7, s[2:3]
	v_or_b32_sdwa v8, v9, v11 dst_sel:DWORD dst_unused:UNUSED_PAD src0_sel:WORD_0 src1_sel:DWORD
	v_cmp_eq_u32_e64 s[2:3], 0, v11
	s_nop 0
	v_mov_b32_dpp v15, v8 row_shr:1 row_mask:0xf bank_mask:0xf
	s_and_saveexec_b64 s[54:55], s[2:3]
	s_xor_b64 s[54:55], exec, s[54:55]
	s_cbranch_execz .LBB52_794
; %bb.789:
	v_mov_b32_e32 v3, 16
	v_lshlrev_b32_e32 v6, 16, v15
	v_lshlrev_b32_sdwa v74, v3, v9 dst_sel:DWORD dst_unused:UNUSED_PAD src0_sel:DWORD src1_sel:WORD_0
	v_pk_add_f32 v[6:7], v[6:7], v[74:75] op_sel_hi:[0,1]
	s_mov_b32 s2, 0x7f800000
	v_and_b32_e32 v3, 0x7f800000, v6
	v_cmp_ne_u32_e64 s[2:3], s2, v3
                                        ; implicit-def: $vgpr3
	s_and_saveexec_b64 s[64:65], s[2:3]
	s_xor_b64 s[2:3], exec, s[64:65]
; %bb.790:
	v_bfe_u32 v3, v6, 16, 1
	s_movk_i32 s63, 0x7fff
	v_add3_u32 v3, v6, v3, s63
                                        ; implicit-def: $vgpr6_vgpr7
; %bb.791:
	s_andn2_saveexec_b64 s[64:65], s[2:3]
; %bb.792:
	v_mov_b32_e32 v3, 0
	v_or_b32_e32 v7, 0x10000, v6
	v_cmp_eq_u32_sdwa s[2:3], v6, v3 src0_sel:WORD_0 src1_sel:DWORD
	s_nop 1
	v_cndmask_b32_e64 v3, v7, v6, s[2:3]
; %bb.793:
	s_or_b64 exec, exec, s[64:65]
	v_lshrrev_b32_e32 v13, 16, v3
.LBB52_794:
	s_or_b64 exec, exec, s[54:55]
	v_and_b32_e32 v6, 0x10000, v11
	v_mov_b32_e32 v7, 1
	v_mbcnt_lo_u32_b32 v3, -1, 0
	v_and_b32_sdwa v7, v15, v7 dst_sel:DWORD dst_unused:UNUSED_PAD src0_sel:WORD_1 src1_sel:DWORD
	v_cmp_ne_u32_e64 s[2:3], 0, v6
	v_mbcnt_hi_u32_b32 v3, -1, v3
	v_and_b32_e32 v17, 15, v3
	v_cndmask_b32_e64 v15, v7, 1, s[2:3]
	v_lshlrev_b32_e32 v6, 16, v15
	v_or_b32_sdwa v6, v6, v13 dst_sel:DWORD dst_unused:UNUSED_PAD src0_sel:DWORD src1_sel:WORD_0
	v_cmp_eq_u32_e64 s[54:55], 0, v17
	s_mov_b32 s2, 0x10000
	s_nop 0
	v_cndmask_b32_e64 v8, v6, v8, s[54:55]
	v_cmp_gt_u32_e64 s[2:3], s2, v8
	v_mov_b32_e32 v6, v8
	v_mov_b32_dpp v19, v8 row_shr:2 row_mask:0xf bank_mask:0xf
	s_and_saveexec_b64 s[64:65], s[2:3]
	s_cbranch_execz .LBB52_800
; %bb.795:
	v_lshlrev_b32_e32 v6, 16, v8
	v_lshlrev_b32_e32 v74, 16, v19
	v_pk_add_f32 v[6:7], v[6:7], v[74:75] op_sel_hi:[0,1]
	s_mov_b32 s2, 0x7f800000
	v_and_b32_e32 v7, 0x7f800000, v6
	v_cmp_ne_u32_e64 s[2:3], s2, v7
                                        ; implicit-def: $vgpr21
	s_and_saveexec_b64 s[66:67], s[2:3]
	s_xor_b64 s[2:3], exec, s[66:67]
; %bb.796:
	v_bfe_u32 v7, v6, 16, 1
	s_movk_i32 s63, 0x7fff
	v_add3_u32 v21, v6, v7, s63
                                        ; implicit-def: $vgpr6_vgpr7
; %bb.797:
	s_andn2_saveexec_b64 s[66:67], s[2:3]
; %bb.798:
	v_mov_b32_e32 v7, 0
	v_or_b32_e32 v21, 0x10000, v6
	v_cmp_eq_u32_sdwa s[2:3], v6, v7 src0_sel:WORD_0 src1_sel:DWORD
	s_nop 1
	v_cndmask_b32_e64 v21, v21, v6, s[2:3]
; %bb.799:
	s_or_b64 exec, exec, s[66:67]
	v_lshrrev_b32_e32 v6, 16, v21
.LBB52_800:
	s_or_b64 exec, exec, s[64:65]
	v_lshrrev_b32_e32 v7, 16, v11
	v_cndmask_b32_e64 v11, v13, v9, s[54:55]
	v_cndmask_b32_e64 v9, v15, v7, s[54:55]
	v_lshrrev_b32_e32 v13, 16, v8
	v_cmp_lt_u32_e64 s[2:3], 1, v17
	v_mov_b32_e32 v15, v8
	s_and_saveexec_b64 s[54:55], s[2:3]
; %bb.801:
	v_and_b32_e32 v7, 0x10000, v8
	v_mov_b32_e32 v8, 1
	v_and_b32_sdwa v8, v19, v8 dst_sel:DWORD dst_unused:UNUSED_PAD src0_sel:WORD_1 src1_sel:DWORD
	v_cmp_ne_u32_e64 s[2:3], 0, v7
	v_mov_b32_e32 v11, v6
	s_nop 0
	v_cndmask_b32_e64 v9, v8, 1, s[2:3]
	v_lshlrev_b32_e32 v7, 16, v9
	v_or_b32_sdwa v15, v7, v6 dst_sel:DWORD dst_unused:UNUSED_PAD src0_sel:DWORD src1_sel:WORD_0
	v_mov_b32_e32 v13, v9
	v_mov_b32_e32 v8, v6
; %bb.802:
	s_or_b64 exec, exec, s[54:55]
	v_mov_b32_dpp v19, v15 row_shr:4 row_mask:0xf bank_mask:0xf
	v_cmp_eq_u16_e64 s[2:3], 0, v13
	v_mov_b32_e32 v6, v8
	s_and_saveexec_b64 s[54:55], s[2:3]
	s_cbranch_execz .LBB52_808
; %bb.803:
	v_lshlrev_b32_e32 v6, 16, v19
	v_lshlrev_b32_e32 v74, 16, v8
	v_pk_add_f32 v[6:7], v[6:7], v[74:75] op_sel_hi:[0,1]
	s_mov_b32 s2, 0x7f800000
	v_and_b32_e32 v7, 0x7f800000, v6
	v_cmp_ne_u32_e64 s[2:3], s2, v7
                                        ; implicit-def: $vgpr21
	s_and_saveexec_b64 s[64:65], s[2:3]
	s_xor_b64 s[2:3], exec, s[64:65]
; %bb.804:
	v_bfe_u32 v7, v6, 16, 1
	s_movk_i32 s63, 0x7fff
	v_add3_u32 v21, v6, v7, s63
                                        ; implicit-def: $vgpr6_vgpr7
; %bb.805:
	s_andn2_saveexec_b64 s[64:65], s[2:3]
; %bb.806:
	v_mov_b32_e32 v7, 0
	v_or_b32_e32 v21, 0x10000, v6
	v_cmp_eq_u32_sdwa s[2:3], v6, v7 src0_sel:WORD_0 src1_sel:DWORD
	s_nop 1
	v_cndmask_b32_e64 v21, v21, v6, s[2:3]
; %bb.807:
	s_or_b64 exec, exec, s[64:65]
	v_lshrrev_b32_e32 v6, 16, v21
.LBB52_808:
	s_or_b64 exec, exec, s[54:55]
	v_cmp_lt_u32_e64 s[2:3], 3, v17
	s_and_saveexec_b64 s[54:55], s[2:3]
; %bb.809:
	v_and_b32_e32 v7, 1, v13
	v_mov_b32_e32 v8, 1
	v_and_b32_sdwa v8, v19, v8 dst_sel:DWORD dst_unused:UNUSED_PAD src0_sel:WORD_1 src1_sel:DWORD
	v_cmp_eq_u32_e64 s[2:3], 1, v7
	v_mov_b32_e32 v11, v6
	s_nop 0
	v_cndmask_b32_e64 v9, v8, 1, s[2:3]
	v_lshlrev_b32_e32 v7, 16, v9
	v_or_b32_sdwa v15, v7, v6 dst_sel:DWORD dst_unused:UNUSED_PAD src0_sel:DWORD src1_sel:WORD_0
	v_mov_b32_e32 v13, v9
	v_mov_b32_e32 v8, v6
; %bb.810:
	s_or_b64 exec, exec, s[54:55]
	v_mov_b32_dpp v19, v15 row_shr:8 row_mask:0xf bank_mask:0xf
	v_cmp_eq_u16_e64 s[2:3], 0, v13
	v_mov_b32_e32 v6, v8
	s_and_saveexec_b64 s[54:55], s[2:3]
	s_cbranch_execz .LBB52_816
; %bb.811:
	v_lshlrev_b32_e32 v6, 16, v19
	v_lshlrev_b32_e32 v74, 16, v8
	v_pk_add_f32 v[6:7], v[6:7], v[74:75] op_sel_hi:[0,1]
	s_mov_b32 s2, 0x7f800000
	v_and_b32_e32 v7, 0x7f800000, v6
	v_cmp_ne_u32_e64 s[2:3], s2, v7
                                        ; implicit-def: $vgpr21
	s_and_saveexec_b64 s[64:65], s[2:3]
	s_xor_b64 s[2:3], exec, s[64:65]
; %bb.812:
	v_bfe_u32 v7, v6, 16, 1
	s_movk_i32 s63, 0x7fff
	v_add3_u32 v21, v6, v7, s63
                                        ; implicit-def: $vgpr6_vgpr7
; %bb.813:
	s_andn2_saveexec_b64 s[64:65], s[2:3]
; %bb.814:
	v_mov_b32_e32 v7, 0
	v_or_b32_e32 v21, 0x10000, v6
	v_cmp_eq_u32_sdwa s[2:3], v6, v7 src0_sel:WORD_0 src1_sel:DWORD
	s_nop 1
	v_cndmask_b32_e64 v21, v21, v6, s[2:3]
; %bb.815:
	s_or_b64 exec, exec, s[64:65]
	v_lshrrev_b32_e32 v6, 16, v21
.LBB52_816:
	s_or_b64 exec, exec, s[54:55]
	v_cmp_lt_u32_e64 s[2:3], 7, v17
	s_and_saveexec_b64 s[54:55], s[2:3]
; %bb.817:
	v_and_b32_e32 v7, 1, v13
	v_mov_b32_e32 v8, 1
	v_and_b32_sdwa v8, v19, v8 dst_sel:DWORD dst_unused:UNUSED_PAD src0_sel:WORD_1 src1_sel:DWORD
	v_cmp_eq_u32_e64 s[2:3], 1, v7
	v_mov_b32_e32 v11, v6
	s_nop 0
	v_cndmask_b32_e64 v9, v8, 1, s[2:3]
	v_lshlrev_b32_e32 v7, 16, v9
	v_or_b32_sdwa v15, v7, v6 dst_sel:DWORD dst_unused:UNUSED_PAD src0_sel:DWORD src1_sel:WORD_0
	v_mov_b32_e32 v13, v9
	v_mov_b32_e32 v8, v6
; %bb.818:
	s_or_b64 exec, exec, s[54:55]
	v_mov_b32_dpp v17, v15 row_bcast:15 row_mask:0xf bank_mask:0xf
	v_cmp_eq_u16_e64 s[2:3], 0, v13
	v_mov_b32_e32 v6, v8
	s_and_saveexec_b64 s[54:55], s[2:3]
	s_cbranch_execz .LBB52_824
; %bb.819:
	v_lshlrev_b32_e32 v6, 16, v17
	v_lshlrev_b32_e32 v74, 16, v8
	v_pk_add_f32 v[6:7], v[6:7], v[74:75] op_sel_hi:[0,1]
	s_mov_b32 s2, 0x7f800000
	v_and_b32_e32 v7, 0x7f800000, v6
	v_cmp_ne_u32_e64 s[2:3], s2, v7
                                        ; implicit-def: $vgpr19
	s_and_saveexec_b64 s[64:65], s[2:3]
	s_xor_b64 s[2:3], exec, s[64:65]
; %bb.820:
	v_bfe_u32 v7, v6, 16, 1
	s_movk_i32 s63, 0x7fff
	v_add3_u32 v19, v6, v7, s63
                                        ; implicit-def: $vgpr6_vgpr7
; %bb.821:
	s_andn2_saveexec_b64 s[64:65], s[2:3]
; %bb.822:
	v_mov_b32_e32 v7, 0
	v_or_b32_e32 v19, 0x10000, v6
	v_cmp_eq_u32_sdwa s[2:3], v6, v7 src0_sel:WORD_0 src1_sel:DWORD
	s_nop 1
	v_cndmask_b32_e64 v19, v19, v6, s[2:3]
; %bb.823:
	s_or_b64 exec, exec, s[64:65]
	v_lshrrev_b32_e32 v6, 16, v19
.LBB52_824:
	s_or_b64 exec, exec, s[54:55]
	v_and_b32_e32 v7, 16, v3
	v_cmp_ne_u32_e64 s[2:3], 0, v7
	s_and_saveexec_b64 s[54:55], s[2:3]
; %bb.825:
	v_and_b32_e32 v7, 1, v13
	v_mov_b32_e32 v8, 1
	v_and_b32_sdwa v8, v17, v8 dst_sel:DWORD dst_unused:UNUSED_PAD src0_sel:WORD_1 src1_sel:DWORD
	v_cmp_eq_u32_e64 s[2:3], 1, v7
	v_mov_b32_e32 v11, v6
	s_nop 0
	v_cndmask_b32_e64 v9, v8, 1, s[2:3]
	v_lshlrev_b32_e32 v7, 16, v9
	v_or_b32_sdwa v15, v7, v6 dst_sel:DWORD dst_unused:UNUSED_PAD src0_sel:DWORD src1_sel:WORD_0
	v_mov_b32_e32 v13, v9
	v_mov_b32_e32 v8, v6
; %bb.826:
	s_or_b64 exec, exec, s[54:55]
	v_mov_b32_dpp v15, v15 row_bcast:31 row_mask:0xf bank_mask:0xf
	v_cmp_eq_u16_e64 s[2:3], 0, v13
	s_and_saveexec_b64 s[54:55], s[2:3]
	s_cbranch_execz .LBB52_832
; %bb.827:
	v_lshlrev_b32_e32 v6, 16, v15
	v_lshlrev_b32_e32 v8, 16, v8
	v_pk_add_f32 v[6:7], v[6:7], v[8:9] op_sel_hi:[0,1]
	s_mov_b32 s2, 0x7f800000
	v_and_b32_e32 v7, 0x7f800000, v6
	v_cmp_ne_u32_e64 s[2:3], s2, v7
                                        ; implicit-def: $vgpr8
	s_and_saveexec_b64 s[64:65], s[2:3]
	s_xor_b64 s[2:3], exec, s[64:65]
; %bb.828:
	v_bfe_u32 v7, v6, 16, 1
	s_movk_i32 s63, 0x7fff
	v_add3_u32 v8, v6, v7, s63
                                        ; implicit-def: $vgpr6_vgpr7
; %bb.829:
	s_andn2_saveexec_b64 s[64:65], s[2:3]
; %bb.830:
	v_mov_b32_e32 v7, 0
	v_or_b32_e32 v8, 0x10000, v6
	v_cmp_eq_u32_sdwa s[2:3], v6, v7 src0_sel:WORD_0 src1_sel:DWORD
	s_nop 1
	v_cndmask_b32_e64 v8, v8, v6, s[2:3]
; %bb.831:
	s_or_b64 exec, exec, s[64:65]
	v_lshrrev_b32_e32 v8, 16, v8
.LBB52_832:
	s_or_b64 exec, exec, s[54:55]
	v_and_b32_e32 v6, 1, v13
	v_mov_b32_e32 v7, 1
	v_and_b32_sdwa v7, v15, v7 dst_sel:DWORD dst_unused:UNUSED_PAD src0_sel:WORD_1 src1_sel:DWORD
	v_cmp_eq_u32_e64 s[2:3], 1, v6
	s_nop 1
	v_cndmask_b32_e64 v6, v7, 1, s[2:3]
	v_cmp_lt_u32_e64 s[2:3], 31, v3
	s_nop 1
	v_cndmask_b32_e64 v11, v11, v8, s[2:3]
	v_cndmask_b32_e64 v8, v9, v6, s[2:3]
	v_or_b32_e32 v6, 63, v0
	v_lshrrev_b32_e32 v9, 6, v0
	v_cmp_eq_u32_e64 s[2:3], v6, v0
	s_and_saveexec_b64 s[54:55], s[2:3]
	s_cbranch_execz .LBB52_834
; %bb.833:
	v_lshlrev_b32_e32 v6, 2, v9
	ds_write_b16 v6, v11
	ds_write_b8 v6, v8 offset:2
.LBB52_834:
	s_or_b64 exec, exec, s[54:55]
	v_cmp_gt_u32_e64 s[2:3], 4, v0
	s_waitcnt lgkmcnt(0)
	s_barrier
	s_and_saveexec_b64 s[54:55], s[2:3]
	s_cbranch_execz .LBB52_850
; %bb.835:
	v_lshlrev_b32_e32 v13, 2, v0
	ds_read_b32 v15, v13
	v_mov_b32_e32 v6, 0
	s_waitcnt lgkmcnt(0)
	v_lshrrev_b32_e32 v17, 16, v15
	v_mov_b32_dpp v21, v15 row_shr:1 row_mask:0xf bank_mask:0xf
	v_cmp_eq_u16_sdwa s[2:3], v17, v6 src0_sel:BYTE_0 src1_sel:DWORD
	v_mov_b32_e32 v6, v15
	s_and_saveexec_b64 s[64:65], s[2:3]
	s_cbranch_execz .LBB52_841
; %bb.836:
	v_lshlrev_b32_e32 v6, 16, v21
	v_lshlrev_b32_e32 v74, 16, v15
	v_pk_add_f32 v[6:7], v[6:7], v[74:75] op_sel_hi:[0,1]
	s_mov_b32 s2, 0x7f800000
	v_and_b32_e32 v7, 0x7f800000, v6
	v_cmp_ne_u32_e64 s[2:3], s2, v7
                                        ; implicit-def: $vgpr19
	s_and_saveexec_b64 s[66:67], s[2:3]
	s_xor_b64 s[2:3], exec, s[66:67]
; %bb.837:
	v_bfe_u32 v7, v6, 16, 1
	s_movk_i32 s63, 0x7fff
	v_add3_u32 v19, v6, v7, s63
                                        ; implicit-def: $vgpr6_vgpr7
; %bb.838:
	s_andn2_saveexec_b64 s[66:67], s[2:3]
; %bb.839:
	v_mov_b32_e32 v7, 0
	v_or_b32_e32 v19, 0x10000, v6
	v_cmp_eq_u32_sdwa s[2:3], v6, v7 src0_sel:WORD_0 src1_sel:DWORD
	s_nop 1
	v_cndmask_b32_e64 v19, v19, v6, s[2:3]
; %bb.840:
	s_or_b64 exec, exec, s[66:67]
	v_lshrrev_b32_e32 v6, 16, v19
.LBB52_841:
	s_or_b64 exec, exec, s[64:65]
	v_and_b32_e32 v19, 3, v3
	v_cmp_ne_u32_e64 s[2:3], 0, v19
	v_mov_b32_e32 v23, v15
	s_and_saveexec_b64 s[64:65], s[2:3]
; %bb.842:
	v_and_b32_e32 v7, 0xff000000, v15
	v_and_b32_e32 v15, 0x10000, v15
	v_mov_b32_e32 v17, 1
	v_and_b32_sdwa v17, v21, v17 dst_sel:DWORD dst_unused:UNUSED_PAD src0_sel:WORD_1 src1_sel:DWORD
	v_cmp_ne_u32_e64 s[2:3], 0, v15
	v_and_b32_e32 v21, 0xffff, v6
	s_nop 0
	v_cndmask_b32_e64 v17, v17, 1, s[2:3]
	v_lshlrev_b32_e32 v15, 16, v17
	v_or3_b32 v23, v15, v7, v21
	v_mov_b32_e32 v15, v6
; %bb.843:
	s_or_b64 exec, exec, s[64:65]
	v_and_b32_e32 v6, 0xff0000, v23
	v_mov_b32_dpp v21, v23 row_shr:2 row_mask:0xf bank_mask:0xf
	v_cmp_eq_u32_e64 s[2:3], 0, v6
	v_mov_b32_e32 v6, v23
	s_and_saveexec_b64 s[64:65], s[2:3]
	s_cbranch_execz .LBB52_849
; %bb.844:
	v_lshlrev_b32_e32 v6, 16, v21
	v_lshlrev_b32_e32 v74, 16, v23
	v_pk_add_f32 v[6:7], v[6:7], v[74:75] op_sel_hi:[0,1]
	s_mov_b32 s2, 0x7f800000
	v_and_b32_e32 v7, 0x7f800000, v6
	v_cmp_ne_u32_e64 s[2:3], s2, v7
                                        ; implicit-def: $vgpr25
	s_and_saveexec_b64 s[66:67], s[2:3]
	s_xor_b64 s[2:3], exec, s[66:67]
; %bb.845:
	v_bfe_u32 v7, v6, 16, 1
	s_movk_i32 s63, 0x7fff
	v_add3_u32 v25, v6, v7, s63
                                        ; implicit-def: $vgpr6_vgpr7
; %bb.846:
	s_andn2_saveexec_b64 s[66:67], s[2:3]
; %bb.847:
	v_mov_b32_e32 v7, 0
	v_or_b32_e32 v25, 0x10000, v6
	v_cmp_eq_u32_sdwa s[2:3], v6, v7 src0_sel:WORD_0 src1_sel:DWORD
	s_nop 1
	v_cndmask_b32_e64 v25, v25, v6, s[2:3]
; %bb.848:
	s_or_b64 exec, exec, s[66:67]
	v_lshrrev_b32_e32 v6, 16, v25
.LBB52_849:
	s_or_b64 exec, exec, s[64:65]
	v_and_b32_e32 v7, 0x10000, v23
	v_mov_b32_e32 v23, 1
	v_and_b32_sdwa v21, v21, v23 dst_sel:DWORD dst_unused:UNUSED_PAD src0_sel:WORD_1 src1_sel:DWORD
	v_cmp_eq_u32_e64 s[2:3], 0, v7
	s_nop 1
	v_cndmask_b32_e64 v7, 1, v21, s[2:3]
	v_cmp_lt_u32_e64 s[2:3], 1, v19
	s_nop 1
	v_cndmask_b32_e64 v6, v15, v6, s[2:3]
	v_cndmask_b32_e64 v7, v17, v7, s[2:3]
	ds_write_b16 v13, v6
	ds_write_b8 v13, v7 offset:2
.LBB52_850:
	s_or_b64 exec, exec, s[54:55]
	v_cmp_lt_u32_e64 s[2:3], 63, v0
	v_mov_b32_e32 v13, 0
	s_waitcnt lgkmcnt(0)
	s_barrier
	s_and_saveexec_b64 s[54:55], s[2:3]
	s_cbranch_execz .LBB52_858
; %bb.851:
	v_lshl_add_u32 v6, v9, 2, -4
	ds_read_u16 v13, v6
	ds_read_u8 v9, v6 offset:2
	v_cmp_eq_u16_e64 s[2:3], 0, v8
	s_and_saveexec_b64 s[64:65], s[2:3]
	s_cbranch_execz .LBB52_857
; %bb.852:
	s_waitcnt lgkmcnt(1)
	v_lshlrev_b32_e32 v6, 16, v13
	v_lshlrev_b32_e32 v74, 16, v11
	v_pk_add_f32 v[6:7], v[6:7], v[74:75] op_sel_hi:[0,1]
	s_mov_b32 s2, 0x7f800000
	v_and_b32_e32 v7, 0x7f800000, v6
	v_cmp_ne_u32_e64 s[2:3], s2, v7
                                        ; implicit-def: $vgpr11
	s_and_saveexec_b64 s[66:67], s[2:3]
	s_xor_b64 s[2:3], exec, s[66:67]
; %bb.853:
	v_bfe_u32 v7, v6, 16, 1
	s_movk_i32 s63, 0x7fff
	v_add3_u32 v11, v6, v7, s63
                                        ; implicit-def: $vgpr6_vgpr7
; %bb.854:
	s_andn2_saveexec_b64 s[66:67], s[2:3]
; %bb.855:
	v_mov_b32_e32 v7, 0
	v_or_b32_e32 v11, 0x10000, v6
	v_cmp_eq_u32_sdwa s[2:3], v6, v7 src0_sel:WORD_0 src1_sel:DWORD
	s_nop 1
	v_cndmask_b32_e64 v11, v11, v6, s[2:3]
; %bb.856:
	s_or_b64 exec, exec, s[66:67]
	v_lshrrev_b32_e32 v11, 16, v11
.LBB52_857:
	s_or_b64 exec, exec, s[64:65]
	v_and_b32_e32 v6, 1, v8
	v_cmp_eq_u32_e64 s[2:3], 1, v6
	s_waitcnt lgkmcnt(0)
	s_nop 0
	v_cndmask_b32_e64 v8, v9, 1, s[2:3]
.LBB52_858:
	s_or_b64 exec, exec, s[54:55]
	v_and_b32_e32 v6, 0xff, v8
	v_and_b32_e32 v7, 0xffff, v11
	v_lshl_or_b32 v6, v6, 16, v7
	v_add_u32_e32 v7, -1, v3
	v_and_b32_e32 v8, 64, v3
	v_cmp_lt_i32_e64 s[2:3], v7, v8
	s_nop 1
	v_cndmask_b32_e64 v7, v7, v3, s[2:3]
	v_lshlrev_b32_e32 v7, 2, v7
	ds_bpermute_b32 v7, v7, v6
	v_mov_b32_e32 v6, v51
	s_and_saveexec_b64 s[54:55], s[4:5]
	s_cbranch_execz .LBB52_1027
; %bb.859:
	v_and_b32_e32 v6, 0xff0000, v51
	v_cmp_eq_u32_e64 s[2:3], 0, v6
	s_and_saveexec_b64 s[4:5], s[2:3]
	s_cbranch_execz .LBB52_865
; %bb.860:
	v_cmp_eq_u32_e64 s[2:3], 0, v3
	v_lshlrev_b32_e32 v8, 16, v51
	s_waitcnt lgkmcnt(0)
	v_cndmask_b32_e64 v3, v7, v13, s[2:3]
	v_lshlrev_b32_e32 v6, 16, v3
	v_pk_add_f32 v[6:7], v[6:7], v[8:9] op_sel_hi:[0,1]
	s_mov_b32 s2, 0x7f800000
	v_and_b32_e32 v3, 0x7f800000, v6
	v_cmp_ne_u32_e64 s[2:3], s2, v3
                                        ; implicit-def: $vgpr3
	s_and_saveexec_b64 s[64:65], s[2:3]
	s_xor_b64 s[2:3], exec, s[64:65]
; %bb.861:
	v_bfe_u32 v3, v6, 16, 1
	s_movk_i32 s63, 0x7fff
	v_add3_u32 v3, v6, v3, s63
                                        ; implicit-def: $vgpr6_vgpr7
; %bb.862:
	s_andn2_saveexec_b64 s[64:65], s[2:3]
; %bb.863:
	v_mov_b32_e32 v3, 0
	v_or_b32_e32 v7, 0x10000, v6
	v_cmp_eq_u32_sdwa s[2:3], v6, v3 src0_sel:WORD_0 src1_sel:DWORD
	s_nop 1
	v_cndmask_b32_e64 v3, v7, v6, s[2:3]
; %bb.864:
	s_or_b64 exec, exec, s[64:65]
	v_lshrrev_b32_e32 v51, 16, v3
.LBB52_865:
	s_or_b64 exec, exec, s[4:5]
	v_and_b32_e32 v6, 0xffff, v51
	s_or_b64 exec, exec, s[54:55]
	s_and_saveexec_b64 s[4:5], s[6:7]
	s_cbranch_execnz .LBB52_1028
.LBB52_866:
	s_or_b64 exec, exec, s[4:5]
	s_waitcnt lgkmcnt(0)
	v_and_b32_e32 v7, 0xffff, v50
	s_and_saveexec_b64 s[4:5], s[8:9]
	s_cbranch_execz .LBB52_1033
.LBB52_867:
	v_lshlrev_b32_e32 v2, 16, v7
	v_pk_add_f32 v[2:3], v[2:3], v[4:5] op_sel_hi:[0,1]
	s_mov_b32 s2, 0x7f800000
	v_and_b32_e32 v3, 0x7f800000, v2
	v_cmp_ne_u32_e64 s[2:3], s2, v3
                                        ; implicit-def: $vgpr4
	s_and_saveexec_b64 s[6:7], s[2:3]
	s_xor_b64 s[2:3], exec, s[6:7]
; %bb.868:
	v_bfe_u32 v3, v2, 16, 1
	s_movk_i32 s6, 0x7fff
	v_add3_u32 v4, v2, v3, s6
                                        ; implicit-def: $vgpr2_vgpr3
; %bb.869:
	s_andn2_saveexec_b64 s[6:7], s[2:3]
; %bb.870:
	v_mov_b32_e32 v3, 0
	v_or_b32_e32 v4, 0x10000, v2
	v_cmp_eq_u32_sdwa s[2:3], v2, v3 src0_sel:WORD_0 src1_sel:DWORD
	s_nop 1
	v_cndmask_b32_e64 v4, v4, v2, s[2:3]
; %bb.871:
	s_or_b64 exec, exec, s[6:7]
	v_lshrrev_b32_e32 v48, 16, v4
	s_or_b64 exec, exec, s[4:5]
	v_and_b32_e32 v8, 0xffff, v48
	s_and_saveexec_b64 s[4:5], s[10:11]
	s_cbranch_execnz .LBB52_1034
.LBB52_872:
	s_or_b64 exec, exec, s[4:5]
	v_and_b32_e32 v9, 0xffff, v49
	s_and_saveexec_b64 s[4:5], s[12:13]
	s_cbranch_execz .LBB52_1039
.LBB52_873:
	v_lshlrev_b32_e32 v2, 16, v9
	v_pk_add_f32 v[2:3], v[2:3], v[12:13] op_sel_hi:[0,1]
	s_mov_b32 s2, 0x7f800000
	v_and_b32_e32 v3, 0x7f800000, v2
	v_cmp_ne_u32_e64 s[2:3], s2, v3
                                        ; implicit-def: $vgpr4
	s_and_saveexec_b64 s[6:7], s[2:3]
	s_xor_b64 s[2:3], exec, s[6:7]
; %bb.874:
	v_bfe_u32 v3, v2, 16, 1
	s_movk_i32 s6, 0x7fff
	v_add3_u32 v4, v2, v3, s6
                                        ; implicit-def: $vgpr2_vgpr3
; %bb.875:
	s_andn2_saveexec_b64 s[6:7], s[2:3]
; %bb.876:
	v_mov_b32_e32 v3, 0
	v_or_b32_e32 v4, 0x10000, v2
	v_cmp_eq_u32_sdwa s[2:3], v2, v3 src0_sel:WORD_0 src1_sel:DWORD
	s_nop 1
	v_cndmask_b32_e64 v4, v4, v2, s[2:3]
; %bb.877:
	s_or_b64 exec, exec, s[6:7]
	v_lshrrev_b32_e32 v46, 16, v4
	s_or_b64 exec, exec, s[4:5]
	v_and_b32_e32 v10, 0xffff, v46
	s_and_saveexec_b64 s[4:5], s[14:15]
	s_cbranch_execnz .LBB52_1040
.LBB52_878:
	s_or_b64 exec, exec, s[4:5]
	v_and_b32_e32 v11, 0xffff, v47
	s_and_saveexec_b64 s[4:5], s[16:17]
	s_cbranch_execz .LBB52_1045
.LBB52_879:
	v_lshlrev_b32_e32 v2, 16, v11
	v_pk_add_f32 v[2:3], v[2:3], v[16:17] op_sel_hi:[0,1]
	s_mov_b32 s2, 0x7f800000
	v_and_b32_e32 v3, 0x7f800000, v2
	v_cmp_ne_u32_e64 s[2:3], s2, v3
                                        ; implicit-def: $vgpr4
	s_and_saveexec_b64 s[6:7], s[2:3]
	s_xor_b64 s[2:3], exec, s[6:7]
; %bb.880:
	v_bfe_u32 v3, v2, 16, 1
	s_movk_i32 s6, 0x7fff
	v_add3_u32 v4, v2, v3, s6
                                        ; implicit-def: $vgpr2_vgpr3
; %bb.881:
	s_andn2_saveexec_b64 s[6:7], s[2:3]
; %bb.882:
	v_mov_b32_e32 v3, 0
	v_or_b32_e32 v4, 0x10000, v2
	v_cmp_eq_u32_sdwa s[2:3], v2, v3 src0_sel:WORD_0 src1_sel:DWORD
	s_nop 1
	v_cndmask_b32_e64 v4, v4, v2, s[2:3]
; %bb.883:
	s_or_b64 exec, exec, s[6:7]
	v_lshrrev_b32_e32 v44, 16, v4
	s_or_b64 exec, exec, s[4:5]
	v_and_b32_e32 v12, 0xffff, v44
	s_and_saveexec_b64 s[4:5], s[18:19]
	s_cbranch_execnz .LBB52_1046
.LBB52_884:
	s_or_b64 exec, exec, s[4:5]
	v_and_b32_e32 v13, 0xffff, v45
	s_and_saveexec_b64 s[4:5], s[20:21]
	s_cbranch_execz .LBB52_1051
.LBB52_885:
	v_lshlrev_b32_e32 v2, 16, v13
	v_pk_add_f32 v[2:3], v[2:3], v[20:21] op_sel_hi:[0,1]
	s_mov_b32 s2, 0x7f800000
	v_and_b32_e32 v3, 0x7f800000, v2
	v_cmp_ne_u32_e64 s[2:3], s2, v3
                                        ; implicit-def: $vgpr4
	s_and_saveexec_b64 s[6:7], s[2:3]
	s_xor_b64 s[2:3], exec, s[6:7]
; %bb.886:
	v_bfe_u32 v3, v2, 16, 1
	s_movk_i32 s6, 0x7fff
	v_add3_u32 v4, v2, v3, s6
                                        ; implicit-def: $vgpr2_vgpr3
; %bb.887:
	s_andn2_saveexec_b64 s[6:7], s[2:3]
; %bb.888:
	v_mov_b32_e32 v3, 0
	v_or_b32_e32 v4, 0x10000, v2
	v_cmp_eq_u32_sdwa s[2:3], v2, v3 src0_sel:WORD_0 src1_sel:DWORD
	s_nop 1
	v_cndmask_b32_e64 v4, v4, v2, s[2:3]
; %bb.889:
	s_or_b64 exec, exec, s[6:7]
	v_lshrrev_b32_e32 v42, 16, v4
	s_or_b64 exec, exec, s[4:5]
	v_and_b32_e32 v14, 0xffff, v42
	s_and_saveexec_b64 s[4:5], s[22:23]
	s_cbranch_execnz .LBB52_1052
.LBB52_890:
	s_or_b64 exec, exec, s[4:5]
	v_and_b32_e32 v15, 0xffff, v43
	s_and_saveexec_b64 s[4:5], s[24:25]
	s_cbranch_execz .LBB52_1057
.LBB52_891:
	v_lshlrev_b32_e32 v2, 16, v15
	v_pk_add_f32 v[2:3], v[2:3], v[24:25] op_sel_hi:[0,1]
	s_mov_b32 s2, 0x7f800000
	v_and_b32_e32 v3, 0x7f800000, v2
	v_cmp_ne_u32_e64 s[2:3], s2, v3
                                        ; implicit-def: $vgpr4
	s_and_saveexec_b64 s[6:7], s[2:3]
	s_xor_b64 s[2:3], exec, s[6:7]
; %bb.892:
	v_bfe_u32 v3, v2, 16, 1
	s_movk_i32 s6, 0x7fff
	v_add3_u32 v4, v2, v3, s6
                                        ; implicit-def: $vgpr2_vgpr3
; %bb.893:
	s_andn2_saveexec_b64 s[6:7], s[2:3]
; %bb.894:
	v_mov_b32_e32 v3, 0
	v_or_b32_e32 v4, 0x10000, v2
	v_cmp_eq_u32_sdwa s[2:3], v2, v3 src0_sel:WORD_0 src1_sel:DWORD
	s_nop 1
	v_cndmask_b32_e64 v4, v4, v2, s[2:3]
; %bb.895:
	s_or_b64 exec, exec, s[6:7]
	v_lshrrev_b32_e32 v40, 16, v4
	s_or_b64 exec, exec, s[4:5]
	v_and_b32_e32 v16, 0xffff, v40
	s_and_saveexec_b64 s[4:5], s[26:27]
	s_cbranch_execnz .LBB52_1058
.LBB52_896:
	s_or_b64 exec, exec, s[4:5]
	v_and_b32_e32 v17, 0xffff, v41
	s_and_saveexec_b64 s[4:5], s[28:29]
	s_cbranch_execz .LBB52_1063
.LBB52_897:
	v_lshlrev_b32_e32 v2, 16, v17
	v_pk_add_f32 v[2:3], v[2:3], v[28:29] op_sel_hi:[0,1]
	s_mov_b32 s2, 0x7f800000
	v_and_b32_e32 v3, 0x7f800000, v2
	v_cmp_ne_u32_e64 s[2:3], s2, v3
                                        ; implicit-def: $vgpr4
	s_and_saveexec_b64 s[6:7], s[2:3]
	s_xor_b64 s[2:3], exec, s[6:7]
; %bb.898:
	v_bfe_u32 v3, v2, 16, 1
	s_movk_i32 s6, 0x7fff
	v_add3_u32 v4, v2, v3, s6
                                        ; implicit-def: $vgpr2_vgpr3
; %bb.899:
	s_andn2_saveexec_b64 s[6:7], s[2:3]
; %bb.900:
	v_mov_b32_e32 v3, 0
	v_or_b32_e32 v4, 0x10000, v2
	v_cmp_eq_u32_sdwa s[2:3], v2, v3 src0_sel:WORD_0 src1_sel:DWORD
	s_nop 1
	v_cndmask_b32_e64 v4, v4, v2, s[2:3]
; %bb.901:
	s_or_b64 exec, exec, s[6:7]
	v_lshrrev_b32_e32 v38, 16, v4
	s_or_b64 exec, exec, s[4:5]
	v_and_b32_e32 v18, 0xffff, v38
	s_and_saveexec_b64 s[4:5], s[30:31]
	s_cbranch_execnz .LBB52_1064
.LBB52_902:
	s_or_b64 exec, exec, s[4:5]
	v_and_b32_e32 v19, 0xffff, v39
	s_and_saveexec_b64 s[4:5], s[34:35]
	s_cbranch_execz .LBB52_1069
.LBB52_903:
	v_lshlrev_b32_e32 v2, 16, v19
	v_pk_add_f32 v[2:3], v[2:3], v[54:55] op_sel_hi:[0,1]
	s_mov_b32 s2, 0x7f800000
	v_and_b32_e32 v3, 0x7f800000, v2
	v_cmp_ne_u32_e64 s[2:3], s2, v3
                                        ; implicit-def: $vgpr4
	s_and_saveexec_b64 s[6:7], s[2:3]
	s_xor_b64 s[2:3], exec, s[6:7]
; %bb.904:
	v_bfe_u32 v3, v2, 16, 1
	s_movk_i32 s6, 0x7fff
	v_add3_u32 v4, v2, v3, s6
                                        ; implicit-def: $vgpr2_vgpr3
; %bb.905:
	s_andn2_saveexec_b64 s[6:7], s[2:3]
; %bb.906:
	v_mov_b32_e32 v3, 0
	v_or_b32_e32 v4, 0x10000, v2
	v_cmp_eq_u32_sdwa s[2:3], v2, v3 src0_sel:WORD_0 src1_sel:DWORD
	s_nop 1
	v_cndmask_b32_e64 v4, v4, v2, s[2:3]
; %bb.907:
	s_or_b64 exec, exec, s[6:7]
	v_lshrrev_b32_e32 v36, 16, v4
	s_or_b64 exec, exec, s[4:5]
	v_and_b32_e32 v20, 0xffff, v36
	s_and_saveexec_b64 s[4:5], s[36:37]
	s_cbranch_execnz .LBB52_1070
.LBB52_908:
	s_or_b64 exec, exec, s[4:5]
	v_and_b32_e32 v21, 0xffff, v37
	s_and_saveexec_b64 s[4:5], s[38:39]
	s_cbranch_execz .LBB52_1075
.LBB52_909:
	v_lshlrev_b32_e32 v2, 16, v21
	v_pk_add_f32 v[2:3], v[2:3], v[58:59] op_sel_hi:[0,1]
	s_mov_b32 s2, 0x7f800000
	v_and_b32_e32 v3, 0x7f800000, v2
	v_cmp_ne_u32_e64 s[2:3], s2, v3
                                        ; implicit-def: $vgpr4
	s_and_saveexec_b64 s[6:7], s[2:3]
	s_xor_b64 s[2:3], exec, s[6:7]
; %bb.910:
	v_bfe_u32 v3, v2, 16, 1
	s_movk_i32 s6, 0x7fff
	v_add3_u32 v4, v2, v3, s6
                                        ; implicit-def: $vgpr2_vgpr3
; %bb.911:
	s_andn2_saveexec_b64 s[6:7], s[2:3]
; %bb.912:
	v_mov_b32_e32 v3, 0
	v_or_b32_e32 v4, 0x10000, v2
	v_cmp_eq_u32_sdwa s[2:3], v2, v3 src0_sel:WORD_0 src1_sel:DWORD
	s_nop 1
	v_cndmask_b32_e64 v4, v4, v2, s[2:3]
; %bb.913:
	s_or_b64 exec, exec, s[6:7]
	v_lshrrev_b32_e32 v34, 16, v4
	s_or_b64 exec, exec, s[4:5]
	v_and_b32_e32 v22, 0xffff, v34
	s_and_saveexec_b64 s[4:5], s[40:41]
	s_cbranch_execnz .LBB52_1076
.LBB52_914:
	s_or_b64 exec, exec, s[4:5]
	v_and_b32_e32 v23, 0xffff, v35
	s_and_saveexec_b64 s[4:5], s[42:43]
	s_cbranch_execz .LBB52_1081
.LBB52_915:
	v_lshlrev_b32_e32 v2, 16, v23
	v_pk_add_f32 v[2:3], v[2:3], v[62:63] op_sel_hi:[0,1]
	s_mov_b32 s2, 0x7f800000
	v_and_b32_e32 v3, 0x7f800000, v2
	v_cmp_ne_u32_e64 s[2:3], s2, v3
                                        ; implicit-def: $vgpr4
	s_and_saveexec_b64 s[6:7], s[2:3]
	s_xor_b64 s[2:3], exec, s[6:7]
; %bb.916:
	v_bfe_u32 v3, v2, 16, 1
	s_movk_i32 s6, 0x7fff
	v_add3_u32 v4, v2, v3, s6
                                        ; implicit-def: $vgpr2_vgpr3
; %bb.917:
	s_andn2_saveexec_b64 s[6:7], s[2:3]
; %bb.918:
	v_mov_b32_e32 v3, 0
	v_or_b32_e32 v4, 0x10000, v2
	v_cmp_eq_u32_sdwa s[2:3], v2, v3 src0_sel:WORD_0 src1_sel:DWORD
	s_nop 1
	v_cndmask_b32_e64 v4, v4, v2, s[2:3]
; %bb.919:
	s_or_b64 exec, exec, s[6:7]
	v_lshrrev_b32_e32 v32, 16, v4
	s_or_b64 exec, exec, s[4:5]
	v_and_b32_e32 v24, 0xffff, v32
	s_and_saveexec_b64 s[4:5], s[44:45]
	s_cbranch_execnz .LBB52_1082
.LBB52_920:
	s_or_b64 exec, exec, s[4:5]
	v_and_b32_e32 v25, 0xffff, v33
	s_and_saveexec_b64 s[4:5], s[46:47]
	s_cbranch_execz .LBB52_1087
.LBB52_921:
	v_lshlrev_b32_e32 v2, 16, v25
	v_pk_add_f32 v[2:3], v[2:3], v[66:67] op_sel_hi:[0,1]
	s_mov_b32 s2, 0x7f800000
	v_and_b32_e32 v3, 0x7f800000, v2
	v_cmp_ne_u32_e64 s[2:3], s2, v3
                                        ; implicit-def: $vgpr4
	s_and_saveexec_b64 s[6:7], s[2:3]
	s_xor_b64 s[2:3], exec, s[6:7]
; %bb.922:
	v_bfe_u32 v3, v2, 16, 1
	s_movk_i32 s6, 0x7fff
	v_add3_u32 v4, v2, v3, s6
                                        ; implicit-def: $vgpr2_vgpr3
; %bb.923:
	s_andn2_saveexec_b64 s[6:7], s[2:3]
; %bb.924:
	v_mov_b32_e32 v3, 0
	v_or_b32_e32 v4, 0x10000, v2
	v_cmp_eq_u32_sdwa s[2:3], v2, v3 src0_sel:WORD_0 src1_sel:DWORD
	s_nop 1
	v_cndmask_b32_e64 v4, v4, v2, s[2:3]
; %bb.925:
	s_or_b64 exec, exec, s[6:7]
	v_lshrrev_b32_e32 v30, 16, v4
	s_or_b64 exec, exec, s[4:5]
	v_and_b32_e32 v2, 0xffff, v30
	s_and_saveexec_b64 s[4:5], s[48:49]
	s_cbranch_execnz .LBB52_1088
.LBB52_926:
	s_or_b64 exec, exec, s[4:5]
	v_and_b32_e32 v3, 0xffff, v31
	s_and_saveexec_b64 s[4:5], s[50:51]
	s_cbranch_execz .LBB52_1093
.LBB52_927:
	v_lshlrev_b32_e32 v4, 16, v3
	v_pk_add_f32 v[26:27], v[4:5], v[70:71] op_sel_hi:[0,1]
	s_mov_b32 s2, 0x7f800000
	v_and_b32_e32 v1, 0x7f800000, v26
	v_cmp_ne_u32_e64 s[2:3], s2, v1
                                        ; implicit-def: $vgpr1
	s_and_saveexec_b64 s[6:7], s[2:3]
	s_xor_b64 s[2:3], exec, s[6:7]
; %bb.928:
	v_bfe_u32 v1, v26, 16, 1
	s_movk_i32 s6, 0x7fff
	v_add3_u32 v1, v26, v1, s6
                                        ; implicit-def: $vgpr26_vgpr27
; %bb.929:
	s_andn2_saveexec_b64 s[6:7], s[2:3]
; %bb.930:
	v_mov_b32_e32 v1, 0
	v_or_b32_e32 v4, 0x10000, v26
	v_cmp_eq_u32_sdwa s[2:3], v26, v1 src0_sel:WORD_0 src1_sel:DWORD
	s_nop 1
	v_cndmask_b32_e64 v1, v4, v26, s[2:3]
; %bb.931:
	s_or_b64 exec, exec, s[6:7]
	v_lshrrev_b32_e32 v1, 16, v1
	s_or_b64 exec, exec, s[4:5]
	v_and_b32_e32 v4, 0xffff, v1
	s_and_saveexec_b64 s[4:5], s[52:53]
	s_cbranch_execnz .LBB52_1094
.LBB52_932:
	s_or_b64 exec, exec, s[4:5]
	s_and_saveexec_b64 s[2:3], vcc
	s_cbranch_execz .LBB52_934
.LBB52_933:
	v_mov_b32_e32 v1, 0
	ds_read_u8 v26, v1 offset:14
	ds_read_u16 v27, v1 offset:12
	s_waitcnt lgkmcnt(1)
	v_lshlrev_b32_e32 v26, 16, v26
	s_waitcnt lgkmcnt(0)
	v_or_b32_e32 v26, v26, v27
	v_mov_b32_e32 v27, 2
	global_store_dwordx2 v1, v[26:27], s[60:61] offset:512 sc1
.LBB52_934:
	s_or_b64 exec, exec, s[2:3]
	v_mov_b64_e32 v[28:29], v[4:5]
	v_mov_b64_e32 v[26:27], v[2:3]
.LBB52_935:
	s_load_dwordx2 s[0:1], s[0:1], 0x18
	v_mul_u32_u24_e32 v30, 24, v0
	s_waitcnt lgkmcnt(0)
	s_add_u32 s0, s0, s58
	s_addc_u32 s1, s1, s59
	s_and_b64 vcc, exec, s[56:57]
	s_cbranch_vccz .LBB52_1099
; %bb.936:
	s_add_i32 s33, s33, s62
	v_cmp_le_u32_e32 vcc, s33, v30
	v_or_b32_e32 v1, 1, v30
	s_and_saveexec_b64 s[2:3], vcc
	s_xor_b64 s[2:3], exec, s[2:3]
; %bb.937:
	v_or_b32_e32 v1, 1, v30
; %bb.938:
	s_or_saveexec_b64 s[2:3], s[2:3]
                                        ; implicit-def: $vgpr2
                                        ; implicit-def: $vgpr3
                                        ; implicit-def: $vgpr5
                                        ; implicit-def: $vgpr4
	s_xor_b64 exec, exec, s[2:3]
	s_cbranch_execz .LBB52_980
; %bb.939:
	v_cmp_gt_u32_e32 vcc, s33, v1
                                        ; implicit-def: $vgpr4
                                        ; implicit-def: $vgpr5
                                        ; implicit-def: $vgpr3
                                        ; implicit-def: $vgpr2
	s_and_saveexec_b64 s[4:5], vcc
	s_cbranch_execz .LBB52_979
; %bb.940:
	v_or_b32_e32 v2, 2, v30
	v_cmp_gt_u32_e32 vcc, s33, v2
                                        ; implicit-def: $vgpr4
                                        ; implicit-def: $vgpr5
                                        ; implicit-def: $vgpr3
                                        ; implicit-def: $vgpr2
	s_and_saveexec_b64 s[6:7], vcc
	s_cbranch_execz .LBB52_978
; %bb.941:
	v_or_b32_e32 v2, 3, v30
	v_cmp_gt_u32_e32 vcc, s33, v2
	v_mov_b32_e32 v2, v8
                                        ; implicit-def: $vgpr4
                                        ; implicit-def: $vgpr5
                                        ; implicit-def: $vgpr3
	s_and_saveexec_b64 s[8:9], vcc
	s_cbranch_execz .LBB52_977
; %bb.942:
	v_or_b32_e32 v2, 4, v30
	s_mov_b32 s10, 0x5040100
	v_cmp_gt_u32_e32 vcc, s33, v2
	v_perm_b32 v2, v9, v8, s10
                                        ; implicit-def: $vgpr4
                                        ; implicit-def: $vgpr5
                                        ; implicit-def: $vgpr3
	s_and_saveexec_b64 s[10:11], vcc
	s_cbranch_execz .LBB52_976
; %bb.943:
	v_or_b32_e32 v3, 5, v30
	s_mov_b32 s12, 0xffff
	v_cmp_gt_u32_e32 vcc, s33, v3
	v_bfi_b32 v3, s12, v10, v0
                                        ; implicit-def: $vgpr4
                                        ; implicit-def: $vgpr5
	s_and_saveexec_b64 s[12:13], vcc
	s_cbranch_execz .LBB52_975
; %bb.944:
	v_or_b32_e32 v4, 6, v30
	v_cmp_gt_u32_e32 vcc, s33, v4
	s_mov_b32 s48, 0x5040100
                                        ; implicit-def: $vgpr4
                                        ; implicit-def: $vgpr5
	s_and_saveexec_b64 s[14:15], vcc
	s_cbranch_execz .LBB52_974
; %bb.945:
	v_or_b32_e32 v5, 7, v30
	v_cmp_gt_u32_e32 vcc, s33, v5
	v_mov_b32_e32 v5, v12
                                        ; implicit-def: $vgpr4
	s_and_saveexec_b64 s[16:17], vcc
	s_cbranch_execz .LBB52_973
; %bb.946:
	v_add_u32_e32 v4, 8, v30
	s_mov_b32 s18, 0x5040100
	v_cmp_gt_u32_e32 vcc, s33, v4
	v_perm_b32 v5, v13, v12, s18
                                        ; implicit-def: $vgpr4
	s_and_saveexec_b64 s[18:19], vcc
	s_cbranch_execz .LBB52_972
; %bb.947:
	v_add_u32_e32 v4, 9, v30
	s_mov_b32 s20, 0xffff
	v_cmp_gt_u32_e32 vcc, s33, v4
	v_bfi_b32 v4, s20, v14, v0
	s_and_saveexec_b64 s[20:21], vcc
	s_cbranch_execz .LBB52_971
; %bb.948:
	v_add_u32_e32 v31, 10, v30
	v_cmp_gt_u32_e32 vcc, s33, v31
	s_mov_b32 s49, 0x5040100
	s_and_saveexec_b64 s[22:23], vcc
	s_cbranch_execz .LBB52_970
; %bb.949:
	v_add_u32_e32 v31, 11, v30
	v_cmp_gt_u32_e32 vcc, s33, v31
	s_and_saveexec_b64 s[24:25], vcc
	s_cbranch_execz .LBB52_969
; %bb.950:
	v_add_u32_e32 v31, 12, v30
	v_cmp_gt_u32_e32 vcc, s33, v31
	;; [unrolled: 5-line block ×10, first 2 shown]
	s_and_saveexec_b64 s[44:45], vcc
; %bb.959:
	v_add_u32_e32 v31, 21, v30
	v_cmp_gt_u32_e32 vcc, s33, v31
	s_and_saveexec_b64 s[46:47], vcc
	s_or_b64 exec, exec, s[46:47]
; %bb.960:
	s_or_b64 exec, exec, s[44:45]
.LBB52_961:
	s_or_b64 exec, exec, s[42:43]
.LBB52_962:
	s_or_b64 exec, exec, s[40:41]
.LBB52_963:
	s_or_b64 exec, exec, s[38:39]
.LBB52_964:
	s_or_b64 exec, exec, s[36:37]
.LBB52_965:
	s_or_b64 exec, exec, s[34:35]
.LBB52_966:
	s_or_b64 exec, exec, s[30:31]
.LBB52_967:
	s_or_b64 exec, exec, s[28:29]
.LBB52_968:
	s_or_b64 exec, exec, s[26:27]
.LBB52_969:
	s_or_b64 exec, exec, s[24:25]
.LBB52_970:
	s_or_b64 exec, exec, s[22:23]
	v_perm_b32 v4, v15, v4, s49
.LBB52_971:
	s_or_b64 exec, exec, s[20:21]
.LBB52_972:
	s_or_b64 exec, exec, s[18:19]
.LBB52_973:
	s_or_b64 exec, exec, s[16:17]
.LBB52_974:
	s_or_b64 exec, exec, s[14:15]
	v_perm_b32 v3, v11, v3, s48
.LBB52_975:
	s_or_b64 exec, exec, s[12:13]
.LBB52_976:
	s_or_b64 exec, exec, s[10:11]
.LBB52_977:
	s_or_b64 exec, exec, s[8:9]
.LBB52_978:
	s_or_b64 exec, exec, s[6:7]
.LBB52_979:
	s_or_b64 exec, exec, s[4:5]
.LBB52_980:
	s_or_b64 exec, exec, s[2:3]
	v_lshlrev_b32_e32 v51, 1, v30
	v_lshlrev_b32_e32 v1, 1, v1
	s_mov_b32 s2, 0x5040100
	s_barrier
	ds_write_b16 v51, v6
	ds_write_b16 v1, v7
	ds_write2_b32 v51, v2, v3 offset0:1 offset1:2
	ds_write2_b32 v51, v5, v4 offset0:3 offset1:4
	v_perm_b32 v1, v19, v18, s2
	v_perm_b32 v2, v17, v16, s2
	ds_write2_b32 v51, v2, v1 offset0:5 offset1:6
	v_perm_b32 v1, v23, v22, s2
	v_perm_b32 v2, v21, v20, s2
	;; [unrolled: 3-line block ×3, first 2 shown]
	ds_write2_b32 v51, v2, v1 offset0:9 offset1:10
	v_perm_b32 v1, v29, v28, s2
	s_movk_i32 s2, 0xffd2
	v_mad_i32_i24 v2, v0, s2, v51
	ds_write_b32 v51, v1 offset:44
	s_waitcnt lgkmcnt(0)
	s_barrier
	ds_read_u16 v53, v2 offset:512
	ds_read_u16 v52, v2 offset:1024
	;; [unrolled: 1-line block ×23, first 2 shown]
	v_mov_b32_e32 v3, 0
	v_lshlrev_b32_e32 v2, 1, v0
	v_lshl_add_u64 v[4:5], s[0:1], 0, v[2:3]
	v_cmp_gt_u32_e32 vcc, s33, v0
	s_and_saveexec_b64 s[2:3], vcc
	s_cbranch_execz .LBB52_982
; %bb.981:
	v_mul_i32_i24_e32 v2, 0xffffffd2, v0
	v_add_u32_e32 v2, v51, v2
	ds_read_u16 v2, v2
	s_waitcnt lgkmcnt(0)
	global_store_short v[4:5], v2, off
.LBB52_982:
	s_or_b64 exec, exec, s[2:3]
	v_or_b32_e32 v2, 0x100, v0
	v_cmp_gt_u32_e32 vcc, s33, v2
	s_and_saveexec_b64 s[2:3], vcc
	s_cbranch_execz .LBB52_984
; %bb.983:
	s_waitcnt lgkmcnt(14)
	global_store_short v[4:5], v53, off offset:512
.LBB52_984:
	s_or_b64 exec, exec, s[2:3]
	v_or_b32_e32 v2, 0x200, v0
	v_cmp_gt_u32_e32 vcc, s33, v2
	s_and_saveexec_b64 s[2:3], vcc
	s_cbranch_execz .LBB52_986
; %bb.985:
	s_waitcnt lgkmcnt(14)
	global_store_short v[4:5], v52, off offset:1024
.LBB52_986:
	;; [unrolled: 9-line block ×7, first 2 shown]
	s_or_b64 exec, exec, s[2:3]
	v_or_b32_e32 v2, 0x800, v0
	v_cmp_gt_u32_e32 vcc, s33, v2
	s_and_saveexec_b64 s[2:3], vcc
	s_cbranch_execz .LBB52_998
; %bb.997:
	s_waitcnt lgkmcnt(14)
	v_add_co_u32_e32 v46, vcc, 0x1000, v4
	s_nop 1
	v_addc_co_u32_e32 v47, vcc, 0, v5, vcc
	global_store_short v[46:47], v45, off
.LBB52_998:
	s_or_b64 exec, exec, s[2:3]
	v_or_b32_e32 v2, 0x900, v0
	v_cmp_gt_u32_e32 vcc, s33, v2
	s_and_saveexec_b64 s[2:3], vcc
	s_cbranch_execz .LBB52_1000
; %bb.999:
	s_waitcnt lgkmcnt(14)
	v_add_co_u32_e32 v46, vcc, 0x1000, v4
	s_nop 1
	v_addc_co_u32_e32 v47, vcc, 0, v5, vcc
	global_store_short v[46:47], v44, off offset:512
.LBB52_1000:
	s_or_b64 exec, exec, s[2:3]
	v_or_b32_e32 v2, 0xa00, v0
	v_cmp_gt_u32_e32 vcc, s33, v2
	s_and_saveexec_b64 s[2:3], vcc
	s_cbranch_execz .LBB52_1002
; %bb.1001:
	s_waitcnt lgkmcnt(14)
	v_add_co_u32_e32 v44, vcc, 0x1000, v4
	s_nop 1
	v_addc_co_u32_e32 v45, vcc, 0, v5, vcc
	s_waitcnt lgkmcnt(13)
	global_store_short v[44:45], v43, off offset:1024
.LBB52_1002:
	s_or_b64 exec, exec, s[2:3]
	v_or_b32_e32 v2, 0xb00, v0
	v_cmp_gt_u32_e32 vcc, s33, v2
	s_and_saveexec_b64 s[2:3], vcc
	s_cbranch_execz .LBB52_1004
; %bb.1003:
	s_waitcnt lgkmcnt(14)
	v_add_co_u32_e32 v44, vcc, 0x1000, v4
	s_nop 1
	v_addc_co_u32_e32 v45, vcc, 0, v5, vcc
	s_waitcnt lgkmcnt(12)
	global_store_short v[44:45], v42, off offset:1536
.LBB52_1004:
	;; [unrolled: 13-line block ×6, first 2 shown]
	s_or_b64 exec, exec, s[2:3]
	v_or_b32_e32 v2, 0x1000, v0
	v_cmp_gt_u32_e32 vcc, s33, v2
	s_and_saveexec_b64 s[2:3], vcc
	s_cbranch_execz .LBB52_1014
; %bb.1013:
	s_waitcnt lgkmcnt(8)
	v_add_co_u32_e32 v38, vcc, 0x2000, v4
	s_nop 1
	v_addc_co_u32_e32 v39, vcc, 0, v5, vcc
	s_waitcnt lgkmcnt(7)
	global_store_short v[38:39], v37, off
.LBB52_1014:
	s_or_b64 exec, exec, s[2:3]
	v_or_b32_e32 v2, 0x1100, v0
	v_cmp_gt_u32_e32 vcc, s33, v2
	s_and_saveexec_b64 s[2:3], vcc
	s_cbranch_execz .LBB52_1016
; %bb.1015:
	s_waitcnt lgkmcnt(8)
	v_add_co_u32_e32 v38, vcc, 0x2000, v4
	s_nop 1
	v_addc_co_u32_e32 v39, vcc, 0, v5, vcc
	s_waitcnt lgkmcnt(6)
	global_store_short v[38:39], v36, off offset:512
.LBB52_1016:
	s_or_b64 exec, exec, s[2:3]
	v_or_b32_e32 v2, 0x1200, v0
	v_cmp_gt_u32_e32 vcc, s33, v2
	s_and_saveexec_b64 s[2:3], vcc
	s_cbranch_execz .LBB52_1018
; %bb.1017:
	s_waitcnt lgkmcnt(6)
	v_add_co_u32_e32 v36, vcc, 0x2000, v4
	s_nop 1
	v_addc_co_u32_e32 v37, vcc, 0, v5, vcc
	s_waitcnt lgkmcnt(5)
	global_store_short v[36:37], v35, off offset:1024
.LBB52_1018:
	;; [unrolled: 13-line block ×5, first 2 shown]
	s_or_b64 exec, exec, s[2:3]
	v_or_b32_e32 v2, 0x1600, v0
	v_cmp_gt_u32_e32 vcc, s33, v2
	s_and_saveexec_b64 s[2:3], vcc
	s_cbranch_execz .LBB52_1026
; %bb.1025:
	v_add_co_u32_e32 v4, vcc, 0x2000, v4
	s_nop 1
	v_addc_co_u32_e32 v5, vcc, 0, v5, vcc
	s_waitcnt lgkmcnt(1)
	global_store_short v[4:5], v1, off offset:3072
.LBB52_1026:
	s_or_b64 exec, exec, s[2:3]
	v_or_b32_e32 v2, 0x1700, v0
	s_waitcnt lgkmcnt(1)
	v_mov_b32_e32 v1, v3
	v_cmp_gt_u32_e64 s[2:3], s33, v2
	s_branch .LBB52_1101
.LBB52_1027:
	s_or_b64 exec, exec, s[54:55]
	s_and_saveexec_b64 s[4:5], s[6:7]
	s_cbranch_execz .LBB52_866
.LBB52_1028:
	v_lshlrev_b32_e32 v8, 16, v51
	v_pk_add_f32 v[2:3], v[8:9], v[2:3] op_sel_hi:[0,1]
	s_mov_b32 s2, 0x7f800000
	v_and_b32_e32 v3, 0x7f800000, v2
	v_cmp_ne_u32_e64 s[2:3], s2, v3
                                        ; implicit-def: $vgpr7
	s_and_saveexec_b64 s[6:7], s[2:3]
	s_xor_b64 s[2:3], exec, s[6:7]
	s_cbranch_execz .LBB52_1030
; %bb.1029:
	v_bfe_u32 v3, v2, 16, 1
	s_movk_i32 s6, 0x7fff
	s_waitcnt lgkmcnt(0)
	v_add3_u32 v7, v2, v3, s6
                                        ; implicit-def: $vgpr2_vgpr3
.LBB52_1030:
	s_andn2_saveexec_b64 s[6:7], s[2:3]
	s_cbranch_execz .LBB52_1032
; %bb.1031:
	v_mov_b32_e32 v3, 0
	s_waitcnt lgkmcnt(0)
	v_or_b32_e32 v7, 0x10000, v2
	v_cmp_eq_u32_sdwa s[2:3], v2, v3 src0_sel:WORD_0 src1_sel:DWORD
	s_nop 1
	v_cndmask_b32_e64 v7, v7, v2, s[2:3]
.LBB52_1032:
	s_or_b64 exec, exec, s[6:7]
	s_waitcnt lgkmcnt(0)
	v_lshrrev_b32_e32 v50, 16, v7
	s_or_b64 exec, exec, s[4:5]
	v_and_b32_e32 v7, 0xffff, v50
	s_and_saveexec_b64 s[4:5], s[8:9]
	s_cbranch_execnz .LBB52_867
.LBB52_1033:
	s_or_b64 exec, exec, s[4:5]
	v_and_b32_e32 v8, 0xffff, v48
	s_and_saveexec_b64 s[4:5], s[10:11]
	s_cbranch_execz .LBB52_872
.LBB52_1034:
	v_lshlrev_b32_e32 v2, 16, v8
	v_pk_add_f32 v[2:3], v[2:3], v[10:11] op_sel_hi:[0,1]
	s_mov_b32 s2, 0x7f800000
	v_and_b32_e32 v3, 0x7f800000, v2
	v_cmp_ne_u32_e64 s[2:3], s2, v3
                                        ; implicit-def: $vgpr4
	s_and_saveexec_b64 s[6:7], s[2:3]
	s_xor_b64 s[2:3], exec, s[6:7]
; %bb.1035:
	v_bfe_u32 v3, v2, 16, 1
	s_movk_i32 s6, 0x7fff
	v_add3_u32 v4, v2, v3, s6
                                        ; implicit-def: $vgpr2_vgpr3
; %bb.1036:
	s_andn2_saveexec_b64 s[6:7], s[2:3]
; %bb.1037:
	v_mov_b32_e32 v3, 0
	v_or_b32_e32 v4, 0x10000, v2
	v_cmp_eq_u32_sdwa s[2:3], v2, v3 src0_sel:WORD_0 src1_sel:DWORD
	s_nop 1
	v_cndmask_b32_e64 v4, v4, v2, s[2:3]
; %bb.1038:
	s_or_b64 exec, exec, s[6:7]
	v_lshrrev_b32_e32 v49, 16, v4
	s_or_b64 exec, exec, s[4:5]
	v_and_b32_e32 v9, 0xffff, v49
	s_and_saveexec_b64 s[4:5], s[12:13]
	s_cbranch_execnz .LBB52_873
.LBB52_1039:
	s_or_b64 exec, exec, s[4:5]
	v_and_b32_e32 v10, 0xffff, v46
	s_and_saveexec_b64 s[4:5], s[14:15]
	s_cbranch_execz .LBB52_878
.LBB52_1040:
	v_lshlrev_b32_e32 v2, 16, v10
	v_pk_add_f32 v[2:3], v[2:3], v[14:15] op_sel_hi:[0,1]
	s_mov_b32 s2, 0x7f800000
	v_and_b32_e32 v3, 0x7f800000, v2
	v_cmp_ne_u32_e64 s[2:3], s2, v3
                                        ; implicit-def: $vgpr4
	s_and_saveexec_b64 s[6:7], s[2:3]
	s_xor_b64 s[2:3], exec, s[6:7]
; %bb.1041:
	v_bfe_u32 v3, v2, 16, 1
	s_movk_i32 s6, 0x7fff
	v_add3_u32 v4, v2, v3, s6
                                        ; implicit-def: $vgpr2_vgpr3
; %bb.1042:
	s_andn2_saveexec_b64 s[6:7], s[2:3]
; %bb.1043:
	v_mov_b32_e32 v3, 0
	v_or_b32_e32 v4, 0x10000, v2
	v_cmp_eq_u32_sdwa s[2:3], v2, v3 src0_sel:WORD_0 src1_sel:DWORD
	s_nop 1
	v_cndmask_b32_e64 v4, v4, v2, s[2:3]
; %bb.1044:
	s_or_b64 exec, exec, s[6:7]
	v_lshrrev_b32_e32 v47, 16, v4
	s_or_b64 exec, exec, s[4:5]
	v_and_b32_e32 v11, 0xffff, v47
	s_and_saveexec_b64 s[4:5], s[16:17]
	s_cbranch_execnz .LBB52_879
.LBB52_1045:
	s_or_b64 exec, exec, s[4:5]
	v_and_b32_e32 v12, 0xffff, v44
	s_and_saveexec_b64 s[4:5], s[18:19]
	s_cbranch_execz .LBB52_884
.LBB52_1046:
	v_lshlrev_b32_e32 v2, 16, v12
	v_pk_add_f32 v[2:3], v[2:3], v[18:19] op_sel_hi:[0,1]
	s_mov_b32 s2, 0x7f800000
	v_and_b32_e32 v3, 0x7f800000, v2
	v_cmp_ne_u32_e64 s[2:3], s2, v3
                                        ; implicit-def: $vgpr4
	s_and_saveexec_b64 s[6:7], s[2:3]
	s_xor_b64 s[2:3], exec, s[6:7]
; %bb.1047:
	v_bfe_u32 v3, v2, 16, 1
	s_movk_i32 s6, 0x7fff
	v_add3_u32 v4, v2, v3, s6
                                        ; implicit-def: $vgpr2_vgpr3
; %bb.1048:
	s_andn2_saveexec_b64 s[6:7], s[2:3]
; %bb.1049:
	v_mov_b32_e32 v3, 0
	v_or_b32_e32 v4, 0x10000, v2
	v_cmp_eq_u32_sdwa s[2:3], v2, v3 src0_sel:WORD_0 src1_sel:DWORD
	s_nop 1
	v_cndmask_b32_e64 v4, v4, v2, s[2:3]
; %bb.1050:
	s_or_b64 exec, exec, s[6:7]
	v_lshrrev_b32_e32 v45, 16, v4
	s_or_b64 exec, exec, s[4:5]
	v_and_b32_e32 v13, 0xffff, v45
	s_and_saveexec_b64 s[4:5], s[20:21]
	s_cbranch_execnz .LBB52_885
.LBB52_1051:
	s_or_b64 exec, exec, s[4:5]
	v_and_b32_e32 v14, 0xffff, v42
	s_and_saveexec_b64 s[4:5], s[22:23]
	s_cbranch_execz .LBB52_890
.LBB52_1052:
	v_lshlrev_b32_e32 v2, 16, v14
	v_pk_add_f32 v[2:3], v[2:3], v[22:23] op_sel_hi:[0,1]
	s_mov_b32 s2, 0x7f800000
	v_and_b32_e32 v3, 0x7f800000, v2
	v_cmp_ne_u32_e64 s[2:3], s2, v3
                                        ; implicit-def: $vgpr4
	s_and_saveexec_b64 s[6:7], s[2:3]
	s_xor_b64 s[2:3], exec, s[6:7]
; %bb.1053:
	v_bfe_u32 v3, v2, 16, 1
	s_movk_i32 s6, 0x7fff
	v_add3_u32 v4, v2, v3, s6
                                        ; implicit-def: $vgpr2_vgpr3
; %bb.1054:
	s_andn2_saveexec_b64 s[6:7], s[2:3]
; %bb.1055:
	v_mov_b32_e32 v3, 0
	v_or_b32_e32 v4, 0x10000, v2
	v_cmp_eq_u32_sdwa s[2:3], v2, v3 src0_sel:WORD_0 src1_sel:DWORD
	s_nop 1
	v_cndmask_b32_e64 v4, v4, v2, s[2:3]
; %bb.1056:
	s_or_b64 exec, exec, s[6:7]
	v_lshrrev_b32_e32 v43, 16, v4
	s_or_b64 exec, exec, s[4:5]
	v_and_b32_e32 v15, 0xffff, v43
	s_and_saveexec_b64 s[4:5], s[24:25]
	s_cbranch_execnz .LBB52_891
.LBB52_1057:
	s_or_b64 exec, exec, s[4:5]
	v_and_b32_e32 v16, 0xffff, v40
	s_and_saveexec_b64 s[4:5], s[26:27]
	s_cbranch_execz .LBB52_896
.LBB52_1058:
	v_lshlrev_b32_e32 v2, 16, v16
	v_pk_add_f32 v[2:3], v[2:3], v[26:27] op_sel_hi:[0,1]
	s_mov_b32 s2, 0x7f800000
	v_and_b32_e32 v3, 0x7f800000, v2
	v_cmp_ne_u32_e64 s[2:3], s2, v3
                                        ; implicit-def: $vgpr4
	s_and_saveexec_b64 s[6:7], s[2:3]
	s_xor_b64 s[2:3], exec, s[6:7]
; %bb.1059:
	v_bfe_u32 v3, v2, 16, 1
	s_movk_i32 s6, 0x7fff
	v_add3_u32 v4, v2, v3, s6
                                        ; implicit-def: $vgpr2_vgpr3
; %bb.1060:
	s_andn2_saveexec_b64 s[6:7], s[2:3]
; %bb.1061:
	v_mov_b32_e32 v3, 0
	v_or_b32_e32 v4, 0x10000, v2
	v_cmp_eq_u32_sdwa s[2:3], v2, v3 src0_sel:WORD_0 src1_sel:DWORD
	s_nop 1
	v_cndmask_b32_e64 v4, v4, v2, s[2:3]
; %bb.1062:
	s_or_b64 exec, exec, s[6:7]
	v_lshrrev_b32_e32 v41, 16, v4
	s_or_b64 exec, exec, s[4:5]
	v_and_b32_e32 v17, 0xffff, v41
	s_and_saveexec_b64 s[4:5], s[28:29]
	s_cbranch_execnz .LBB52_897
.LBB52_1063:
	s_or_b64 exec, exec, s[4:5]
	v_and_b32_e32 v18, 0xffff, v38
	s_and_saveexec_b64 s[4:5], s[30:31]
	s_cbranch_execz .LBB52_902
.LBB52_1064:
	v_lshlrev_b32_e32 v2, 16, v18
	v_pk_add_f32 v[2:3], v[2:3], v[52:53] op_sel_hi:[0,1]
	s_mov_b32 s2, 0x7f800000
	v_and_b32_e32 v3, 0x7f800000, v2
	v_cmp_ne_u32_e64 s[2:3], s2, v3
                                        ; implicit-def: $vgpr4
	s_and_saveexec_b64 s[6:7], s[2:3]
	s_xor_b64 s[2:3], exec, s[6:7]
; %bb.1065:
	v_bfe_u32 v3, v2, 16, 1
	s_movk_i32 s6, 0x7fff
	v_add3_u32 v4, v2, v3, s6
                                        ; implicit-def: $vgpr2_vgpr3
; %bb.1066:
	s_andn2_saveexec_b64 s[6:7], s[2:3]
; %bb.1067:
	v_mov_b32_e32 v3, 0
	v_or_b32_e32 v4, 0x10000, v2
	v_cmp_eq_u32_sdwa s[2:3], v2, v3 src0_sel:WORD_0 src1_sel:DWORD
	s_nop 1
	v_cndmask_b32_e64 v4, v4, v2, s[2:3]
; %bb.1068:
	s_or_b64 exec, exec, s[6:7]
	v_lshrrev_b32_e32 v39, 16, v4
	s_or_b64 exec, exec, s[4:5]
	v_and_b32_e32 v19, 0xffff, v39
	s_and_saveexec_b64 s[4:5], s[34:35]
	s_cbranch_execnz .LBB52_903
.LBB52_1069:
	s_or_b64 exec, exec, s[4:5]
	v_and_b32_e32 v20, 0xffff, v36
	s_and_saveexec_b64 s[4:5], s[36:37]
	s_cbranch_execz .LBB52_908
.LBB52_1070:
	v_lshlrev_b32_e32 v2, 16, v20
	v_pk_add_f32 v[2:3], v[2:3], v[56:57] op_sel_hi:[0,1]
	s_mov_b32 s2, 0x7f800000
	v_and_b32_e32 v3, 0x7f800000, v2
	v_cmp_ne_u32_e64 s[2:3], s2, v3
                                        ; implicit-def: $vgpr4
	s_and_saveexec_b64 s[6:7], s[2:3]
	s_xor_b64 s[2:3], exec, s[6:7]
; %bb.1071:
	v_bfe_u32 v3, v2, 16, 1
	s_movk_i32 s6, 0x7fff
	v_add3_u32 v4, v2, v3, s6
                                        ; implicit-def: $vgpr2_vgpr3
; %bb.1072:
	s_andn2_saveexec_b64 s[6:7], s[2:3]
; %bb.1073:
	v_mov_b32_e32 v3, 0
	v_or_b32_e32 v4, 0x10000, v2
	v_cmp_eq_u32_sdwa s[2:3], v2, v3 src0_sel:WORD_0 src1_sel:DWORD
	s_nop 1
	v_cndmask_b32_e64 v4, v4, v2, s[2:3]
; %bb.1074:
	s_or_b64 exec, exec, s[6:7]
	v_lshrrev_b32_e32 v37, 16, v4
	s_or_b64 exec, exec, s[4:5]
	v_and_b32_e32 v21, 0xffff, v37
	s_and_saveexec_b64 s[4:5], s[38:39]
	s_cbranch_execnz .LBB52_909
.LBB52_1075:
	s_or_b64 exec, exec, s[4:5]
	v_and_b32_e32 v22, 0xffff, v34
	s_and_saveexec_b64 s[4:5], s[40:41]
	s_cbranch_execz .LBB52_914
.LBB52_1076:
	v_lshlrev_b32_e32 v2, 16, v22
	v_pk_add_f32 v[2:3], v[2:3], v[60:61] op_sel_hi:[0,1]
	s_mov_b32 s2, 0x7f800000
	v_and_b32_e32 v3, 0x7f800000, v2
	v_cmp_ne_u32_e64 s[2:3], s2, v3
                                        ; implicit-def: $vgpr4
	s_and_saveexec_b64 s[6:7], s[2:3]
	s_xor_b64 s[2:3], exec, s[6:7]
; %bb.1077:
	v_bfe_u32 v3, v2, 16, 1
	s_movk_i32 s6, 0x7fff
	v_add3_u32 v4, v2, v3, s6
                                        ; implicit-def: $vgpr2_vgpr3
; %bb.1078:
	s_andn2_saveexec_b64 s[6:7], s[2:3]
; %bb.1079:
	v_mov_b32_e32 v3, 0
	v_or_b32_e32 v4, 0x10000, v2
	v_cmp_eq_u32_sdwa s[2:3], v2, v3 src0_sel:WORD_0 src1_sel:DWORD
	s_nop 1
	v_cndmask_b32_e64 v4, v4, v2, s[2:3]
; %bb.1080:
	s_or_b64 exec, exec, s[6:7]
	v_lshrrev_b32_e32 v35, 16, v4
	s_or_b64 exec, exec, s[4:5]
	v_and_b32_e32 v23, 0xffff, v35
	s_and_saveexec_b64 s[4:5], s[42:43]
	s_cbranch_execnz .LBB52_915
.LBB52_1081:
	s_or_b64 exec, exec, s[4:5]
	v_and_b32_e32 v24, 0xffff, v32
	s_and_saveexec_b64 s[4:5], s[44:45]
	s_cbranch_execz .LBB52_920
.LBB52_1082:
	v_lshlrev_b32_e32 v2, 16, v24
	v_pk_add_f32 v[2:3], v[2:3], v[64:65] op_sel_hi:[0,1]
	s_mov_b32 s2, 0x7f800000
	v_and_b32_e32 v3, 0x7f800000, v2
	v_cmp_ne_u32_e64 s[2:3], s2, v3
                                        ; implicit-def: $vgpr4
	s_and_saveexec_b64 s[6:7], s[2:3]
	s_xor_b64 s[2:3], exec, s[6:7]
; %bb.1083:
	v_bfe_u32 v3, v2, 16, 1
	s_movk_i32 s6, 0x7fff
	v_add3_u32 v4, v2, v3, s6
                                        ; implicit-def: $vgpr2_vgpr3
; %bb.1084:
	s_andn2_saveexec_b64 s[6:7], s[2:3]
; %bb.1085:
	v_mov_b32_e32 v3, 0
	v_or_b32_e32 v4, 0x10000, v2
	v_cmp_eq_u32_sdwa s[2:3], v2, v3 src0_sel:WORD_0 src1_sel:DWORD
	s_nop 1
	v_cndmask_b32_e64 v4, v4, v2, s[2:3]
; %bb.1086:
	s_or_b64 exec, exec, s[6:7]
	v_lshrrev_b32_e32 v33, 16, v4
	s_or_b64 exec, exec, s[4:5]
	v_and_b32_e32 v25, 0xffff, v33
	s_and_saveexec_b64 s[4:5], s[46:47]
	s_cbranch_execnz .LBB52_921
.LBB52_1087:
	s_or_b64 exec, exec, s[4:5]
	v_and_b32_e32 v2, 0xffff, v30
	s_and_saveexec_b64 s[4:5], s[48:49]
	s_cbranch_execz .LBB52_926
.LBB52_1088:
	v_lshlrev_b32_e32 v4, 16, v2
	v_pk_add_f32 v[26:27], v[4:5], v[68:69] op_sel_hi:[0,1]
	s_mov_b32 s2, 0x7f800000
	v_and_b32_e32 v3, 0x7f800000, v26
	v_cmp_ne_u32_e64 s[2:3], s2, v3
                                        ; implicit-def: $vgpr3
	s_and_saveexec_b64 s[6:7], s[2:3]
	s_xor_b64 s[2:3], exec, s[6:7]
; %bb.1089:
	v_bfe_u32 v3, v26, 16, 1
	s_movk_i32 s6, 0x7fff
	v_add3_u32 v3, v26, v3, s6
                                        ; implicit-def: $vgpr26_vgpr27
; %bb.1090:
	s_andn2_saveexec_b64 s[6:7], s[2:3]
; %bb.1091:
	v_mov_b32_e32 v3, 0
	v_or_b32_e32 v4, 0x10000, v26
	v_cmp_eq_u32_sdwa s[2:3], v26, v3 src0_sel:WORD_0 src1_sel:DWORD
	s_nop 1
	v_cndmask_b32_e64 v3, v4, v26, s[2:3]
; %bb.1092:
	s_or_b64 exec, exec, s[6:7]
	v_lshrrev_b32_e32 v31, 16, v3
	s_or_b64 exec, exec, s[4:5]
	v_and_b32_e32 v3, 0xffff, v31
	s_and_saveexec_b64 s[4:5], s[50:51]
	s_cbranch_execnz .LBB52_927
.LBB52_1093:
	s_or_b64 exec, exec, s[4:5]
	v_and_b32_e32 v4, 0xffff, v1
	s_and_saveexec_b64 s[4:5], s[52:53]
	s_cbranch_execz .LBB52_932
.LBB52_1094:
	v_lshlrev_b32_e32 v26, 16, v4
	v_pk_add_f32 v[26:27], v[26:27], v[72:73] op_sel_hi:[0,1]
	s_mov_b32 s2, 0x7f800000
	v_and_b32_e32 v1, 0x7f800000, v26
	v_cmp_ne_u32_e64 s[2:3], s2, v1
                                        ; implicit-def: $vgpr1
	s_and_saveexec_b64 s[6:7], s[2:3]
	s_xor_b64 s[2:3], exec, s[6:7]
; %bb.1095:
	v_bfe_u32 v1, v26, 16, 1
	s_movk_i32 s6, 0x7fff
	v_add3_u32 v1, v26, v1, s6
                                        ; implicit-def: $vgpr26_vgpr27
; %bb.1096:
	s_andn2_saveexec_b64 s[6:7], s[2:3]
; %bb.1097:
	v_mov_b32_e32 v1, 0
	v_or_b32_e32 v5, 0x10000, v26
	v_cmp_eq_u32_sdwa s[2:3], v26, v1 src0_sel:WORD_0 src1_sel:DWORD
	s_nop 1
	v_cndmask_b32_e64 v1, v5, v26, s[2:3]
; %bb.1098:
	s_or_b64 exec, exec, s[6:7]
	v_lshrrev_b32_e32 v5, 16, v1
	s_or_b64 exec, exec, s[4:5]
	s_and_saveexec_b64 s[2:3], vcc
	s_cbranch_execnz .LBB52_933
	s_branch .LBB52_934
.LBB52_1099:
	s_mov_b64 s[2:3], 0
                                        ; implicit-def: $vgpr31
	s_cbranch_execz .LBB52_1101
; %bb.1100:
	s_mov_b32 s4, 0x5040100
	v_lshlrev_b32_e32 v30, 1, v30
	v_perm_b32 v5, v13, v12, s4
	v_perm_b32 v4, v11, v10, s4
	;; [unrolled: 1-line block ×4, first 2 shown]
	s_waitcnt lgkmcnt(0)
	s_barrier
	ds_write_b128 v30, v[2:5]
	v_perm_b32 v5, v21, v20, s4
	v_perm_b32 v4, v19, v18, s4
	;; [unrolled: 1-line block ×4, first 2 shown]
	ds_write_b128 v30, v[2:5] offset:16
	v_perm_b32 v5, v29, v28, s4
	v_perm_b32 v4, v27, v26, s4
	;; [unrolled: 1-line block ×4, first 2 shown]
	s_movk_i32 s4, 0xffd2
	ds_write_b128 v30, v[2:5] offset:32
	v_mov_b32_e32 v1, 0
	v_mad_i32_i24 v2, v0, s4, v30
	s_waitcnt lgkmcnt(0)
	s_barrier
	ds_read_u16 v6, v2
	ds_read_u16 v7, v2 offset:512
	ds_read_u16 v8, v2 offset:1024
	;; [unrolled: 1-line block ×23, first 2 shown]
	v_lshlrev_b32_e32 v2, 1, v0
	v_mov_b32_e32 v3, v1
	v_lshl_add_u64 v[4:5], s[0:1], 0, v[2:3]
	s_movk_i32 s4, 0x1000
	s_waitcnt lgkmcnt(14)
	global_store_short v2, v6, s[0:1]
	global_store_short v2, v7, s[0:1] offset:512
	global_store_short v2, v8, s[0:1] offset:1024
	;; [unrolled: 1-line block ×7, first 2 shown]
	v_add_co_u32_e32 v2, vcc, s4, v4
	s_or_b64 s[2:3], s[2:3], exec
	s_nop 0
	v_addc_co_u32_e32 v3, vcc, 0, v5, vcc
	global_store_short v[2:3], v14, off
	global_store_short v[2:3], v15, off offset:512
	s_waitcnt lgkmcnt(13)
	global_store_short v[2:3], v16, off offset:1024
	s_waitcnt lgkmcnt(12)
	;; [unrolled: 2-line block ×6, first 2 shown]
	global_store_short v[2:3], v21, off offset:3584
	v_add_co_u32_e32 v2, vcc, 0x2000, v4
	s_nop 1
	v_addc_co_u32_e32 v3, vcc, 0, v5, vcc
	s_waitcnt lgkmcnt(7)
	global_store_short v[2:3], v22, off
	s_waitcnt lgkmcnt(6)
	global_store_short v[2:3], v23, off offset:512
	s_waitcnt lgkmcnt(5)
	global_store_short v[2:3], v24, off offset:1024
	s_waitcnt lgkmcnt(4)
	global_store_short v[2:3], v25, off offset:1536
	s_waitcnt lgkmcnt(3)
	global_store_short v[2:3], v26, off offset:2048
	s_waitcnt lgkmcnt(2)
	global_store_short v[2:3], v27, off offset:2560
	s_waitcnt lgkmcnt(1)
	global_store_short v[2:3], v28, off offset:3072
.LBB52_1101:
	s_and_saveexec_b64 s[4:5], s[2:3]
	s_cbranch_execz .LBB52_1103
; %bb.1102:
	v_lshl_add_u64 v[0:1], v[0:1], 1, s[0:1]
	v_add_co_u32_e32 v0, vcc, 0x2000, v0
	s_nop 1
	v_addc_co_u32_e32 v1, vcc, 0, v1, vcc
	s_waitcnt lgkmcnt(0)
	global_store_short v[0:1], v31, off offset:3584
	s_endpgm
.LBB52_1103:
	s_endpgm
	.section	.rodata,"a",@progbits
	.p2align	6, 0x0
	.amdhsa_kernel _ZN7rocprim6detail25device_scan_by_key_kernelILNS0_25lookback_scan_determinismE0ELb0ENS0_26wrapped_scan_by_key_configINS_14default_configEi12hip_bfloat16EEPiN6hipcub22TransformInputIteratorIS5_NS8_6CastOpIS5_EEPS5_lEESC_S5_NS8_8EqualityENS8_3SumENS0_19lookback_scan_stateINS_5tupleIJS5_bEEELb0ELb1EEES5_EEvT2_T3_T4_T5_T6_T7_T8_mmmPKNSH_IJT9_bEEE
		.amdhsa_group_segment_fixed_size 26624
		.amdhsa_private_segment_fixed_size 0
		.amdhsa_kernarg_size 80
		.amdhsa_user_sgpr_count 2
		.amdhsa_user_sgpr_dispatch_ptr 0
		.amdhsa_user_sgpr_queue_ptr 0
		.amdhsa_user_sgpr_kernarg_segment_ptr 1
		.amdhsa_user_sgpr_dispatch_id 0
		.amdhsa_user_sgpr_kernarg_preload_length 0
		.amdhsa_user_sgpr_kernarg_preload_offset 0
		.amdhsa_user_sgpr_private_segment_size 0
		.amdhsa_uses_dynamic_stack 0
		.amdhsa_enable_private_segment 0
		.amdhsa_system_sgpr_workgroup_id_x 1
		.amdhsa_system_sgpr_workgroup_id_y 0
		.amdhsa_system_sgpr_workgroup_id_z 0
		.amdhsa_system_sgpr_workgroup_info 0
		.amdhsa_system_vgpr_workitem_id 0
		.amdhsa_next_free_vgpr 76
		.amdhsa_next_free_sgpr 76
		.amdhsa_accum_offset 76
		.amdhsa_reserve_vcc 1
		.amdhsa_float_round_mode_32 0
		.amdhsa_float_round_mode_16_64 0
		.amdhsa_float_denorm_mode_32 3
		.amdhsa_float_denorm_mode_16_64 3
		.amdhsa_dx10_clamp 1
		.amdhsa_ieee_mode 1
		.amdhsa_fp16_overflow 0
		.amdhsa_tg_split 0
		.amdhsa_exception_fp_ieee_invalid_op 0
		.amdhsa_exception_fp_denorm_src 0
		.amdhsa_exception_fp_ieee_div_zero 0
		.amdhsa_exception_fp_ieee_overflow 0
		.amdhsa_exception_fp_ieee_underflow 0
		.amdhsa_exception_fp_ieee_inexact 0
		.amdhsa_exception_int_div_zero 0
	.end_amdhsa_kernel
	.section	.text._ZN7rocprim6detail25device_scan_by_key_kernelILNS0_25lookback_scan_determinismE0ELb0ENS0_26wrapped_scan_by_key_configINS_14default_configEi12hip_bfloat16EEPiN6hipcub22TransformInputIteratorIS5_NS8_6CastOpIS5_EEPS5_lEESC_S5_NS8_8EqualityENS8_3SumENS0_19lookback_scan_stateINS_5tupleIJS5_bEEELb0ELb1EEES5_EEvT2_T3_T4_T5_T6_T7_T8_mmmPKNSH_IJT9_bEEE,"axG",@progbits,_ZN7rocprim6detail25device_scan_by_key_kernelILNS0_25lookback_scan_determinismE0ELb0ENS0_26wrapped_scan_by_key_configINS_14default_configEi12hip_bfloat16EEPiN6hipcub22TransformInputIteratorIS5_NS8_6CastOpIS5_EEPS5_lEESC_S5_NS8_8EqualityENS8_3SumENS0_19lookback_scan_stateINS_5tupleIJS5_bEEELb0ELb1EEES5_EEvT2_T3_T4_T5_T6_T7_T8_mmmPKNSH_IJT9_bEEE,comdat
.Lfunc_end52:
	.size	_ZN7rocprim6detail25device_scan_by_key_kernelILNS0_25lookback_scan_determinismE0ELb0ENS0_26wrapped_scan_by_key_configINS_14default_configEi12hip_bfloat16EEPiN6hipcub22TransformInputIteratorIS5_NS8_6CastOpIS5_EEPS5_lEESC_S5_NS8_8EqualityENS8_3SumENS0_19lookback_scan_stateINS_5tupleIJS5_bEEELb0ELb1EEES5_EEvT2_T3_T4_T5_T6_T7_T8_mmmPKNSH_IJT9_bEEE, .Lfunc_end52-_ZN7rocprim6detail25device_scan_by_key_kernelILNS0_25lookback_scan_determinismE0ELb0ENS0_26wrapped_scan_by_key_configINS_14default_configEi12hip_bfloat16EEPiN6hipcub22TransformInputIteratorIS5_NS8_6CastOpIS5_EEPS5_lEESC_S5_NS8_8EqualityENS8_3SumENS0_19lookback_scan_stateINS_5tupleIJS5_bEEELb0ELb1EEES5_EEvT2_T3_T4_T5_T6_T7_T8_mmmPKNSH_IJT9_bEEE
                                        ; -- End function
	.section	.AMDGPU.csdata,"",@progbits
; Kernel info:
; codeLenInByte = 31280
; NumSgprs: 82
; NumVgprs: 76
; NumAgprs: 0
; TotalNumVgprs: 76
; ScratchSize: 0
; MemoryBound: 0
; FloatMode: 240
; IeeeMode: 1
; LDSByteSize: 26624 bytes/workgroup (compile time only)
; SGPRBlocks: 10
; VGPRBlocks: 9
; NumSGPRsForWavesPerEU: 82
; NumVGPRsForWavesPerEU: 76
; AccumOffset: 76
; Occupancy: 2
; WaveLimiterHint : 1
; COMPUTE_PGM_RSRC2:SCRATCH_EN: 0
; COMPUTE_PGM_RSRC2:USER_SGPR: 2
; COMPUTE_PGM_RSRC2:TRAP_HANDLER: 0
; COMPUTE_PGM_RSRC2:TGID_X_EN: 1
; COMPUTE_PGM_RSRC2:TGID_Y_EN: 0
; COMPUTE_PGM_RSRC2:TGID_Z_EN: 0
; COMPUTE_PGM_RSRC2:TIDIG_COMP_CNT: 0
; COMPUTE_PGM_RSRC3_GFX90A:ACCUM_OFFSET: 18
; COMPUTE_PGM_RSRC3_GFX90A:TG_SPLIT: 0
	.section	.text._ZN7rocprim6detail25device_scan_by_key_kernelILNS0_25lookback_scan_determinismE0ELb0ENS0_26wrapped_scan_by_key_configINS_14default_configEi12hip_bfloat16EEPiN6hipcub22TransformInputIteratorIS5_NS8_6CastOpIS5_EEPS5_lEESC_S5_NS8_8EqualityENS8_3MaxENS0_19lookback_scan_stateINS_5tupleIJS5_bEEELb1ELb1EEES5_EEvT2_T3_T4_T5_T6_T7_T8_mmmPKNSH_IJT9_bEEE,"axG",@progbits,_ZN7rocprim6detail25device_scan_by_key_kernelILNS0_25lookback_scan_determinismE0ELb0ENS0_26wrapped_scan_by_key_configINS_14default_configEi12hip_bfloat16EEPiN6hipcub22TransformInputIteratorIS5_NS8_6CastOpIS5_EEPS5_lEESC_S5_NS8_8EqualityENS8_3MaxENS0_19lookback_scan_stateINS_5tupleIJS5_bEEELb1ELb1EEES5_EEvT2_T3_T4_T5_T6_T7_T8_mmmPKNSH_IJT9_bEEE,comdat
	.protected	_ZN7rocprim6detail25device_scan_by_key_kernelILNS0_25lookback_scan_determinismE0ELb0ENS0_26wrapped_scan_by_key_configINS_14default_configEi12hip_bfloat16EEPiN6hipcub22TransformInputIteratorIS5_NS8_6CastOpIS5_EEPS5_lEESC_S5_NS8_8EqualityENS8_3MaxENS0_19lookback_scan_stateINS_5tupleIJS5_bEEELb1ELb1EEES5_EEvT2_T3_T4_T5_T6_T7_T8_mmmPKNSH_IJT9_bEEE ; -- Begin function _ZN7rocprim6detail25device_scan_by_key_kernelILNS0_25lookback_scan_determinismE0ELb0ENS0_26wrapped_scan_by_key_configINS_14default_configEi12hip_bfloat16EEPiN6hipcub22TransformInputIteratorIS5_NS8_6CastOpIS5_EEPS5_lEESC_S5_NS8_8EqualityENS8_3MaxENS0_19lookback_scan_stateINS_5tupleIJS5_bEEELb1ELb1EEES5_EEvT2_T3_T4_T5_T6_T7_T8_mmmPKNSH_IJT9_bEEE
	.globl	_ZN7rocprim6detail25device_scan_by_key_kernelILNS0_25lookback_scan_determinismE0ELb0ENS0_26wrapped_scan_by_key_configINS_14default_configEi12hip_bfloat16EEPiN6hipcub22TransformInputIteratorIS5_NS8_6CastOpIS5_EEPS5_lEESC_S5_NS8_8EqualityENS8_3MaxENS0_19lookback_scan_stateINS_5tupleIJS5_bEEELb1ELb1EEES5_EEvT2_T3_T4_T5_T6_T7_T8_mmmPKNSH_IJT9_bEEE
	.p2align	8
	.type	_ZN7rocprim6detail25device_scan_by_key_kernelILNS0_25lookback_scan_determinismE0ELb0ENS0_26wrapped_scan_by_key_configINS_14default_configEi12hip_bfloat16EEPiN6hipcub22TransformInputIteratorIS5_NS8_6CastOpIS5_EEPS5_lEESC_S5_NS8_8EqualityENS8_3MaxENS0_19lookback_scan_stateINS_5tupleIJS5_bEEELb1ELb1EEES5_EEvT2_T3_T4_T5_T6_T7_T8_mmmPKNSH_IJT9_bEEE,@function
_ZN7rocprim6detail25device_scan_by_key_kernelILNS0_25lookback_scan_determinismE0ELb0ENS0_26wrapped_scan_by_key_configINS_14default_configEi12hip_bfloat16EEPiN6hipcub22TransformInputIteratorIS5_NS8_6CastOpIS5_EEPS5_lEESC_S5_NS8_8EqualityENS8_3MaxENS0_19lookback_scan_stateINS_5tupleIJS5_bEEELb1ELb1EEES5_EEvT2_T3_T4_T5_T6_T7_T8_mmmPKNSH_IJT9_bEEE: ; @_ZN7rocprim6detail25device_scan_by_key_kernelILNS0_25lookback_scan_determinismE0ELb0ENS0_26wrapped_scan_by_key_configINS_14default_configEi12hip_bfloat16EEPiN6hipcub22TransformInputIteratorIS5_NS8_6CastOpIS5_EEPS5_lEESC_S5_NS8_8EqualityENS8_3MaxENS0_19lookback_scan_stateINS_5tupleIJS5_bEEELb1ELb1EEES5_EEvT2_T3_T4_T5_T6_T7_T8_mmmPKNSH_IJT9_bEEE
; %bb.0:
	s_endpgm
	.section	.rodata,"a",@progbits
	.p2align	6, 0x0
	.amdhsa_kernel _ZN7rocprim6detail25device_scan_by_key_kernelILNS0_25lookback_scan_determinismE0ELb0ENS0_26wrapped_scan_by_key_configINS_14default_configEi12hip_bfloat16EEPiN6hipcub22TransformInputIteratorIS5_NS8_6CastOpIS5_EEPS5_lEESC_S5_NS8_8EqualityENS8_3MaxENS0_19lookback_scan_stateINS_5tupleIJS5_bEEELb1ELb1EEES5_EEvT2_T3_T4_T5_T6_T7_T8_mmmPKNSH_IJT9_bEEE
		.amdhsa_group_segment_fixed_size 0
		.amdhsa_private_segment_fixed_size 0
		.amdhsa_kernarg_size 80
		.amdhsa_user_sgpr_count 2
		.amdhsa_user_sgpr_dispatch_ptr 0
		.amdhsa_user_sgpr_queue_ptr 0
		.amdhsa_user_sgpr_kernarg_segment_ptr 1
		.amdhsa_user_sgpr_dispatch_id 0
		.amdhsa_user_sgpr_kernarg_preload_length 0
		.amdhsa_user_sgpr_kernarg_preload_offset 0
		.amdhsa_user_sgpr_private_segment_size 0
		.amdhsa_uses_dynamic_stack 0
		.amdhsa_enable_private_segment 0
		.amdhsa_system_sgpr_workgroup_id_x 1
		.amdhsa_system_sgpr_workgroup_id_y 0
		.amdhsa_system_sgpr_workgroup_id_z 0
		.amdhsa_system_sgpr_workgroup_info 0
		.amdhsa_system_vgpr_workitem_id 0
		.amdhsa_next_free_vgpr 1
		.amdhsa_next_free_sgpr 0
		.amdhsa_accum_offset 4
		.amdhsa_reserve_vcc 0
		.amdhsa_float_round_mode_32 0
		.amdhsa_float_round_mode_16_64 0
		.amdhsa_float_denorm_mode_32 3
		.amdhsa_float_denorm_mode_16_64 3
		.amdhsa_dx10_clamp 1
		.amdhsa_ieee_mode 1
		.amdhsa_fp16_overflow 0
		.amdhsa_tg_split 0
		.amdhsa_exception_fp_ieee_invalid_op 0
		.amdhsa_exception_fp_denorm_src 0
		.amdhsa_exception_fp_ieee_div_zero 0
		.amdhsa_exception_fp_ieee_overflow 0
		.amdhsa_exception_fp_ieee_underflow 0
		.amdhsa_exception_fp_ieee_inexact 0
		.amdhsa_exception_int_div_zero 0
	.end_amdhsa_kernel
	.section	.text._ZN7rocprim6detail25device_scan_by_key_kernelILNS0_25lookback_scan_determinismE0ELb0ENS0_26wrapped_scan_by_key_configINS_14default_configEi12hip_bfloat16EEPiN6hipcub22TransformInputIteratorIS5_NS8_6CastOpIS5_EEPS5_lEESC_S5_NS8_8EqualityENS8_3MaxENS0_19lookback_scan_stateINS_5tupleIJS5_bEEELb1ELb1EEES5_EEvT2_T3_T4_T5_T6_T7_T8_mmmPKNSH_IJT9_bEEE,"axG",@progbits,_ZN7rocprim6detail25device_scan_by_key_kernelILNS0_25lookback_scan_determinismE0ELb0ENS0_26wrapped_scan_by_key_configINS_14default_configEi12hip_bfloat16EEPiN6hipcub22TransformInputIteratorIS5_NS8_6CastOpIS5_EEPS5_lEESC_S5_NS8_8EqualityENS8_3MaxENS0_19lookback_scan_stateINS_5tupleIJS5_bEEELb1ELb1EEES5_EEvT2_T3_T4_T5_T6_T7_T8_mmmPKNSH_IJT9_bEEE,comdat
.Lfunc_end53:
	.size	_ZN7rocprim6detail25device_scan_by_key_kernelILNS0_25lookback_scan_determinismE0ELb0ENS0_26wrapped_scan_by_key_configINS_14default_configEi12hip_bfloat16EEPiN6hipcub22TransformInputIteratorIS5_NS8_6CastOpIS5_EEPS5_lEESC_S5_NS8_8EqualityENS8_3MaxENS0_19lookback_scan_stateINS_5tupleIJS5_bEEELb1ELb1EEES5_EEvT2_T3_T4_T5_T6_T7_T8_mmmPKNSH_IJT9_bEEE, .Lfunc_end53-_ZN7rocprim6detail25device_scan_by_key_kernelILNS0_25lookback_scan_determinismE0ELb0ENS0_26wrapped_scan_by_key_configINS_14default_configEi12hip_bfloat16EEPiN6hipcub22TransformInputIteratorIS5_NS8_6CastOpIS5_EEPS5_lEESC_S5_NS8_8EqualityENS8_3MaxENS0_19lookback_scan_stateINS_5tupleIJS5_bEEELb1ELb1EEES5_EEvT2_T3_T4_T5_T6_T7_T8_mmmPKNSH_IJT9_bEEE
                                        ; -- End function
	.section	.AMDGPU.csdata,"",@progbits
; Kernel info:
; codeLenInByte = 4
; NumSgprs: 6
; NumVgprs: 0
; NumAgprs: 0
; TotalNumVgprs: 0
; ScratchSize: 0
; MemoryBound: 0
; FloatMode: 240
; IeeeMode: 1
; LDSByteSize: 0 bytes/workgroup (compile time only)
; SGPRBlocks: 0
; VGPRBlocks: 0
; NumSGPRsForWavesPerEU: 6
; NumVGPRsForWavesPerEU: 1
; AccumOffset: 4
; Occupancy: 8
; WaveLimiterHint : 0
; COMPUTE_PGM_RSRC2:SCRATCH_EN: 0
; COMPUTE_PGM_RSRC2:USER_SGPR: 2
; COMPUTE_PGM_RSRC2:TRAP_HANDLER: 0
; COMPUTE_PGM_RSRC2:TGID_X_EN: 1
; COMPUTE_PGM_RSRC2:TGID_Y_EN: 0
; COMPUTE_PGM_RSRC2:TGID_Z_EN: 0
; COMPUTE_PGM_RSRC2:TIDIG_COMP_CNT: 0
; COMPUTE_PGM_RSRC3_GFX90A:ACCUM_OFFSET: 0
; COMPUTE_PGM_RSRC3_GFX90A:TG_SPLIT: 0
	.section	.text._ZN7rocprim6detail25device_scan_by_key_kernelILNS0_25lookback_scan_determinismE0ELb0ENS0_26wrapped_scan_by_key_configINS_14default_configEi12hip_bfloat16EEPiN6hipcub22TransformInputIteratorIS5_NS8_6CastOpIS5_EEPS5_lEESC_S5_NS8_8EqualityENS8_3MaxENS0_19lookback_scan_stateINS_5tupleIJS5_bEEELb0ELb1EEES5_EEvT2_T3_T4_T5_T6_T7_T8_mmmPKNSH_IJT9_bEEE,"axG",@progbits,_ZN7rocprim6detail25device_scan_by_key_kernelILNS0_25lookback_scan_determinismE0ELb0ENS0_26wrapped_scan_by_key_configINS_14default_configEi12hip_bfloat16EEPiN6hipcub22TransformInputIteratorIS5_NS8_6CastOpIS5_EEPS5_lEESC_S5_NS8_8EqualityENS8_3MaxENS0_19lookback_scan_stateINS_5tupleIJS5_bEEELb0ELb1EEES5_EEvT2_T3_T4_T5_T6_T7_T8_mmmPKNSH_IJT9_bEEE,comdat
	.protected	_ZN7rocprim6detail25device_scan_by_key_kernelILNS0_25lookback_scan_determinismE0ELb0ENS0_26wrapped_scan_by_key_configINS_14default_configEi12hip_bfloat16EEPiN6hipcub22TransformInputIteratorIS5_NS8_6CastOpIS5_EEPS5_lEESC_S5_NS8_8EqualityENS8_3MaxENS0_19lookback_scan_stateINS_5tupleIJS5_bEEELb0ELb1EEES5_EEvT2_T3_T4_T5_T6_T7_T8_mmmPKNSH_IJT9_bEEE ; -- Begin function _ZN7rocprim6detail25device_scan_by_key_kernelILNS0_25lookback_scan_determinismE0ELb0ENS0_26wrapped_scan_by_key_configINS_14default_configEi12hip_bfloat16EEPiN6hipcub22TransformInputIteratorIS5_NS8_6CastOpIS5_EEPS5_lEESC_S5_NS8_8EqualityENS8_3MaxENS0_19lookback_scan_stateINS_5tupleIJS5_bEEELb0ELb1EEES5_EEvT2_T3_T4_T5_T6_T7_T8_mmmPKNSH_IJT9_bEEE
	.globl	_ZN7rocprim6detail25device_scan_by_key_kernelILNS0_25lookback_scan_determinismE0ELb0ENS0_26wrapped_scan_by_key_configINS_14default_configEi12hip_bfloat16EEPiN6hipcub22TransformInputIteratorIS5_NS8_6CastOpIS5_EEPS5_lEESC_S5_NS8_8EqualityENS8_3MaxENS0_19lookback_scan_stateINS_5tupleIJS5_bEEELb0ELb1EEES5_EEvT2_T3_T4_T5_T6_T7_T8_mmmPKNSH_IJT9_bEEE
	.p2align	8
	.type	_ZN7rocprim6detail25device_scan_by_key_kernelILNS0_25lookback_scan_determinismE0ELb0ENS0_26wrapped_scan_by_key_configINS_14default_configEi12hip_bfloat16EEPiN6hipcub22TransformInputIteratorIS5_NS8_6CastOpIS5_EEPS5_lEESC_S5_NS8_8EqualityENS8_3MaxENS0_19lookback_scan_stateINS_5tupleIJS5_bEEELb0ELb1EEES5_EEvT2_T3_T4_T5_T6_T7_T8_mmmPKNSH_IJT9_bEEE,@function
_ZN7rocprim6detail25device_scan_by_key_kernelILNS0_25lookback_scan_determinismE0ELb0ENS0_26wrapped_scan_by_key_configINS_14default_configEi12hip_bfloat16EEPiN6hipcub22TransformInputIteratorIS5_NS8_6CastOpIS5_EEPS5_lEESC_S5_NS8_8EqualityENS8_3MaxENS0_19lookback_scan_stateINS_5tupleIJS5_bEEELb0ELb1EEES5_EEvT2_T3_T4_T5_T6_T7_T8_mmmPKNSH_IJT9_bEEE: ; @_ZN7rocprim6detail25device_scan_by_key_kernelILNS0_25lookback_scan_determinismE0ELb0ENS0_26wrapped_scan_by_key_configINS_14default_configEi12hip_bfloat16EEPiN6hipcub22TransformInputIteratorIS5_NS8_6CastOpIS5_EEPS5_lEESC_S5_NS8_8EqualityENS8_3MaxENS0_19lookback_scan_stateINS_5tupleIJS5_bEEELb0ELb1EEES5_EEvT2_T3_T4_T5_T6_T7_T8_mmmPKNSH_IJT9_bEEE
; %bb.0:
	s_load_dwordx4 s[4:7], s[0:1], 0x0
	s_load_dwordx8 s[60:67], s[0:1], 0x28
	s_load_dwordx2 s[54:55], s[0:1], 0x48
	s_mul_i32 s8, s2, 0x1800
	s_mov_b32 s9, 0
	s_lshl_b64 s[10:11], s[8:9], 2
	s_waitcnt lgkmcnt(0)
	s_add_u32 s70, s4, s10
	s_addc_u32 s71, s5, s11
	s_lshl_b64 s[68:69], s[8:9], 1
	s_add_u32 s58, s6, s68
	s_addc_u32 s59, s7, s69
	s_add_u32 s4, s2, s64
	s_addc_u32 s5, 0, s65
	s_add_u32 s6, s66, -1
	s_addc_u32 s7, s67, -1
	v_mov_b64_e32 v[2:3], s[6:7]
	v_cmp_ge_u64_e64 s[56:57], s[4:5], v[2:3]
	s_mov_b64 s[28:29], -1
	s_and_b64 vcc, exec, s[56:57]
	s_mul_i32 s33, s6, 0xffffe800
	s_cbranch_vccz .LBB54_124
; %bb.1:
	s_load_dword s63, s[70:71], 0x0
	s_add_i32 s3, s33, s62
	v_mov_b32_e32 v3, 0
	v_lshlrev_b32_e32 v2, 2, v0
	v_lshl_add_u64 v[4:5], s[70:71], 0, v[2:3]
	v_cmp_gt_u32_e64 s[4:5], s3, v0
	s_waitcnt lgkmcnt(0)
	v_mov_b32_e32 v1, s63
	s_and_saveexec_b64 s[6:7], s[4:5]
	s_cbranch_execz .LBB54_3
; %bb.2:
	global_load_dword v1, v[4:5], off
.LBB54_3:
	s_or_b64 exec, exec, s[6:7]
	v_or_b32_e32 v3, 0x100, v0
	v_cmp_gt_u32_e64 s[6:7], s3, v3
	v_mov_b32_e32 v3, s63
	s_and_saveexec_b64 s[8:9], s[6:7]
	s_cbranch_execz .LBB54_5
; %bb.4:
	global_load_dword v3, v[4:5], off offset:1024
.LBB54_5:
	s_or_b64 exec, exec, s[8:9]
	v_or_b32_e32 v6, 0x200, v0
	v_cmp_gt_u32_e64 s[8:9], s3, v6
	v_mov_b32_e32 v6, s63
	s_and_saveexec_b64 s[10:11], s[8:9]
	s_cbranch_execz .LBB54_7
; %bb.6:
	global_load_dword v6, v[4:5], off offset:2048
.LBB54_7:
	;; [unrolled: 9-line block ×3, first 2 shown]
	s_or_b64 exec, exec, s[12:13]
	v_or_b32_e32 v8, 0x400, v0
	v_cmp_gt_u32_e64 s[12:13], s3, v8
	v_mov_b32_e32 v8, s63
	s_and_saveexec_b64 s[14:15], s[12:13]
	s_cbranch_execz .LBB54_11
; %bb.10:
	v_add_co_u32_e32 v8, vcc, 0x1000, v4
	s_nop 1
	v_addc_co_u32_e32 v9, vcc, 0, v5, vcc
	global_load_dword v8, v[8:9], off
.LBB54_11:
	s_or_b64 exec, exec, s[14:15]
	v_or_b32_e32 v9, 0x500, v0
	v_cmp_gt_u32_e64 s[14:15], s3, v9
	v_mov_b32_e32 v9, s63
	s_and_saveexec_b64 s[16:17], s[14:15]
	s_cbranch_execz .LBB54_13
; %bb.12:
	v_add_co_u32_e32 v10, vcc, 0x1000, v4
	s_nop 1
	v_addc_co_u32_e32 v11, vcc, 0, v5, vcc
	global_load_dword v9, v[10:11], off offset:1024
.LBB54_13:
	s_or_b64 exec, exec, s[16:17]
	v_or_b32_e32 v10, 0x600, v0
	v_cmp_gt_u32_e64 s[16:17], s3, v10
	v_mov_b32_e32 v10, s63
	s_and_saveexec_b64 s[18:19], s[16:17]
	s_cbranch_execz .LBB54_15
; %bb.14:
	v_add_co_u32_e32 v10, vcc, 0x1000, v4
	s_nop 1
	v_addc_co_u32_e32 v11, vcc, 0, v5, vcc
	global_load_dword v10, v[10:11], off offset:2048
.LBB54_15:
	s_or_b64 exec, exec, s[18:19]
	v_or_b32_e32 v11, 0x700, v0
	v_cmp_gt_u32_e64 s[18:19], s3, v11
	v_mov_b32_e32 v11, s63
	s_and_saveexec_b64 s[20:21], s[18:19]
	s_cbranch_execz .LBB54_17
; %bb.16:
	v_add_co_u32_e32 v12, vcc, 0x1000, v4
	s_nop 1
	v_addc_co_u32_e32 v13, vcc, 0, v5, vcc
	global_load_dword v11, v[12:13], off offset:3072
.LBB54_17:
	s_or_b64 exec, exec, s[20:21]
	v_or_b32_e32 v12, 0x800, v0
	v_cmp_gt_u32_e64 s[20:21], s3, v12
	v_mov_b32_e32 v12, s63
	s_and_saveexec_b64 s[22:23], s[20:21]
	s_cbranch_execz .LBB54_19
; %bb.18:
	v_add_co_u32_e32 v12, vcc, 0x2000, v4
	s_nop 1
	v_addc_co_u32_e32 v13, vcc, 0, v5, vcc
	global_load_dword v12, v[12:13], off
.LBB54_19:
	s_or_b64 exec, exec, s[22:23]
	v_or_b32_e32 v13, 0x900, v0
	v_cmp_gt_u32_e64 s[22:23], s3, v13
	v_mov_b32_e32 v13, s63
	s_and_saveexec_b64 s[24:25], s[22:23]
	s_cbranch_execz .LBB54_21
; %bb.20:
	v_add_co_u32_e32 v14, vcc, 0x2000, v4
	s_nop 1
	v_addc_co_u32_e32 v15, vcc, 0, v5, vcc
	global_load_dword v13, v[14:15], off offset:1024
.LBB54_21:
	s_or_b64 exec, exec, s[24:25]
	v_or_b32_e32 v14, 0xa00, v0
	v_cmp_gt_u32_e64 s[24:25], s3, v14
	v_mov_b32_e32 v14, s63
	s_and_saveexec_b64 s[26:27], s[24:25]
	s_cbranch_execz .LBB54_23
; %bb.22:
	v_add_co_u32_e32 v14, vcc, 0x2000, v4
	s_nop 1
	v_addc_co_u32_e32 v15, vcc, 0, v5, vcc
	global_load_dword v14, v[14:15], off offset:2048
.LBB54_23:
	s_or_b64 exec, exec, s[26:27]
	v_or_b32_e32 v15, 0xb00, v0
	v_cmp_gt_u32_e64 s[26:27], s3, v15
	v_mov_b32_e32 v15, s63
	s_and_saveexec_b64 s[28:29], s[26:27]
	s_cbranch_execz .LBB54_25
; %bb.24:
	v_add_co_u32_e32 v16, vcc, 0x2000, v4
	s_nop 1
	v_addc_co_u32_e32 v17, vcc, 0, v5, vcc
	global_load_dword v15, v[16:17], off offset:3072
.LBB54_25:
	;; [unrolled: 48-line block ×5, first 2 shown]
	s_or_b64 exec, exec, s[66:67]
	s_sub_u32 s66, 0, s2
	s_subb_u32 s67, 0, 0
	s_cmp_eq_u64 s[66:67], s[64:65]
	s_movk_i32 s63, 0x5c
	s_cselect_b32 s66, 0, -4
	s_waitcnt vmcnt(0)
	ds_write2st64_b32 v2, v1, v3 offset1:4
	ds_write2st64_b32 v2, v6, v7 offset0:8 offset1:12
	ds_write2st64_b32 v2, v8, v9 offset0:16 offset1:20
	;; [unrolled: 1-line block ×11, first 2 shown]
	v_mad_u32_u24 v1, v0, s63, v2
	s_cselect_b32 s63, 0, -1
	s_add_u32 s66, s70, s66
	s_addc_u32 s67, s71, s63
	s_waitcnt lgkmcnt(0)
	s_barrier
	ds_read_b128 v[42:45], v1
	ds_read_b128 v[38:41], v1 offset:16
	ds_read_b128 v[34:37], v1 offset:32
	ds_read_b128 v[30:33], v1 offset:48
	ds_read_b128 v[26:29], v1 offset:64
	ds_read_b128 v[22:25], v1 offset:80
	s_load_dword s63, s[66:67], 0x0
	s_movk_i32 s66, 0xffa4
	v_mad_i32_i24 v1, v0, s66, v1
	v_cmp_ne_u32_e32 vcc, 0, v0
	s_waitcnt lgkmcnt(0)
	ds_write_b32 v1, v25 offset:24576
	v_mov_b32_e32 v46, s63
	s_waitcnt lgkmcnt(0)
	s_barrier
	s_and_saveexec_b64 s[66:67], vcc
	s_cbranch_execz .LBB54_51
; %bb.50:
	ds_read_b32 v46, v1 offset:24572
.LBB54_51:
	s_or_b64 exec, exec, s[66:67]
	v_lshlrev_b32_e32 v2, 1, v0
	v_mov_b32_e32 v3, 0
	v_lshl_add_u64 v[4:5], s[58:59], 0, v[2:3]
	s_waitcnt lgkmcnt(0)
	s_barrier
	s_waitcnt lgkmcnt(0)
                                        ; implicit-def: $vgpr3
	s_and_saveexec_b64 s[66:67], s[4:5]
	s_cbranch_execz .LBB54_199
; %bb.52:
	global_load_ushort v3, v[4:5], off
	s_or_b64 exec, exec, s[66:67]
                                        ; implicit-def: $vgpr6
	s_and_saveexec_b64 s[4:5], s[6:7]
	s_cbranch_execnz .LBB54_200
.LBB54_53:
	s_or_b64 exec, exec, s[4:5]
                                        ; implicit-def: $vgpr7
	s_and_saveexec_b64 s[4:5], s[8:9]
	s_cbranch_execz .LBB54_201
.LBB54_54:
	global_load_ushort v7, v[4:5], off offset:1024
	s_or_b64 exec, exec, s[4:5]
                                        ; implicit-def: $vgpr8
	s_and_saveexec_b64 s[4:5], s[10:11]
	s_cbranch_execnz .LBB54_202
.LBB54_55:
	s_or_b64 exec, exec, s[4:5]
                                        ; implicit-def: $vgpr9
	s_and_saveexec_b64 s[4:5], s[12:13]
	s_cbranch_execz .LBB54_203
.LBB54_56:
	global_load_ushort v9, v[4:5], off offset:2048
	s_or_b64 exec, exec, s[4:5]
                                        ; implicit-def: $vgpr10
	s_and_saveexec_b64 s[4:5], s[14:15]
	s_cbranch_execnz .LBB54_204
.LBB54_57:
	s_or_b64 exec, exec, s[4:5]
                                        ; implicit-def: $vgpr11
	s_and_saveexec_b64 s[4:5], s[16:17]
	s_cbranch_execz .LBB54_205
.LBB54_58:
	global_load_ushort v11, v[4:5], off offset:3072
	s_or_b64 exec, exec, s[4:5]
                                        ; implicit-def: $vgpr12
	s_and_saveexec_b64 s[4:5], s[18:19]
	s_cbranch_execnz .LBB54_206
.LBB54_59:
	s_or_b64 exec, exec, s[4:5]
                                        ; implicit-def: $vgpr13
	s_and_saveexec_b64 s[4:5], s[20:21]
	s_cbranch_execz .LBB54_207
.LBB54_60:
	v_add_co_u32_e32 v14, vcc, 0x1000, v4
	s_nop 1
	v_addc_co_u32_e32 v15, vcc, 0, v5, vcc
	global_load_ushort v13, v[14:15], off
	s_or_b64 exec, exec, s[4:5]
                                        ; implicit-def: $vgpr14
	s_and_saveexec_b64 s[4:5], s[22:23]
	s_cbranch_execnz .LBB54_208
.LBB54_61:
	s_or_b64 exec, exec, s[4:5]
                                        ; implicit-def: $vgpr15
	s_and_saveexec_b64 s[4:5], s[24:25]
	s_cbranch_execz .LBB54_209
.LBB54_62:
	v_add_co_u32_e32 v16, vcc, 0x1000, v4
	s_nop 1
	v_addc_co_u32_e32 v17, vcc, 0, v5, vcc
	global_load_ushort v15, v[16:17], off offset:1024
	s_or_b64 exec, exec, s[4:5]
                                        ; implicit-def: $vgpr16
	s_and_saveexec_b64 s[4:5], s[26:27]
	s_cbranch_execnz .LBB54_210
.LBB54_63:
	s_or_b64 exec, exec, s[4:5]
                                        ; implicit-def: $vgpr17
	s_and_saveexec_b64 s[4:5], s[28:29]
	s_cbranch_execz .LBB54_211
.LBB54_64:
	v_add_co_u32_e32 v18, vcc, 0x1000, v4
	s_nop 1
	v_addc_co_u32_e32 v19, vcc, 0, v5, vcc
	global_load_ushort v17, v[18:19], off offset:2048
	s_or_b64 exec, exec, s[4:5]
                                        ; implicit-def: $vgpr18
	s_and_saveexec_b64 s[4:5], s[30:31]
	s_cbranch_execnz .LBB54_212
.LBB54_65:
	s_or_b64 exec, exec, s[4:5]
                                        ; implicit-def: $vgpr19
	s_and_saveexec_b64 s[4:5], s[34:35]
	s_cbranch_execz .LBB54_213
.LBB54_66:
	v_add_co_u32_e32 v20, vcc, 0x1000, v4
	s_nop 1
	v_addc_co_u32_e32 v21, vcc, 0, v5, vcc
	global_load_ushort v19, v[20:21], off offset:3072
	s_or_b64 exec, exec, s[4:5]
                                        ; implicit-def: $vgpr20
	s_and_saveexec_b64 s[4:5], s[36:37]
	s_cbranch_execnz .LBB54_214
.LBB54_67:
	s_or_b64 exec, exec, s[4:5]
                                        ; implicit-def: $vgpr21
	s_and_saveexec_b64 s[4:5], s[38:39]
	s_cbranch_execz .LBB54_215
.LBB54_68:
	v_add_co_u32_e32 v48, vcc, 0x2000, v4
	s_nop 1
	v_addc_co_u32_e32 v49, vcc, 0, v5, vcc
	global_load_ushort v21, v[48:49], off
	s_or_b64 exec, exec, s[4:5]
                                        ; implicit-def: $vgpr47
	s_and_saveexec_b64 s[4:5], s[40:41]
	s_cbranch_execnz .LBB54_216
.LBB54_69:
	s_or_b64 exec, exec, s[4:5]
                                        ; implicit-def: $vgpr49
	s_and_saveexec_b64 s[4:5], s[42:43]
	s_cbranch_execz .LBB54_217
.LBB54_70:
	v_add_co_u32_e32 v48, vcc, 0x2000, v4
	s_nop 1
	v_addc_co_u32_e32 v49, vcc, 0, v5, vcc
	global_load_ushort v49, v[48:49], off offset:1024
	s_or_b64 exec, exec, s[4:5]
                                        ; implicit-def: $vgpr50
	s_and_saveexec_b64 s[4:5], s[44:45]
	s_cbranch_execnz .LBB54_218
.LBB54_71:
	s_or_b64 exec, exec, s[4:5]
                                        ; implicit-def: $vgpr51
	s_and_saveexec_b64 s[4:5], s[46:47]
	s_cbranch_execz .LBB54_219
.LBB54_72:
	v_add_co_u32_e32 v52, vcc, 0x2000, v4
	s_nop 1
	v_addc_co_u32_e32 v53, vcc, 0, v5, vcc
	global_load_ushort v51, v[52:53], off offset:2048
	s_or_b64 exec, exec, s[4:5]
                                        ; implicit-def: $vgpr52
	s_and_saveexec_b64 s[4:5], s[48:49]
	s_cbranch_execnz .LBB54_220
.LBB54_73:
	s_or_b64 exec, exec, s[4:5]
                                        ; implicit-def: $vgpr54
	s_and_saveexec_b64 s[4:5], s[50:51]
	s_cbranch_execz .LBB54_75
.LBB54_74:
	v_add_co_u32_e32 v54, vcc, 0x2000, v4
	s_nop 1
	v_addc_co_u32_e32 v55, vcc, 0, v5, vcc
	global_load_ushort v54, v[54:55], off offset:3072
.LBB54_75:
	s_or_b64 exec, exec, s[4:5]
	v_mul_u32_u24_e32 v53, 24, v0
                                        ; implicit-def: $vgpr55
	s_and_saveexec_b64 s[4:5], s[52:53]
	s_cbranch_execz .LBB54_77
; %bb.76:
	v_add_co_u32_e32 v4, vcc, 0x2000, v4
	s_nop 1
	v_addc_co_u32_e32 v5, vcc, 0, v5, vcc
	global_load_ushort v55, v[4:5], off offset:3584
.LBB54_77:
	s_or_b64 exec, exec, s[4:5]
	s_mov_b32 s8, 0
	v_sub_u32_e32 v48, v1, v2
	s_mov_b32 s9, s8
	s_mov_b32 s6, s8
	;; [unrolled: 1-line block ×3, first 2 shown]
	s_waitcnt vmcnt(0)
	ds_write_b16 v48, v3
	ds_write_b16 v48, v6 offset:512
	ds_write_b16 v48, v7 offset:1024
	;; [unrolled: 1-line block ×23, first 2 shown]
	s_mov_b32 s10, s8
	s_mov_b32 s11, s8
	;; [unrolled: 1-line block ×18, first 2 shown]
	v_mov_b64_e32 v[20:21], s[6:7]
	v_mov_b64_e32 v[2:3], s[8:9]
	v_cmp_gt_u32_e32 vcc, s3, v53
	s_mov_b64 s[28:29], 0
	v_mov_b64_e32 v[50:51], s[24:25]
	v_mov_b64_e32 v[18:19], s[4:5]
	;; [unrolled: 1-line block ×9, first 2 shown]
	v_mov_b32_e32 v1, 0
	s_mov_b64 s[12:13], 0
	s_waitcnt lgkmcnt(0)
	s_barrier
	s_waitcnt lgkmcnt(0)
                                        ; implicit-def: $sgpr6_sgpr7
                                        ; implicit-def: $vgpr52
	s_and_saveexec_b64 s[10:11], vcc
	s_cbranch_execz .LBB54_123
; %bb.78:
	v_mad_u32_u24 v1, v0, 46, v48
	ds_read_u16 v1, v1
	v_cmp_ne_u32_e32 vcc, v46, v42
	s_mov_b32 s12, 0
	v_or_b32_e32 v2, 1, v53
	v_cndmask_b32_e64 v3, 0, 1, vcc
	s_mov_b32 s13, s12
	s_mov_b32 s6, s12
	;; [unrolled: 1-line block ×3, first 2 shown]
	v_cmp_gt_u32_e32 vcc, s3, v2
	s_waitcnt lgkmcnt(0)
	v_lshl_or_b32 v50, v3, 16, v1
	v_mov_b32_e32 v51, 0
	s_mov_b32 s14, s12
	s_mov_b32 s15, s12
	;; [unrolled: 1-line block ×16, first 2 shown]
	v_mov_b64_e32 v[20:21], s[6:7]
	v_mov_b64_e32 v[2:3], s[12:13]
	s_mov_b64 s[34:35], 0
	v_mov_b64_e32 v[18:19], s[4:5]
	v_mov_b64_e32 v[4:5], s[14:15]
	;; [unrolled: 1-line block ×8, first 2 shown]
	v_mov_b32_e32 v1, v51
                                        ; implicit-def: $sgpr36_sgpr37
                                        ; implicit-def: $vgpr52
	s_and_saveexec_b64 s[30:31], vcc
	s_cbranch_execz .LBB54_122
; %bb.79:
	v_mul_u32_u24_e32 v1, 46, v0
	v_add_u32_e32 v54, v48, v1
	ds_read_b128 v[46:49], v54 offset:2
	v_or_b32_e32 v1, 2, v53
	v_cmp_ne_u32_e32 vcc, v42, v43
	v_mov_b64_e32 v[20:21], s[6:7]
	v_mov_b64_e32 v[18:19], s[4:5]
	v_cndmask_b32_e64 v2, 0, 1, vcc
	v_cmp_gt_u32_e32 vcc, s3, v1
	s_waitcnt lgkmcnt(0)
	v_and_b32_e32 v1, 0xffff, v46
	v_lshl_or_b32 v51, v2, 16, v1
	v_mov_b64_e32 v[2:3], s[12:13]
	v_mov_b64_e32 v[4:5], s[14:15]
	;; [unrolled: 1-line block ×8, first 2 shown]
	v_mov_b32_e32 v1, 0
                                        ; implicit-def: $sgpr12_sgpr13
                                        ; implicit-def: $vgpr52
	s_and_saveexec_b64 s[6:7], vcc
	s_cbranch_execz .LBB54_121
; %bb.80:
	s_mov_b32 s12, 0
	v_or_b32_e32 v2, 3, v53
	v_cmp_ne_u32_e32 vcc, v43, v44
	s_mov_b32 s13, s12
	s_mov_b32 s36, s12
	;; [unrolled: 1-line block ×3, first 2 shown]
	v_cndmask_b32_e64 v1, 0, 1, vcc
	v_cmp_gt_u32_e32 vcc, s3, v2
	s_mov_b32 s14, s12
	s_mov_b32 s15, s12
	;; [unrolled: 1-line block ×16, first 2 shown]
	v_mov_b64_e32 v[18:19], s[36:37]
	v_mov_b64_e32 v[2:3], s[12:13]
	v_alignbit_b32 v1, v1, v46, 16
	s_mov_b64 s[4:5], 0
	v_mov_b64_e32 v[20:21], s[38:39]
	v_mov_b64_e32 v[4:5], s[14:15]
	;; [unrolled: 1-line block ×8, first 2 shown]
                                        ; implicit-def: $sgpr36_sgpr37
                                        ; implicit-def: $vgpr52
	s_and_saveexec_b64 s[34:35], vcc
	s_cbranch_execz .LBB54_120
; %bb.81:
	v_cmp_ne_u32_e32 vcc, v44, v45
	v_and_b32_e32 v2, 0xffff, v47
	v_or_b32_e32 v3, 4, v53
	v_cndmask_b32_e64 v4, 0, 1, vcc
	v_lshl_or_b32 v18, v4, 16, v2
	v_cmp_gt_u32_e32 vcc, s3, v3
	v_mov_b32_e32 v20, 0
	v_mov_b64_e32 v[2:3], s[12:13]
	v_mov_b32_e32 v19, v20
	v_mov_b32_e32 v21, v20
	v_mov_b64_e32 v[4:5], s[14:15]
	v_mov_b64_e32 v[6:7], s[16:17]
	;; [unrolled: 1-line block ×7, first 2 shown]
                                        ; implicit-def: $sgpr12_sgpr13
                                        ; implicit-def: $vgpr52
	s_and_saveexec_b64 s[36:37], vcc
	s_cbranch_execz .LBB54_119
; %bb.82:
	v_cmp_ne_u32_e32 vcc, v45, v38
	s_mov_b32 s12, 0
	v_or_b32_e32 v2, 5, v53
	v_cndmask_b32_e64 v3, 0, 1, vcc
	s_mov_b32 s13, s12
	v_alignbit_b32 v19, v3, v47, 16
	v_cmp_gt_u32_e32 vcc, s3, v2
	s_mov_b32 s14, s12
	s_mov_b32 s15, s12
	;; [unrolled: 1-line block ×14, first 2 shown]
	v_mov_b64_e32 v[2:3], s[12:13]
	v_mov_b32_e32 v21, v20
	v_mov_b64_e32 v[4:5], s[14:15]
	v_mov_b64_e32 v[6:7], s[16:17]
	;; [unrolled: 1-line block ×7, first 2 shown]
                                        ; implicit-def: $sgpr40_sgpr41
                                        ; implicit-def: $vgpr52
	s_and_saveexec_b64 s[38:39], vcc
	s_cbranch_execz .LBB54_118
; %bb.83:
	v_cmp_ne_u32_e32 vcc, v38, v39
	v_and_b32_e32 v2, 0xffff, v48
	v_or_b32_e32 v3, 6, v53
	v_cndmask_b32_e64 v4, 0, 1, vcc
	v_lshl_or_b32 v20, v4, 16, v2
	v_cmp_gt_u32_e32 vcc, s3, v3
	v_mov_b64_e32 v[2:3], s[12:13]
	v_mov_b32_e32 v21, s12
	v_mov_b64_e32 v[4:5], s[14:15]
	v_mov_b64_e32 v[6:7], s[16:17]
	;; [unrolled: 1-line block ×7, first 2 shown]
                                        ; implicit-def: $sgpr12_sgpr13
                                        ; implicit-def: $vgpr52
	s_and_saveexec_b64 s[40:41], vcc
	s_cbranch_execz .LBB54_117
; %bb.84:
	v_cmp_ne_u32_e32 vcc, v39, v40
	s_mov_b32 s12, 0
	v_or_b32_e32 v2, 7, v53
	v_cndmask_b32_e64 v3, 0, 1, vcc
	s_mov_b32 s13, s12
	v_alignbit_b32 v21, v3, v48, 16
	v_cmp_gt_u32_e32 vcc, s3, v2
	s_mov_b32 s14, s12
	s_mov_b32 s15, s12
	;; [unrolled: 1-line block ×14, first 2 shown]
	v_mov_b64_e32 v[2:3], s[12:13]
	v_mov_b64_e32 v[4:5], s[14:15]
	;; [unrolled: 1-line block ×8, first 2 shown]
                                        ; implicit-def: $sgpr14_sgpr15
                                        ; implicit-def: $vgpr52
	s_and_saveexec_b64 s[12:13], vcc
	s_cbranch_execz .LBB54_116
; %bb.85:
	v_cmp_ne_u32_e32 vcc, v40, v41
	v_and_b32_e32 v2, 0xffff, v49
	v_add_u32_e32 v3, 8, v53
	v_cndmask_b32_e64 v4, 0, 1, vcc
	v_lshl_or_b32 v2, v4, 16, v2
	v_mov_b32_e32 v4, 0
	v_cmp_gt_u32_e32 vcc, s3, v3
	v_mov_b32_e32 v3, v4
	v_mov_b32_e32 v5, v4
	;; [unrolled: 1-line block ×14, first 2 shown]
                                        ; implicit-def: $sgpr16_sgpr17
                                        ; implicit-def: $vgpr52
	s_and_saveexec_b64 s[14:15], vcc
	s_cbranch_execz .LBB54_115
; %bb.86:
	v_cmp_ne_u32_e32 vcc, v41, v34
	v_add_u32_e32 v5, 9, v53
	v_mov_b32_e32 v6, v4
	v_cndmask_b32_e64 v3, 0, 1, vcc
	v_alignbit_b32 v3, v3, v49, 16
	v_cmp_gt_u32_e32 vcc, s3, v5
	v_mov_b32_e32 v5, v4
	v_mov_b32_e32 v7, v4
	;; [unrolled: 1-line block ×12, first 2 shown]
                                        ; implicit-def: $sgpr18_sgpr19
                                        ; implicit-def: $vgpr52
	s_and_saveexec_b64 s[16:17], vcc
	s_cbranch_execz .LBB54_114
; %bb.87:
	ds_read_b128 v[38:41], v54 offset:18
	v_add_u32_e32 v4, 10, v53
	v_cmp_ne_u32_e32 vcc, v34, v35
	v_mov_b32_e32 v6, 0
	v_mov_b32_e32 v7, v6
	v_cndmask_b32_e64 v5, 0, 1, vcc
	v_cmp_gt_u32_e32 vcc, s3, v4
	s_waitcnt lgkmcnt(0)
	v_and_b32_e32 v4, 0xffff, v38
	v_lshl_or_b32 v4, v5, 16, v4
	v_mov_b32_e32 v5, v6
	v_mov_b32_e32 v8, v6
	;; [unrolled: 1-line block ×11, first 2 shown]
                                        ; implicit-def: $sgpr20_sgpr21
                                        ; implicit-def: $vgpr52
	s_and_saveexec_b64 s[18:19], vcc
	s_cbranch_execz .LBB54_113
; %bb.88:
	v_cmp_ne_u32_e32 vcc, v35, v36
	v_add_u32_e32 v7, 11, v53
	v_mov_b32_e32 v8, v6
	v_cndmask_b32_e64 v5, 0, 1, vcc
	v_alignbit_b32 v5, v5, v38, 16
	v_cmp_gt_u32_e32 vcc, s3, v7
	v_mov_b32_e32 v7, v6
	v_mov_b32_e32 v9, v6
	;; [unrolled: 1-line block ×10, first 2 shown]
                                        ; implicit-def: $sgpr22_sgpr23
                                        ; implicit-def: $vgpr52
	s_and_saveexec_b64 s[20:21], vcc
	s_cbranch_execz .LBB54_112
; %bb.89:
	v_cmp_ne_u32_e32 vcc, v36, v37
	v_and_b32_e32 v6, 0xffff, v39
	v_add_u32_e32 v7, 12, v53
	v_cndmask_b32_e64 v8, 0, 1, vcc
	v_lshl_or_b32 v6, v8, 16, v6
	v_mov_b32_e32 v8, 0
	v_cmp_gt_u32_e32 vcc, s3, v7
	v_mov_b32_e32 v7, v8
	v_mov_b32_e32 v9, v8
	;; [unrolled: 1-line block ×10, first 2 shown]
                                        ; implicit-def: $sgpr24_sgpr25
                                        ; implicit-def: $vgpr52
	s_and_saveexec_b64 s[22:23], vcc
	s_cbranch_execz .LBB54_111
; %bb.90:
	v_cmp_ne_u32_e32 vcc, v37, v30
	v_add_u32_e32 v9, 13, v53
	v_mov_b32_e32 v10, v8
	v_cndmask_b32_e64 v7, 0, 1, vcc
	v_alignbit_b32 v7, v7, v39, 16
	v_cmp_gt_u32_e32 vcc, s3, v9
	v_mov_b32_e32 v9, v8
	v_mov_b32_e32 v11, v8
	;; [unrolled: 1-line block ×8, first 2 shown]
                                        ; implicit-def: $sgpr26_sgpr27
                                        ; implicit-def: $vgpr52
	s_and_saveexec_b64 s[24:25], vcc
	s_cbranch_execz .LBB54_110
; %bb.91:
	v_cmp_ne_u32_e32 vcc, v30, v31
	v_and_b32_e32 v8, 0xffff, v40
	v_add_u32_e32 v9, 14, v53
	v_cndmask_b32_e64 v10, 0, 1, vcc
	v_lshl_or_b32 v8, v10, 16, v8
	v_mov_b32_e32 v10, 0
	v_cmp_gt_u32_e32 vcc, s3, v9
	v_mov_b32_e32 v9, v10
	v_mov_b32_e32 v11, v10
	v_mov_b32_e32 v12, v10
	v_mov_b32_e32 v13, v10
	v_mov_b32_e32 v14, v10
	v_mov_b32_e32 v15, v10
	v_mov_b32_e32 v16, v10
	v_mov_b32_e32 v17, v10
                                        ; implicit-def: $sgpr42_sgpr43
                                        ; implicit-def: $vgpr52
	s_and_saveexec_b64 s[26:27], vcc
	s_cbranch_execz .LBB54_109
; %bb.92:
	v_cmp_ne_u32_e32 vcc, v31, v32
	v_add_u32_e32 v11, 15, v53
	v_mov_b32_e32 v12, v10
	v_cndmask_b32_e64 v9, 0, 1, vcc
	v_alignbit_b32 v9, v9, v40, 16
	v_cmp_gt_u32_e32 vcc, s3, v11
	v_mov_b32_e32 v11, v10
	v_mov_b32_e32 v13, v10
	;; [unrolled: 1-line block ×6, first 2 shown]
                                        ; implicit-def: $sgpr44_sgpr45
                                        ; implicit-def: $vgpr52
	s_and_saveexec_b64 s[42:43], vcc
	s_cbranch_execz .LBB54_108
; %bb.93:
	v_cmp_ne_u32_e32 vcc, v32, v33
	v_and_b32_e32 v10, 0xffff, v41
	v_add_u32_e32 v11, 16, v53
	v_cndmask_b32_e64 v12, 0, 1, vcc
	v_lshl_or_b32 v10, v12, 16, v10
	v_mov_b32_e32 v12, 0
	v_cmp_gt_u32_e32 vcc, s3, v11
	v_mov_b32_e32 v11, v12
	v_mov_b32_e32 v13, v12
	;; [unrolled: 1-line block ×6, first 2 shown]
                                        ; implicit-def: $sgpr46_sgpr47
                                        ; implicit-def: $vgpr52
	s_and_saveexec_b64 s[44:45], vcc
	s_cbranch_execz .LBB54_107
; %bb.94:
	v_cmp_ne_u32_e32 vcc, v33, v26
	v_add_u32_e32 v13, 17, v53
	v_mov_b32_e32 v14, v12
	v_cndmask_b32_e64 v11, 0, 1, vcc
	v_alignbit_b32 v11, v11, v41, 16
	v_cmp_gt_u32_e32 vcc, s3, v13
	v_mov_b32_e32 v13, v12
	v_mov_b32_e32 v15, v12
	;; [unrolled: 1-line block ×4, first 2 shown]
                                        ; implicit-def: $sgpr48_sgpr49
                                        ; implicit-def: $vgpr52
	s_and_saveexec_b64 s[46:47], vcc
	s_cbranch_execz .LBB54_106
; %bb.95:
	ds_read_b96 v[30:32], v54 offset:34
	v_add_u32_e32 v12, 18, v53
	v_cmp_ne_u32_e32 vcc, v26, v27
	v_mov_b32_e32 v14, 0
	v_mov_b32_e32 v15, v14
	v_cndmask_b32_e64 v13, 0, 1, vcc
	v_cmp_gt_u32_e32 vcc, s3, v12
	s_waitcnt lgkmcnt(0)
	v_and_b32_e32 v12, 0xffff, v30
	v_lshl_or_b32 v12, v13, 16, v12
	v_mov_b32_e32 v13, v14
	v_mov_b32_e32 v16, v14
	;; [unrolled: 1-line block ×3, first 2 shown]
                                        ; implicit-def: $sgpr50_sgpr51
                                        ; implicit-def: $vgpr52
	s_and_saveexec_b64 s[48:49], vcc
	s_cbranch_execz .LBB54_105
; %bb.96:
	v_cmp_ne_u32_e32 vcc, v27, v28
	v_add_u32_e32 v15, 19, v53
	v_mov_b32_e32 v16, v14
	v_cndmask_b32_e64 v13, 0, 1, vcc
	v_alignbit_b32 v13, v13, v30, 16
	v_cmp_gt_u32_e32 vcc, s3, v15
	v_mov_b32_e32 v15, v14
	v_mov_b32_e32 v17, v14
                                        ; implicit-def: $sgpr52_sgpr53
                                        ; implicit-def: $vgpr52
	s_and_saveexec_b64 s[50:51], vcc
	s_cbranch_execz .LBB54_104
; %bb.97:
	v_cmp_ne_u32_e32 vcc, v28, v29
	v_and_b32_e32 v14, 0xffff, v31
	v_add_u32_e32 v15, 20, v53
	v_cndmask_b32_e64 v16, 0, 1, vcc
	v_lshl_or_b32 v14, v16, 16, v14
	v_mov_b32_e32 v16, 0
	v_cmp_gt_u32_e32 vcc, s3, v15
	v_mov_b32_e32 v15, v16
	v_mov_b32_e32 v17, v16
                                        ; implicit-def: $sgpr66_sgpr67
                                        ; implicit-def: $vgpr52
	s_and_saveexec_b64 s[52:53], vcc
	s_cbranch_execz .LBB54_103
; %bb.98:
	v_cmp_ne_u32_e32 vcc, v29, v22
	v_add_u32_e32 v17, 21, v53
	s_mov_b32 s9, 0
	v_cndmask_b32_e64 v15, 0, 1, vcc
	v_alignbit_b32 v15, v15, v31, 16
	v_cmp_gt_u32_e32 vcc, s3, v17
	v_mov_b32_e32 v17, v16
                                        ; implicit-def: $sgpr72_sgpr73
                                        ; implicit-def: $vgpr52
	s_and_saveexec_b64 s[66:67], vcc
	s_cbranch_execz .LBB54_102
; %bb.99:
	v_cmp_ne_u32_e32 vcc, v22, v23
	v_and_b32_e32 v16, 0xffff, v32
	v_add_u32_e32 v17, 22, v53
	v_cndmask_b32_e64 v22, 0, 1, vcc
	v_lshl_or_b32 v16, v22, 16, v16
	v_cmp_gt_u32_e32 vcc, s3, v17
	v_mov_b32_e32 v17, s9
                                        ; implicit-def: $sgpr72_sgpr73
                                        ; implicit-def: $vgpr52
	s_and_saveexec_b64 s[74:75], vcc
	s_xor_b64 s[74:75], exec, s[74:75]
	s_cbranch_execz .LBB54_101
; %bb.100:
	ds_read_u16 v52, v54 offset:46
	v_add_u32_e32 v22, 23, v53
	v_cmp_ne_u32_e64 s[4:5], v23, v24
	v_cmp_ne_u32_e32 vcc, v24, v25
	s_and_b64 s[72:73], vcc, exec
	v_cndmask_b32_e64 v17, 0, 1, s[4:5]
	v_cmp_gt_u32_e64 s[4:5], s3, v22
	v_alignbit_b32 v17, v17, v32, 16
	s_and_b64 s[4:5], s[4:5], exec
.LBB54_101:
	s_or_b64 exec, exec, s[74:75]
	s_and_b64 s[72:73], s[72:73], exec
	s_and_b64 s[4:5], s[4:5], exec
.LBB54_102:
	s_or_b64 exec, exec, s[66:67]
	s_and_b64 s[66:67], s[72:73], exec
	s_and_b64 s[4:5], s[4:5], exec
.LBB54_103:
	s_or_b64 exec, exec, s[52:53]
	s_and_b64 s[52:53], s[66:67], exec
	s_and_b64 s[4:5], s[4:5], exec
.LBB54_104:
	s_or_b64 exec, exec, s[50:51]
	s_and_b64 s[50:51], s[52:53], exec
	s_and_b64 s[4:5], s[4:5], exec
.LBB54_105:
	s_or_b64 exec, exec, s[48:49]
	s_and_b64 s[48:49], s[50:51], exec
	s_and_b64 s[4:5], s[4:5], exec
.LBB54_106:
	s_or_b64 exec, exec, s[46:47]
	s_and_b64 s[46:47], s[48:49], exec
	s_and_b64 s[4:5], s[4:5], exec
.LBB54_107:
	s_or_b64 exec, exec, s[44:45]
	s_and_b64 s[44:45], s[46:47], exec
	s_and_b64 s[4:5], s[4:5], exec
.LBB54_108:
	s_or_b64 exec, exec, s[42:43]
	s_and_b64 s[42:43], s[44:45], exec
	s_and_b64 s[4:5], s[4:5], exec
.LBB54_109:
	s_or_b64 exec, exec, s[26:27]
	s_and_b64 s[26:27], s[42:43], exec
	s_and_b64 s[4:5], s[4:5], exec
.LBB54_110:
	s_or_b64 exec, exec, s[24:25]
	s_and_b64 s[24:25], s[26:27], exec
	s_and_b64 s[4:5], s[4:5], exec
.LBB54_111:
	s_or_b64 exec, exec, s[22:23]
	s_and_b64 s[22:23], s[24:25], exec
	s_and_b64 s[4:5], s[4:5], exec
.LBB54_112:
	s_or_b64 exec, exec, s[20:21]
	s_and_b64 s[20:21], s[22:23], exec
	s_and_b64 s[4:5], s[4:5], exec
.LBB54_113:
	s_or_b64 exec, exec, s[18:19]
	s_and_b64 s[18:19], s[20:21], exec
	s_and_b64 s[4:5], s[4:5], exec
.LBB54_114:
	s_or_b64 exec, exec, s[16:17]
	s_and_b64 s[16:17], s[18:19], exec
	s_and_b64 s[4:5], s[4:5], exec
.LBB54_115:
	s_or_b64 exec, exec, s[14:15]
	s_and_b64 s[14:15], s[16:17], exec
	s_and_b64 s[4:5], s[4:5], exec
.LBB54_116:
	s_or_b64 exec, exec, s[12:13]
	s_and_b64 s[12:13], s[14:15], exec
	s_and_b64 s[4:5], s[4:5], exec
.LBB54_117:
	s_or_b64 exec, exec, s[40:41]
	s_and_b64 s[40:41], s[12:13], exec
	s_and_b64 s[4:5], s[4:5], exec
.LBB54_118:
	s_or_b64 exec, exec, s[38:39]
	s_and_b64 s[12:13], s[40:41], exec
	s_and_b64 s[4:5], s[4:5], exec
.LBB54_119:
	s_or_b64 exec, exec, s[36:37]
	s_and_b64 s[36:37], s[12:13], exec
	s_and_b64 s[4:5], s[4:5], exec
.LBB54_120:
	s_or_b64 exec, exec, s[34:35]
	s_and_b64 s[12:13], s[36:37], exec
	s_and_b64 s[34:35], s[4:5], exec
.LBB54_121:
	s_or_b64 exec, exec, s[6:7]
	s_and_b64 s[36:37], s[12:13], exec
	s_and_b64 s[34:35], s[34:35], exec
.LBB54_122:
	s_or_b64 exec, exec, s[30:31]
	s_and_b64 s[6:7], s[36:37], exec
	s_and_b64 s[12:13], s[34:35], exec
.LBB54_123:
	s_or_b64 exec, exec, s[10:11]
	s_and_b64 vcc, exec, s[28:29]
	v_cmp_ne_u32_e64 s[4:5], 0, v0
	s_cbranch_vccnz .LBB54_125
	s_branch .LBB54_128
.LBB54_124:
	s_mov_b64 s[12:13], 0
                                        ; implicit-def: $sgpr6_sgpr7
                                        ; implicit-def: $vgpr50_vgpr51
                                        ; implicit-def: $vgpr18_vgpr19_vgpr20_vgpr21
                                        ; implicit-def: $vgpr2_vgpr3_vgpr4_vgpr5_vgpr6_vgpr7_vgpr8_vgpr9_vgpr10_vgpr11_vgpr12_vgpr13_vgpr14_vgpr15_vgpr16_vgpr17
                                        ; implicit-def: $vgpr52
                                        ; implicit-def: $vgpr1
                                        ; implicit-def: $sgpr8
	s_and_b64 vcc, exec, s[28:29]
	v_cmp_ne_u32_e64 s[4:5], 0, v0
	s_cbranch_vccz .LBB54_128
.LBB54_125:
	v_mov_b32_e32 v11, 0
	v_lshlrev_b32_e32 v10, 2, v0
	v_lshl_add_u64 v[2:3], s[70:71], 0, v[10:11]
	v_add_co_u32_e32 v4, vcc, 0x1000, v2
	global_load_dword v8, v10, s[70:71]
	global_load_dword v9, v10, s[70:71] offset:1024
	global_load_dword v12, v10, s[70:71] offset:2048
	;; [unrolled: 1-line block ×3, first 2 shown]
	v_addc_co_u32_e32 v5, vcc, 0, v3, vcc
	v_add_co_u32_e32 v6, vcc, 0x2000, v2
	s_movk_i32 s7, 0x5c
	s_nop 0
	v_addc_co_u32_e32 v7, vcc, 0, v3, vcc
	global_load_dword v14, v[4:5], off
	global_load_dword v15, v[4:5], off offset:1024
	global_load_dword v16, v[4:5], off offset:2048
	;; [unrolled: 1-line block ×3, first 2 shown]
	global_load_dword v18, v[6:7], off
	global_load_dword v19, v[6:7], off offset:1024
	global_load_dword v20, v[6:7], off offset:2048
	;; [unrolled: 1-line block ×3, first 2 shown]
	v_add_co_u32_e32 v4, vcc, 0x3000, v2
	s_sub_u32 s6, 0, s2
	s_nop 0
	v_addc_co_u32_e32 v5, vcc, 0, v3, vcc
	v_add_co_u32_e32 v6, vcc, 0x4000, v2
	v_mad_u32_u24 v38, v0, s7, v10
	s_nop 0
	v_addc_co_u32_e32 v7, vcc, 0, v3, vcc
	v_add_co_u32_e32 v2, vcc, 0x5000, v2
	global_load_dword v22, v[4:5], off
	global_load_dword v23, v[4:5], off offset:1024
	global_load_dword v24, v[4:5], off offset:2048
	;; [unrolled: 1-line block ×3, first 2 shown]
	global_load_dword v26, v[6:7], off
	global_load_dword v27, v[6:7], off offset:1024
	global_load_dword v28, v[6:7], off offset:2048
	;; [unrolled: 1-line block ×3, first 2 shown]
	v_addc_co_u32_e32 v3, vcc, 0, v3, vcc
	global_load_dword v4, v[2:3], off
	global_load_dword v5, v[2:3], off offset:1024
	global_load_dword v6, v[2:3], off offset:2048
	;; [unrolled: 1-line block ×3, first 2 shown]
	s_subb_u32 s7, 0, 0
	s_cmp_eq_u64 s[6:7], s[64:65]
	s_cselect_b32 s6, 0, -4
	s_cselect_b32 s7, 0, -1
	s_add_u32 s6, s70, s6
	s_addc_u32 s7, s71, s7
	s_movk_i32 s9, 0xffa4
	s_movk_i32 s8, 0x1000
	;; [unrolled: 1-line block ×3, first 2 shown]
	v_mad_i32_i24 v1, v0, s9, v38
	s_waitcnt vmcnt(22)
	ds_write2st64_b32 v10, v8, v9 offset1:4
	s_waitcnt vmcnt(20)
	ds_write2st64_b32 v10, v12, v13 offset0:8 offset1:12
	s_waitcnt vmcnt(18)
	ds_write2st64_b32 v10, v14, v15 offset0:16 offset1:20
	;; [unrolled: 2-line block ×11, first 2 shown]
	s_waitcnt lgkmcnt(0)
	s_barrier
	ds_read2_b64 v[2:5], v38 offset1:11
	ds_read2_b64 v[34:37], v38 offset0:9 offset1:10
	ds_read2_b64 v[30:33], v38 offset0:7 offset1:8
	;; [unrolled: 1-line block ×5, first 2 shown]
	s_load_dword s6, s[6:7], 0x0
	s_waitcnt lgkmcnt(0)
	ds_write_b32 v1, v5 offset:24576
	s_waitcnt lgkmcnt(0)
	s_barrier
	v_mov_b32_e32 v12, s6
	s_and_saveexec_b64 s[6:7], s[4:5]
	s_cbranch_execz .LBB54_127
; %bb.126:
	ds_read_b32 v12, v1 offset:24572
.LBB54_127:
	s_or_b64 exec, exec, s[6:7]
	v_lshlrev_b32_e32 v10, 1, v0
	v_lshl_add_u64 v[14:15], s[58:59], 0, v[10:11]
	v_add_co_u32_e32 v16, vcc, s8, v14
	s_waitcnt lgkmcnt(0)
	s_nop 0
	v_addc_co_u32_e32 v17, vcc, 0, v15, vcc
	v_add_co_u32_e32 v14, vcc, s3, v14
	s_barrier
	global_load_ushort v11, v10, s[58:59]
	v_addc_co_u32_e32 v15, vcc, 0, v15, vcc
	global_load_ushort v13, v10, s[58:59] offset:512
	global_load_ushort v18, v10, s[58:59] offset:1024
	;; [unrolled: 1-line block ×7, first 2 shown]
	global_load_ushort v40, v[14:15], off offset:-4096
	global_load_ushort v41, v[16:17], off offset:512
	global_load_ushort v42, v[16:17], off offset:1024
	;; [unrolled: 1-line block ×7, first 2 shown]
                                        ; kill: killed $vgpr16 killed $vgpr17
                                        ; kill: killed $sgpr58 killed $sgpr59
	s_nop 0
	global_load_ushort v16, v[14:15], off
	global_load_ushort v17, v[14:15], off offset:512
	global_load_ushort v48, v[14:15], off offset:1024
	;; [unrolled: 1-line block ×7, first 2 shown]
	v_cmp_ne_u32_e32 vcc, v2, v3
	v_cmp_ne_u32_e64 s[6:7], v4, v5
	v_sub_u32_e32 v1, v1, v10
	v_cndmask_b32_e64 v5, 0, 1, vcc
	v_cmp_ne_u32_e32 vcc, v12, v2
	v_mad_u32_u24 v56, v0, 46, v1
	s_mov_b64 s[12:13], -1
	v_cndmask_b32_e64 v14, 0, 1, vcc
	v_cmp_ne_u32_e32 vcc, v3, v6
                                        ; implicit-def: $sgpr8
	s_waitcnt vmcnt(23)
	ds_write_b16 v1, v11
	s_waitcnt vmcnt(22)
	ds_write_b16 v1, v13 offset:512
	s_waitcnt vmcnt(21)
	ds_write_b16 v1, v18 offset:1024
	;; [unrolled: 2-line block ×23, first 2 shown]
	v_cndmask_b32_e64 v15, 0, 1, vcc
	v_cmp_ne_u32_e32 vcc, v9, v22
	s_waitcnt lgkmcnt(0)
	s_barrier
	v_cndmask_b32_e64 v54, 0, 1, vcc
	v_cmp_ne_u32_e32 vcc, v7, v8
	ds_read_b32 v1, v56
	ds_read_u16 v16, v56 offset:4
	ds_read_b64 v[2:3], v56 offset:6
	ds_read_b128 v[38:41], v56 offset:14
	ds_read_b128 v[10:13], v56 offset:30
	ds_read_u16 v52, v56 offset:46
	v_cndmask_b32_e64 v55, 0, 1, vcc
	v_cmp_ne_u32_e32 vcc, v8, v9
	s_waitcnt lgkmcnt(5)
	v_and_b32_e32 v17, 0xffff, v1
	v_alignbit_b32 v51, v5, v1, 16
	s_waitcnt lgkmcnt(4)
	v_lshl_or_b32 v1, v15, 16, v16
	s_waitcnt lgkmcnt(3)
	v_and_b32_e32 v5, 0xffff, v2
	v_and_b32_e32 v15, 0xffff, v3
	v_alignbit_b32 v19, v55, v2, 16
	v_cndmask_b32_e64 v2, 0, 1, vcc
	v_cmp_ne_u32_e32 vcc, v6, v7
	v_lshl_or_b32 v20, v2, 16, v15
	v_alignbit_b32 v21, v54, v3, 16
	v_cndmask_b32_e64 v2, 0, 1, vcc
	v_cmp_ne_u32_e32 vcc, v37, v4
	v_lshl_or_b32 v50, v14, 16, v17
	s_waitcnt lgkmcnt(1)
	v_and_b32_e32 v16, 0xffff, v13
	v_cndmask_b32_e64 v3, 0, 1, vcc
	v_cmp_ne_u32_e32 vcc, v35, v36
	v_alignbit_b32 v17, v3, v13, 16
	v_and_b32_e32 v44, 0xffff, v11
	v_cndmask_b32_e64 v3, 0, 1, vcc
	v_cmp_ne_u32_e32 vcc, v33, v34
	v_alignbit_b32 v15, v3, v12, 16
	v_lshl_or_b32 v18, v2, 16, v5
	v_cndmask_b32_e64 v3, 0, 1, vcc
	v_cmp_ne_u32_e32 vcc, v31, v32
	v_alignbit_b32 v13, v3, v11, 16
	v_and_b32_e32 v14, 0xffff, v12
	v_cndmask_b32_e64 v3, 0, 1, vcc
	v_cmp_ne_u32_e32 vcc, v29, v30
	v_alignbit_b32 v11, v3, v10, 16
	v_and_b32_e32 v43, 0xffff, v10
	;; [unrolled: 4-line block ×5, first 2 shown]
	v_cndmask_b32_e64 v3, 0, 1, vcc
	v_cmp_ne_u32_e32 vcc, v36, v37
	v_and_b32_e32 v42, 0xffff, v39
	v_alignbit_b32 v3, v3, v38, 16
	v_cndmask_b32_e64 v4, 0, 1, vcc
	v_cmp_ne_u32_e32 vcc, v34, v35
	v_lshl_or_b32 v16, v4, 16, v16
	s_nop 0
	v_cndmask_b32_e64 v4, 0, 1, vcc
	v_cmp_ne_u32_e32 vcc, v32, v33
	v_lshl_or_b32 v14, v4, 16, v14
	s_nop 0
	;; [unrolled: 4-line block ×7, first 2 shown]
	v_cndmask_b32_e64 v22, 0, 1, vcc
	v_lshl_or_b32 v2, v22, 16, v2
.LBB54_128:
	v_mov_b32_e32 v32, s8
	s_and_saveexec_b64 s[4:5], s[12:13]
	s_cbranch_execz .LBB54_130
; %bb.129:
	v_mov_b32_e32 v22, 0x10000
	v_cndmask_b32_e64 v22, 0, v22, s[6:7]
	s_waitcnt lgkmcnt(0)
	v_or_b32_sdwa v32, v22, v52 dst_sel:DWORD dst_unused:UNUSED_PAD src0_sel:DWORD src1_sel:WORD_0
.LBB54_130:
	s_or_b64 exec, exec, s[4:5]
	s_cmp_lg_u32 s2, 0
	v_lshlrev_b32_e32 v57, 16, v51
	v_lshlrev_b32_e32 v56, 16, v1
	;; [unrolled: 1-line block ×5, first 2 shown]
	s_waitcnt lgkmcnt(0)
	v_lshlrev_b32_e32 v52, 16, v21
	v_lshlrev_b32_e32 v49, 16, v2
	;; [unrolled: 1-line block ×18, first 2 shown]
	v_mbcnt_lo_u32_b32 v58, -1, 0
	s_barrier
	s_cbranch_scc0 .LBB54_221
; %bb.131:
	v_lshlrev_b32_e32 v59, 16, v50
	s_mov_b32 s3, 0x10000
	v_cmp_lt_f32_e32 vcc, v59, v57
	v_cmp_gt_u32_e64 s[4:5], s3, v51
	v_cmp_gt_u32_e64 s[6:7], s3, v1
	v_cndmask_b32_e32 v22, v50, v51, vcc
	v_cndmask_b32_e64 v22, v51, v22, s[4:5]
	v_lshlrev_b32_e32 v23, 16, v22
	v_cmp_lt_f32_e32 vcc, v23, v56
	v_cmp_gt_u32_e64 s[8:9], s3, v18
	v_cmp_gt_u32_e64 s[10:11], s3, v19
	v_cndmask_b32_e32 v22, v22, v1, vcc
	v_cndmask_b32_e64 v22, v1, v22, s[6:7]
	v_lshlrev_b32_e32 v23, 16, v22
	;; [unrolled: 6-line block ×11, first 2 shown]
	v_cmp_lt_f32_e32 vcc, v23, v44
	v_cmp_gt_u32_e64 s[50:51], s3, v32
	v_and_b32_e32 v24, 0x10000, v50
	v_cndmask_b32_e32 v22, v22, v7, vcc
	v_cndmask_b32_e64 v22, v7, v22, s[26:27]
	v_lshlrev_b32_e32 v23, 16, v22
	v_cmp_lt_f32_e32 vcc, v23, v43
	v_mov_b32_e32 v25, 0x10000
	s_nop 0
	v_cndmask_b32_e32 v22, v22, v8, vcc
	v_cndmask_b32_e64 v22, v8, v22, s[28:29]
	v_lshlrev_b32_e32 v23, 16, v22
	v_cmp_lt_f32_e32 vcc, v23, v42
	s_nop 1
	v_cndmask_b32_e32 v22, v22, v9, vcc
	v_cndmask_b32_e64 v22, v9, v22, s[30:31]
	v_lshlrev_b32_e32 v23, 16, v22
	v_cmp_lt_f32_e32 vcc, v23, v41
	;; [unrolled: 5-line block ×10, first 2 shown]
	s_nop 1
	v_cndmask_b32_e32 v22, v22, v32, vcc
	v_cndmask_b32_e64 v23, v32, v22, s[50:51]
	v_or3_b32 v22, v32, v17, v16
	v_or3_b32 v22, v22, v15, v14
	v_or3_b32 v22, v22, v13, v12
	v_or3_b32 v22, v22, v11, v10
	v_or3_b32 v22, v22, v9, v8
	v_or3_b32 v22, v22, v7, v6
	v_or3_b32 v22, v22, v5, v4
	v_or3_b32 v22, v22, v3, v2
	v_or3_b32 v22, v22, v21, v20
	v_or3_b32 v22, v22, v19, v18
	v_or3_b32 v22, v22, v1, v51
	v_and_b32_e32 v22, 0x10000, v22
	v_cmp_ne_u32_e32 vcc, 0, v22
	s_nop 1
	v_cndmask_b32_e32 v24, v24, v25, vcc
	v_mbcnt_hi_u32_b32 v25, -1, v58
	v_and_b32_e32 v28, 15, v25
	v_or_b32_sdwa v27, v24, v23 dst_sel:DWORD dst_unused:UNUSED_PAD src0_sel:DWORD src1_sel:WORD_0
	v_lshrrev_b32_e32 v22, 16, v24
	v_cmp_ne_u32_e32 vcc, 0, v28
	v_mov_b32_dpp v26, v27 row_shr:1 row_mask:0xf bank_mask:0xf
	s_and_saveexec_b64 s[52:53], vcc
	s_cbranch_execz .LBB54_133
; %bb.132:
	v_and_b32_e32 v22, 0x10000, v24
	v_mov_b32_e32 v27, 1
	v_and_b32_sdwa v27, v26, v27 dst_sel:DWORD dst_unused:UNUSED_PAD src0_sel:WORD_1 src1_sel:DWORD
	v_cmp_ne_u32_e32 vcc, 0, v22
	v_lshlrev_b32_e32 v29, 16, v26
	s_nop 0
	v_cndmask_b32_e64 v22, v27, 1, vcc
	v_mov_b32_e32 v27, 16
	v_lshlrev_b32_sdwa v27, v27, v23 dst_sel:DWORD dst_unused:UNUSED_PAD src0_sel:DWORD src1_sel:WORD_0
	v_cmp_lt_f32_e32 vcc, v29, v27
	s_nop 1
	v_cndmask_b32_e32 v26, v26, v23, vcc
	v_cmp_eq_u32_e32 vcc, 0, v24
	v_lshlrev_b32_e32 v24, 16, v22
	s_nop 0
	v_cndmask_b32_e32 v23, v23, v26, vcc
	v_or_b32_sdwa v27, v24, v23 dst_sel:DWORD dst_unused:UNUSED_PAD src0_sel:DWORD src1_sel:WORD_0
.LBB54_133:
	s_or_b64 exec, exec, s[52:53]
	v_lshrrev_b32_e32 v26, 16, v27
	v_mov_b32_dpp v29, v27 row_shr:2 row_mask:0xf bank_mask:0xf
	v_cmp_lt_u32_e32 vcc, 1, v28
	v_mov_b32_e32 v24, v27
	s_and_saveexec_b64 s[52:53], vcc
	s_cbranch_execz .LBB54_135
; %bb.134:
	v_and_b32_e32 v22, 0x10000, v27
	v_mov_b32_e32 v23, 1
	v_and_b32_sdwa v23, v29, v23 dst_sel:DWORD dst_unused:UNUSED_PAD src0_sel:WORD_1 src1_sel:DWORD
	v_cmp_ne_u32_e32 vcc, 0, v22
	v_lshlrev_b32_e32 v24, 16, v29
	s_nop 0
	v_cndmask_b32_e64 v22, v23, 1, vcc
	v_lshlrev_b32_e32 v23, 16, v27
	v_cmp_lt_f32_e32 vcc, v24, v23
	v_lshlrev_b32_e32 v24, 16, v22
	v_mov_b32_e32 v26, v22
	v_cndmask_b32_e32 v23, v29, v27, vcc
	v_cmp_gt_u32_e32 vcc, s3, v27
	s_nop 1
	v_cndmask_b32_e32 v23, v27, v23, vcc
	v_or_b32_sdwa v27, v24, v23 dst_sel:DWORD dst_unused:UNUSED_PAD src0_sel:DWORD src1_sel:WORD_0
	v_mov_b32_e32 v24, v23
.LBB54_135:
	s_or_b64 exec, exec, s[52:53]
	v_mov_b32_dpp v29, v27 row_shr:4 row_mask:0xf bank_mask:0xf
	v_cmp_lt_u32_e32 vcc, 3, v28
	s_and_saveexec_b64 s[52:53], vcc
	s_cbranch_execz .LBB54_137
; %bb.136:
	v_and_b32_e32 v22, 1, v26
	v_mov_b32_e32 v23, 1
	v_and_b32_sdwa v23, v29, v23 dst_sel:DWORD dst_unused:UNUSED_PAD src0_sel:WORD_1 src1_sel:DWORD
	v_cmp_eq_u32_e32 vcc, 1, v22
	v_lshlrev_b32_e32 v27, 16, v24
	s_nop 0
	v_cndmask_b32_e64 v22, v23, 1, vcc
	v_lshlrev_b32_e32 v23, 16, v29
	v_cmp_lt_f32_e32 vcc, v23, v27
	s_nop 1
	v_cndmask_b32_e32 v23, v29, v24, vcc
	v_cmp_eq_u16_e32 vcc, 0, v26
	v_mov_b32_e32 v26, v22
	s_nop 0
	v_cndmask_b32_e32 v23, v24, v23, vcc
	v_lshlrev_b32_e32 v24, 16, v22
	v_or_b32_sdwa v27, v24, v23 dst_sel:DWORD dst_unused:UNUSED_PAD src0_sel:DWORD src1_sel:WORD_0
	v_mov_b32_e32 v24, v23
.LBB54_137:
	s_or_b64 exec, exec, s[52:53]
	v_mov_b32_dpp v29, v27 row_shr:8 row_mask:0xf bank_mask:0xf
	v_cmp_lt_u32_e32 vcc, 7, v28
	s_and_saveexec_b64 s[52:53], vcc
	s_cbranch_execz .LBB54_139
; %bb.138:
	v_and_b32_e32 v22, 1, v26
	v_mov_b32_e32 v23, 1
	v_and_b32_sdwa v23, v29, v23 dst_sel:DWORD dst_unused:UNUSED_PAD src0_sel:WORD_1 src1_sel:DWORD
	v_cmp_eq_u32_e32 vcc, 1, v22
	v_lshlrev_b32_e32 v27, 16, v24
	s_nop 0
	v_cndmask_b32_e64 v22, v23, 1, vcc
	v_lshlrev_b32_e32 v23, 16, v29
	v_cmp_lt_f32_e32 vcc, v23, v27
	s_nop 1
	v_cndmask_b32_e32 v23, v29, v24, vcc
	v_cmp_eq_u16_e32 vcc, 0, v26
	v_mov_b32_e32 v26, v22
	s_nop 0
	v_cndmask_b32_e32 v23, v24, v23, vcc
	v_lshlrev_b32_e32 v24, 16, v22
	v_or_b32_sdwa v27, v24, v23 dst_sel:DWORD dst_unused:UNUSED_PAD src0_sel:DWORD src1_sel:WORD_0
	v_mov_b32_e32 v24, v23
.LBB54_139:
	s_or_b64 exec, exec, s[52:53]
	v_and_b32_e32 v29, 16, v25
	v_mov_b32_dpp v28, v27 row_bcast:15 row_mask:0xf bank_mask:0xf
	v_cmp_ne_u32_e32 vcc, 0, v29
	s_and_saveexec_b64 s[52:53], vcc
	s_cbranch_execz .LBB54_141
; %bb.140:
	v_and_b32_e32 v22, 1, v26
	v_mov_b32_e32 v23, 1
	v_and_b32_sdwa v23, v28, v23 dst_sel:DWORD dst_unused:UNUSED_PAD src0_sel:WORD_1 src1_sel:DWORD
	v_cmp_eq_u32_e32 vcc, 1, v22
	v_lshlrev_b32_e32 v27, 16, v24
	s_nop 0
	v_cndmask_b32_e64 v22, v23, 1, vcc
	v_lshlrev_b32_e32 v23, 16, v28
	v_cmp_lt_f32_e32 vcc, v23, v27
	s_nop 1
	v_cndmask_b32_e32 v23, v28, v24, vcc
	v_cmp_eq_u16_e32 vcc, 0, v26
	v_mov_b32_e32 v26, v22
	s_nop 0
	v_cndmask_b32_e32 v23, v24, v23, vcc
	v_lshlrev_b32_e32 v24, 16, v22
	v_or_b32_sdwa v27, v24, v23 dst_sel:DWORD dst_unused:UNUSED_PAD src0_sel:DWORD src1_sel:WORD_0
	v_mov_b32_e32 v24, v23
.LBB54_141:
	s_or_b64 exec, exec, s[52:53]
	v_mov_b32_dpp v27, v27 row_bcast:31 row_mask:0xf bank_mask:0xf
	v_cmp_lt_u32_e32 vcc, 31, v25
	s_and_saveexec_b64 s[52:53], vcc
; %bb.142:
	v_and_b32_e32 v22, 1, v26
	v_mov_b32_e32 v23, 1
	v_and_b32_sdwa v23, v27, v23 dst_sel:DWORD dst_unused:UNUSED_PAD src0_sel:WORD_1 src1_sel:DWORD
	v_cmp_eq_u32_e32 vcc, 1, v22
	v_lshlrev_b32_e32 v28, 16, v24
	s_nop 0
	v_cndmask_b32_e64 v22, v23, 1, vcc
	v_lshlrev_b32_e32 v23, 16, v27
	v_cmp_lt_f32_e32 vcc, v23, v28
	s_nop 1
	v_cndmask_b32_e32 v23, v27, v24, vcc
	v_cmp_eq_u16_e32 vcc, 0, v26
	s_nop 1
	v_cndmask_b32_e32 v23, v24, v23, vcc
; %bb.143:
	s_or_b64 exec, exec, s[52:53]
	v_or_b32_e32 v26, 63, v0
	v_lshrrev_b32_e32 v24, 6, v0
	v_cmp_eq_u32_e32 vcc, v26, v0
	s_and_saveexec_b64 s[52:53], vcc
	s_cbranch_execz .LBB54_145
; %bb.144:
	v_lshlrev_b32_e32 v26, 2, v24
	ds_write_b16 v26, v23
	ds_write_b8 v26, v22 offset:2
.LBB54_145:
	s_or_b64 exec, exec, s[52:53]
	v_cmp_gt_u32_e32 vcc, 4, v0
	s_waitcnt lgkmcnt(0)
	s_barrier
	s_and_saveexec_b64 s[52:53], vcc
	s_cbranch_execz .LBB54_151
; %bb.146:
	v_lshlrev_b32_e32 v26, 2, v0
	ds_read_b32 v27, v26
	v_and_b32_e32 v29, 3, v25
	v_cmp_ne_u32_e32 vcc, 0, v29
	s_waitcnt lgkmcnt(0)
	v_lshrrev_b32_e32 v28, 16, v27
	v_mov_b32_dpp v31, v27 row_shr:1 row_mask:0xf bank_mask:0xf
	v_mov_b32_e32 v30, v27
	s_and_saveexec_b64 s[58:59], vcc
	s_cbranch_execz .LBB54_148
; %bb.147:
	v_and_b32_e32 v30, 0x10000, v27
	v_mov_b32_e32 v61, 1
	v_and_b32_sdwa v61, v31, v61 dst_sel:DWORD dst_unused:UNUSED_PAD src0_sel:WORD_1 src1_sel:DWORD
	v_cmp_ne_u32_e32 vcc, 0, v30
	v_lshlrev_b32_e32 v62, 16, v27
	v_lshlrev_b32_e32 v63, 16, v31
	v_cndmask_b32_e64 v61, v61, 1, vcc
	v_mov_b32_e32 v30, 0
	v_cmp_lt_f32_e32 vcc, v63, v62
	v_and_b32_e32 v60, 0xff000000, v27
	s_nop 0
	v_cndmask_b32_e32 v31, v31, v27, vcc
	v_cmp_eq_u16_sdwa vcc, v28, v30 src0_sel:BYTE_0 src1_sel:DWORD
	s_nop 1
	v_cndmask_b32_e32 v30, v27, v31, vcc
	v_lshlrev_b32_e32 v27, 16, v61
	v_and_b32_e32 v28, 0xffff, v30
	v_or3_b32 v27, v27, v60, v28
	v_mov_b32_e32 v28, v61
.LBB54_148:
	s_or_b64 exec, exec, s[58:59]
	v_mov_b32_dpp v31, v27 row_shr:2 row_mask:0xf bank_mask:0xf
	v_cmp_lt_u32_e32 vcc, 1, v29
	s_and_saveexec_b64 s[58:59], vcc
	s_cbranch_execz .LBB54_150
; %bb.149:
	v_and_b32_e32 v28, 0x10000, v27
	v_mov_b32_e32 v29, 1
	v_and_b32_sdwa v29, v31, v29 dst_sel:DWORD dst_unused:UNUSED_PAD src0_sel:WORD_1 src1_sel:DWORD
	v_cmp_eq_u32_e32 vcc, 0, v28
	v_lshlrev_b32_e32 v30, 16, v27
	v_lshlrev_b32_e32 v60, 16, v31
	v_cndmask_b32_e32 v28, 1, v29, vcc
	v_and_b32_e32 v29, 0xff0000, v27
	v_cmp_lt_f32_e32 vcc, v60, v30
	s_nop 1
	v_cndmask_b32_e32 v30, v31, v27, vcc
	v_cmp_eq_u32_e32 vcc, 0, v29
	s_nop 1
	v_cndmask_b32_e32 v30, v27, v30, vcc
.LBB54_150:
	s_or_b64 exec, exec, s[58:59]
	ds_write_b16 v26, v30
	ds_write_b8 v26, v28 offset:2
.LBB54_151:
	s_or_b64 exec, exec, s[52:53]
	v_cmp_gt_u32_e32 vcc, 64, v0
	v_cmp_lt_u32_e64 s[52:53], 63, v0
	v_mov_b32_e32 v60, 0
	v_mov_b32_e32 v61, 0
	s_waitcnt lgkmcnt(0)
	s_barrier
	s_and_saveexec_b64 s[58:59], s[52:53]
	s_cbranch_execz .LBB54_153
; %bb.152:
	v_lshl_add_u32 v24, v24, 2, -4
	ds_read_u16 v60, v24
	ds_read_u8 v61, v24 offset:2
	v_lshlrev_b32_e32 v26, 16, v23
	s_waitcnt lgkmcnt(1)
	v_lshlrev_b32_e32 v24, 16, v60
	v_cmp_lt_f32_e64 s[52:53], v24, v26
	s_nop 1
	v_cndmask_b32_e64 v24, v60, v23, s[52:53]
	v_cmp_eq_u16_e64 s[52:53], 0, v22
	v_and_b32_e32 v22, 1, v22
	s_nop 0
	v_cndmask_b32_e64 v23, v23, v24, s[52:53]
	v_cmp_eq_u32_e64 s[52:53], 1, v22
	s_waitcnt lgkmcnt(0)
	s_nop 0
	v_cndmask_b32_e64 v22, v61, 1, s[52:53]
.LBB54_153:
	s_or_b64 exec, exec, s[58:59]
	v_and_b32_e32 v22, 0xff, v22
	v_and_b32_e32 v23, 0xffff, v23
	v_lshl_or_b32 v22, v22, 16, v23
	v_add_u32_e32 v23, -1, v25
	v_and_b32_e32 v24, 64, v25
	v_cmp_lt_i32_e64 s[52:53], v23, v24
	s_nop 1
	v_cndmask_b32_e64 v23, v23, v25, s[52:53]
	v_lshlrev_b32_e32 v23, 2, v23
	ds_bpermute_b32 v62, v23, v22
	v_cmp_eq_u32_e64 s[52:53], 0, v25
	s_and_saveexec_b64 s[58:59], vcc
	s_cbranch_execz .LBB54_196
; %bb.154:
	v_mov_b32_e32 v29, 0
	ds_read_b32 v22, v29 offset:12
	s_and_saveexec_b64 s[64:65], s[52:53]
	s_cbranch_execz .LBB54_156
; %bb.155:
	s_add_i32 s66, s2, 64
	s_mov_b32 s67, 0
	s_lshl_b64 s[66:67], s[66:67], 3
	s_add_u32 s66, s60, s66
	s_addc_u32 s67, s61, s67
	v_mov_b32_e32 v23, 1
	s_waitcnt lgkmcnt(0)
	global_store_dwordx2 v29, v[22:23], s[66:67] sc1
.LBB54_156:
	s_or_b64 exec, exec, s[64:65]
	v_xad_u32 v24, v25, -1, s2
	v_add_u32_e32 v28, 64, v24
	v_lshl_add_u64 v[30:31], v[28:29], 3, s[60:61]
	global_load_dwordx2 v[26:27], v[30:31], off sc1
	s_waitcnt vmcnt(0)
	v_cmp_eq_u16_sdwa s[66:67], v27, v29 src0_sel:BYTE_0 src1_sel:DWORD
	s_and_saveexec_b64 s[64:65], s[66:67]
	s_cbranch_execz .LBB54_160
; %bb.157:
	s_mov_b64 s[66:67], 0
	v_mov_b32_e32 v23, 0
.LBB54_158:                             ; =>This Inner Loop Header: Depth=1
	global_load_dwordx2 v[26:27], v[30:31], off sc1
	s_waitcnt vmcnt(0)
	v_cmp_ne_u16_sdwa s[70:71], v27, v23 src0_sel:BYTE_0 src1_sel:DWORD
	s_or_b64 s[66:67], s[70:71], s[66:67]
	s_andn2_b64 exec, exec, s[66:67]
	s_cbranch_execnz .LBB54_158
; %bb.159:
	s_or_b64 exec, exec, s[66:67]
.LBB54_160:
	s_or_b64 exec, exec, s[64:65]
	v_mov_b32_e32 v23, 2
	v_cmp_eq_u16_sdwa s[64:65], v27, v23 src0_sel:BYTE_0 src1_sel:DWORD
	v_lshlrev_b64 v[28:29], v25, -1
	v_and_b32_e32 v31, 63, v25
	v_and_b32_e32 v23, s65, v29
	v_or_b32_e32 v23, 0x80000000, v23
	v_and_b32_e32 v30, s64, v28
	v_ffbl_b32_e32 v23, v23
	v_add_u32_e32 v23, 32, v23
	v_ffbl_b32_e32 v30, v30
	v_cmp_ne_u32_e32 vcc, 63, v31
	v_min_u32_e32 v30, v30, v23
	v_and_b32_e32 v74, 0xffffff, v26
	v_addc_co_u32_e32 v23, vcc, 0, v25, vcc
	v_lshlrev_b32_e32 v23, 2, v23
	ds_bpermute_b32 v64, v23, v74
	v_add_u32_e32 v63, 1, v25
	v_lshrrev_b32_e32 v78, 16, v26
	v_cmp_le_u32_e32 vcc, v63, v30
	v_bfe_u32 v72, v26, 16, 8
	s_and_saveexec_b64 s[64:65], vcc
	s_cbranch_execz .LBB54_162
; %bb.161:
	s_waitcnt lgkmcnt(0)
	v_lshlrev_b32_e32 v66, 16, v64
	v_lshlrev_b32_e32 v67, 16, v26
	v_and_b32_e32 v65, 0xff0000, v26
	v_cmp_lt_f32_e32 vcc, v66, v67
	s_nop 1
	v_cndmask_b32_e32 v66, v64, v26, vcc
	v_cmp_eq_u32_e32 vcc, 0, v65
	v_and_b32_e32 v65, 0x10000, v65
	s_nop 0
	v_cndmask_b32_e32 v26, v26, v66, vcc
	v_mov_b32_e32 v66, 1
	v_and_b32_sdwa v64, v64, v66 dst_sel:DWORD dst_unused:UNUSED_PAD src0_sel:WORD_1 src1_sel:DWORD
	v_cmp_ne_u32_e32 vcc, 0, v65
	s_nop 1
	v_cndmask_b32_e64 v78, v64, 1, vcc
	v_lshlrev_b32_e32 v64, 16, v78
	v_or_b32_sdwa v74, v64, v26 dst_sel:DWORD dst_unused:UNUSED_PAD src0_sel:DWORD src1_sel:WORD_0
	v_mov_b32_e32 v72, v78
.LBB54_162:
	s_or_b64 exec, exec, s[64:65]
	v_cmp_gt_u32_e32 vcc, 62, v31
	v_add_u32_e32 v65, 2, v25
	s_waitcnt lgkmcnt(0)
	v_cndmask_b32_e64 v64, 0, 1, vcc
	v_lshlrev_b32_e32 v64, 1, v64
	v_add_lshl_u32 v64, v64, v25, 2
	ds_bpermute_b32 v66, v64, v74
	v_cmp_le_u32_e32 vcc, v65, v30
	s_and_saveexec_b64 s[64:65], vcc
	s_cbranch_execz .LBB54_164
; %bb.163:
	s_waitcnt lgkmcnt(0)
	v_lshlrev_b32_e32 v67, 16, v66
	v_lshlrev_b32_e32 v68, 16, v26
	v_cmp_lt_f32_e32 vcc, v67, v68
	v_mov_b32_e32 v68, 1
	s_nop 0
	v_cndmask_b32_e32 v67, v66, v26, vcc
	v_cmp_eq_u16_e32 vcc, 0, v72
	v_and_b32_sdwa v66, v66, v68 dst_sel:DWORD dst_unused:UNUSED_PAD src0_sel:WORD_1 src1_sel:DWORD
	s_nop 0
	v_cndmask_b32_e32 v26, v26, v67, vcc
	v_and_b32_e32 v67, 1, v72
	v_cmp_eq_u32_e32 vcc, 1, v67
	s_nop 1
	v_cndmask_b32_e64 v78, v66, 1, vcc
	v_lshlrev_b32_e32 v66, 16, v78
	v_or_b32_sdwa v74, v66, v26 dst_sel:DWORD dst_unused:UNUSED_PAD src0_sel:DWORD src1_sel:WORD_0
	v_mov_b32_e32 v72, v78
.LBB54_164:
	s_or_b64 exec, exec, s[64:65]
	v_cmp_gt_u32_e32 vcc, 60, v31
	v_add_u32_e32 v67, 4, v25
	s_waitcnt lgkmcnt(0)
	v_cndmask_b32_e64 v66, 0, 1, vcc
	v_lshlrev_b32_e32 v66, 2, v66
	v_add_lshl_u32 v66, v66, v25, 2
	ds_bpermute_b32 v68, v66, v74
	v_cmp_le_u32_e32 vcc, v67, v30
	s_and_saveexec_b64 s[64:65], vcc
	s_cbranch_execz .LBB54_166
; %bb.165:
	s_waitcnt lgkmcnt(0)
	v_lshlrev_b32_e32 v69, 16, v68
	v_lshlrev_b32_e32 v70, 16, v26
	v_cmp_lt_f32_e32 vcc, v69, v70
	v_mov_b32_e32 v70, 1
	s_nop 0
	v_cndmask_b32_e32 v69, v68, v26, vcc
	v_cmp_eq_u16_e32 vcc, 0, v72
	v_and_b32_sdwa v68, v68, v70 dst_sel:DWORD dst_unused:UNUSED_PAD src0_sel:WORD_1 src1_sel:DWORD
	s_nop 0
	v_cndmask_b32_e32 v26, v26, v69, vcc
	v_and_b32_e32 v69, 1, v72
	v_cmp_eq_u32_e32 vcc, 1, v69
	s_nop 1
	v_cndmask_b32_e64 v78, v68, 1, vcc
	v_lshlrev_b32_e32 v68, 16, v78
	v_or_b32_sdwa v74, v68, v26 dst_sel:DWORD dst_unused:UNUSED_PAD src0_sel:DWORD src1_sel:WORD_0
	v_mov_b32_e32 v72, v78
.LBB54_166:
	s_or_b64 exec, exec, s[64:65]
	v_cmp_gt_u32_e32 vcc, 56, v31
	v_add_u32_e32 v69, 8, v25
	s_waitcnt lgkmcnt(0)
	v_cndmask_b32_e64 v68, 0, 1, vcc
	v_lshlrev_b32_e32 v68, 3, v68
	v_add_lshl_u32 v68, v68, v25, 2
	ds_bpermute_b32 v70, v68, v74
	v_cmp_le_u32_e32 vcc, v69, v30
	s_and_saveexec_b64 s[64:65], vcc
	s_cbranch_execz .LBB54_168
; %bb.167:
	s_waitcnt lgkmcnt(0)
	v_lshlrev_b32_e32 v71, 16, v70
	v_lshlrev_b32_e32 v73, 16, v26
	v_cmp_lt_f32_e32 vcc, v71, v73
	s_nop 1
	v_cndmask_b32_e32 v71, v70, v26, vcc
	v_cmp_eq_u16_e32 vcc, 0, v72
	s_nop 1
	v_cndmask_b32_e32 v26, v26, v71, vcc
	v_and_b32_e32 v71, 1, v72
	v_mov_b32_e32 v72, 1
	v_and_b32_sdwa v70, v70, v72 dst_sel:DWORD dst_unused:UNUSED_PAD src0_sel:WORD_1 src1_sel:DWORD
	v_cmp_eq_u32_e32 vcc, 1, v71
	s_nop 1
	v_cndmask_b32_e64 v78, v70, 1, vcc
	v_lshlrev_b32_e32 v70, 16, v78
	v_or_b32_sdwa v74, v70, v26 dst_sel:DWORD dst_unused:UNUSED_PAD src0_sel:DWORD src1_sel:WORD_0
	v_mov_b32_e32 v72, v78
.LBB54_168:
	s_or_b64 exec, exec, s[64:65]
	v_cmp_gt_u32_e32 vcc, 48, v31
	v_add_u32_e32 v71, 16, v25
	s_waitcnt lgkmcnt(0)
	v_cndmask_b32_e64 v70, 0, 1, vcc
	v_lshlrev_b32_e32 v70, 4, v70
	v_add_lshl_u32 v70, v70, v25, 2
	ds_bpermute_b32 v73, v70, v74
	v_cmp_le_u32_e32 vcc, v71, v30
	s_and_saveexec_b64 s[64:65], vcc
	s_cbranch_execz .LBB54_170
; %bb.169:
	s_waitcnt lgkmcnt(0)
	v_lshlrev_b32_e32 v74, 16, v73
	v_lshlrev_b32_e32 v75, 16, v26
	v_cmp_lt_f32_e32 vcc, v74, v75
	s_nop 1
	v_cndmask_b32_e32 v74, v73, v26, vcc
	v_cmp_eq_u16_e32 vcc, 0, v72
	v_and_b32_e32 v72, 1, v72
	s_nop 0
	v_cndmask_b32_e32 v26, v26, v74, vcc
	v_mov_b32_e32 v74, 1
	v_and_b32_sdwa v73, v73, v74 dst_sel:DWORD dst_unused:UNUSED_PAD src0_sel:WORD_1 src1_sel:DWORD
	v_cmp_eq_u32_e32 vcc, 1, v72
	s_nop 1
	v_cndmask_b32_e64 v78, v73, 1, vcc
	v_lshlrev_b32_e32 v72, 16, v78
	v_or_b32_sdwa v74, v72, v26 dst_sel:DWORD dst_unused:UNUSED_PAD src0_sel:DWORD src1_sel:WORD_0
	v_mov_b32_e32 v72, v78
.LBB54_170:
	s_or_b64 exec, exec, s[64:65]
	v_cmp_gt_u32_e32 vcc, 32, v31
	v_add_u32_e32 v75, 32, v25
	s_nop 0
	v_cndmask_b32_e64 v31, 0, 1, vcc
	v_lshlrev_b32_e32 v31, 5, v31
	s_waitcnt lgkmcnt(0)
	v_add_lshl_u32 v73, v31, v25, 2
	ds_bpermute_b32 v31, v73, v74
	v_cmp_le_u32_e32 vcc, v75, v30
	s_and_saveexec_b64 s[64:65], vcc
	s_cbranch_execz .LBB54_172
; %bb.171:
	s_waitcnt lgkmcnt(0)
	v_lshlrev_b32_e32 v25, 16, v31
	v_lshlrev_b32_e32 v30, 16, v26
	v_cmp_lt_f32_e32 vcc, v25, v30
	v_mov_b32_e32 v30, 1
	v_and_b32_sdwa v30, v31, v30 dst_sel:DWORD dst_unused:UNUSED_PAD src0_sel:WORD_1 src1_sel:DWORD
	v_cndmask_b32_e32 v25, v31, v26, vcc
	v_cmp_eq_u16_e32 vcc, 0, v72
	s_nop 1
	v_cndmask_b32_e32 v26, v26, v25, vcc
	v_and_b32_e32 v25, 1, v72
	v_cmp_eq_u32_e32 vcc, 1, v25
	s_nop 1
	v_cndmask_b32_e64 v78, v30, 1, vcc
.LBB54_172:
	s_or_b64 exec, exec, s[64:65]
	v_mov_b32_e32 v25, 0
	v_mov_b32_e32 v76, 2
	;; [unrolled: 1-line block ×3, first 2 shown]
	s_branch .LBB54_174
.LBB54_173:                             ;   in Loop: Header=BB54_174 Depth=1
	s_or_b64 exec, exec, s[64:65]
	v_lshlrev_b32_e32 v30, 16, v26
	v_lshlrev_b32_e32 v78, 16, v74
	v_cmp_lt_f32_e32 vcc, v30, v78
	v_and_b32_e32 v30, 1, v72
	v_and_b32_e32 v31, 1, v31
	v_cndmask_b32_e32 v26, v26, v74, vcc
	v_cmp_eq_u16_sdwa vcc, v72, v25 src0_sel:BYTE_0 src1_sel:DWORD
	v_subrev_u32_e32 v24, 64, v24
	s_nop 0
	v_cndmask_b32_e32 v26, v74, v26, vcc
	v_cmp_eq_u32_e32 vcc, 1, v30
	s_nop 1
	v_cndmask_b32_e64 v78, v31, 1, vcc
.LBB54_174:                             ; =>This Loop Header: Depth=1
                                        ;     Child Loop BB54_177 Depth 2
	v_cmp_ne_u16_sdwa s[64:65], v27, v76 src0_sel:BYTE_0 src1_sel:DWORD
	v_mov_b32_e32 v72, v78
	v_mov_b32_e32 v74, v26
	v_cndmask_b32_e64 v27, 0, 1, s[64:65]
	;;#ASMSTART
	;;#ASMEND
	s_nop 0
	v_cmp_ne_u32_e32 vcc, 0, v27
	s_cmp_lg_u64 vcc, exec
	s_cbranch_scc1 .LBB54_191
; %bb.175:                              ;   in Loop: Header=BB54_174 Depth=1
	s_waitcnt lgkmcnt(0)
	v_lshl_add_u64 v[30:31], v[24:25], 3, s[60:61]
	global_load_dwordx2 v[26:27], v[30:31], off sc1
	s_waitcnt vmcnt(0)
	v_cmp_eq_u16_sdwa s[66:67], v27, v25 src0_sel:BYTE_0 src1_sel:DWORD
	s_and_saveexec_b64 s[64:65], s[66:67]
	s_cbranch_execz .LBB54_179
; %bb.176:                              ;   in Loop: Header=BB54_174 Depth=1
	s_mov_b64 s[66:67], 0
.LBB54_177:                             ;   Parent Loop BB54_174 Depth=1
                                        ; =>  This Inner Loop Header: Depth=2
	global_load_dwordx2 v[26:27], v[30:31], off sc1
	s_waitcnt vmcnt(0)
	v_cmp_ne_u16_sdwa s[70:71], v27, v25 src0_sel:BYTE_0 src1_sel:DWORD
	s_or_b64 s[66:67], s[70:71], s[66:67]
	s_andn2_b64 exec, exec, s[66:67]
	s_cbranch_execnz .LBB54_177
; %bb.178:                              ;   in Loop: Header=BB54_174 Depth=1
	s_or_b64 exec, exec, s[66:67]
.LBB54_179:                             ;   in Loop: Header=BB54_174 Depth=1
	s_or_b64 exec, exec, s[64:65]
	v_cmp_eq_u16_sdwa s[64:65], v27, v76 src0_sel:BYTE_0 src1_sel:DWORD
	v_and_b32_e32 v79, 0xffffff, v26
	ds_bpermute_b32 v80, v23, v79
	v_and_b32_e32 v30, s65, v29
	v_or_b32_e32 v30, 0x80000000, v30
	v_and_b32_e32 v31, s64, v28
	v_ffbl_b32_e32 v30, v30
	v_add_u32_e32 v30, 32, v30
	v_ffbl_b32_e32 v31, v31
	v_min_u32_e32 v30, v31, v30
	v_lshrrev_b32_e32 v31, 16, v26
	v_cmp_le_u32_e32 vcc, v63, v30
	v_bfe_u32 v78, v26, 16, 8
	s_and_saveexec_b64 s[64:65], vcc
	s_cbranch_execz .LBB54_181
; %bb.180:                              ;   in Loop: Header=BB54_174 Depth=1
	s_waitcnt lgkmcnt(0)
	v_lshlrev_b32_e32 v78, 16, v80
	v_lshlrev_b32_e32 v79, 16, v26
	v_and_b32_e32 v31, 0xff0000, v26
	v_cmp_lt_f32_e32 vcc, v78, v79
	s_nop 1
	v_cndmask_b32_e32 v78, v80, v26, vcc
	v_cmp_eq_u32_e32 vcc, 0, v31
	v_and_b32_e32 v31, 0x10000, v31
	s_nop 0
	v_cndmask_b32_e32 v26, v26, v78, vcc
	v_and_b32_sdwa v78, v80, v77 dst_sel:DWORD dst_unused:UNUSED_PAD src0_sel:WORD_1 src1_sel:DWORD
	v_cmp_ne_u32_e32 vcc, 0, v31
	s_nop 1
	v_cndmask_b32_e64 v31, v78, 1, vcc
	v_lshlrev_b32_e32 v78, 16, v31
	v_or_b32_sdwa v79, v78, v26 dst_sel:DWORD dst_unused:UNUSED_PAD src0_sel:DWORD src1_sel:WORD_0
	v_mov_b32_e32 v78, v31
.LBB54_181:                             ;   in Loop: Header=BB54_174 Depth=1
	s_or_b64 exec, exec, s[64:65]
	s_waitcnt lgkmcnt(0)
	ds_bpermute_b32 v80, v64, v79
	v_cmp_le_u32_e32 vcc, v65, v30
	s_and_saveexec_b64 s[64:65], vcc
	s_cbranch_execz .LBB54_183
; %bb.182:                              ;   in Loop: Header=BB54_174 Depth=1
	s_waitcnt lgkmcnt(0)
	v_lshlrev_b32_e32 v31, 16, v80
	v_lshlrev_b32_e32 v79, 16, v26
	v_cmp_lt_f32_e32 vcc, v31, v79
	s_nop 1
	v_cndmask_b32_e32 v31, v80, v26, vcc
	v_cmp_eq_u16_e32 vcc, 0, v78
	s_nop 1
	v_cndmask_b32_e32 v26, v26, v31, vcc
	v_and_b32_e32 v31, 1, v78
	v_and_b32_sdwa v78, v80, v77 dst_sel:DWORD dst_unused:UNUSED_PAD src0_sel:WORD_1 src1_sel:DWORD
	v_cmp_eq_u32_e32 vcc, 1, v31
	s_nop 1
	v_cndmask_b32_e64 v31, v78, 1, vcc
	v_lshlrev_b32_e32 v78, 16, v31
	v_or_b32_sdwa v79, v78, v26 dst_sel:DWORD dst_unused:UNUSED_PAD src0_sel:DWORD src1_sel:WORD_0
	v_mov_b32_e32 v78, v31
.LBB54_183:                             ;   in Loop: Header=BB54_174 Depth=1
	s_or_b64 exec, exec, s[64:65]
	s_waitcnt lgkmcnt(0)
	ds_bpermute_b32 v80, v66, v79
	v_cmp_le_u32_e32 vcc, v67, v30
	s_and_saveexec_b64 s[64:65], vcc
	s_cbranch_execz .LBB54_185
; %bb.184:                              ;   in Loop: Header=BB54_174 Depth=1
	s_waitcnt lgkmcnt(0)
	v_lshlrev_b32_e32 v31, 16, v80
	v_lshlrev_b32_e32 v79, 16, v26
	v_cmp_lt_f32_e32 vcc, v31, v79
	s_nop 1
	v_cndmask_b32_e32 v31, v80, v26, vcc
	v_cmp_eq_u16_e32 vcc, 0, v78
	s_nop 1
	v_cndmask_b32_e32 v26, v26, v31, vcc
	v_and_b32_e32 v31, 1, v78
	v_and_b32_sdwa v78, v80, v77 dst_sel:DWORD dst_unused:UNUSED_PAD src0_sel:WORD_1 src1_sel:DWORD
	v_cmp_eq_u32_e32 vcc, 1, v31
	s_nop 1
	v_cndmask_b32_e64 v31, v78, 1, vcc
	v_lshlrev_b32_e32 v78, 16, v31
	v_or_b32_sdwa v79, v78, v26 dst_sel:DWORD dst_unused:UNUSED_PAD src0_sel:DWORD src1_sel:WORD_0
	v_mov_b32_e32 v78, v31
.LBB54_185:                             ;   in Loop: Header=BB54_174 Depth=1
	;; [unrolled: 25-line block ×4, first 2 shown]
	s_or_b64 exec, exec, s[64:65]
	ds_bpermute_b32 v79, v73, v79
	v_cmp_le_u32_e32 vcc, v75, v30
	s_and_saveexec_b64 s[64:65], vcc
	s_cbranch_execz .LBB54_173
; %bb.190:                              ;   in Loop: Header=BB54_174 Depth=1
	s_waitcnt lgkmcnt(0)
	v_lshlrev_b32_e32 v30, 16, v79
	v_lshlrev_b32_e32 v31, 16, v26
	v_cmp_lt_f32_e32 vcc, v30, v31
	v_lshrrev_b32_e32 v31, 16, v79
	s_nop 0
	v_cndmask_b32_e32 v30, v79, v26, vcc
	v_cmp_eq_u16_e32 vcc, 0, v78
	s_nop 1
	v_cndmask_b32_e32 v26, v26, v30, vcc
	v_and_b32_e32 v30, 1, v78
	v_cmp_eq_u32_e32 vcc, 1, v30
	s_nop 1
	v_cndmask_b32_e64 v31, v31, 1, vcc
	s_branch .LBB54_173
.LBB54_191:                             ;   in Loop: Header=BB54_174 Depth=1
                                        ; implicit-def: $vgpr78
                                        ; implicit-def: $vgpr26
	s_cbranch_execz .LBB54_174
; %bb.192:
	s_and_saveexec_b64 s[64:65], s[52:53]
	s_cbranch_execz .LBB54_194
; %bb.193:
	v_lshlrev_b32_e32 v24, 16, v22
	v_lshlrev_b32_e32 v25, 16, v74
	v_and_b32_e32 v23, 0xff0000, v22
	v_cmp_lt_f32_e32 vcc, v25, v24
	s_mov_b32 s3, 0
	s_add_i32 s2, s2, 64
	v_cndmask_b32_e32 v24, v74, v22, vcc
	v_cmp_eq_u32_e32 vcc, 0, v23
	s_lshl_b64 s[2:3], s[2:3], 3
	s_add_u32 s2, s60, s2
	v_cndmask_b32_e32 v23, v22, v24, vcc
	v_and_b32_e32 v22, 0x10000, v22
	v_mov_b32_e32 v24, 1
	v_and_b32_sdwa v24, v72, v24 dst_sel:WORD_1 dst_unused:UNUSED_PAD src0_sel:DWORD src1_sel:DWORD
	v_and_b32_e32 v25, 0xffff, v23
	v_mov_b32_e32 v23, 0x10000
	v_cmp_eq_u32_e32 vcc, 0, v22
	s_addc_u32 s3, s61, s3
	v_mov_b32_e32 v26, 0
	v_cndmask_b32_e32 v22, v23, v24, vcc
	v_mov_b32_e32 v23, 2
	v_or_b32_e32 v22, v22, v25
	global_store_dwordx2 v26, v[22:23], s[2:3] sc1
.LBB54_194:
	s_or_b64 exec, exec, s[64:65]
	v_cmp_eq_u32_e32 vcc, 0, v0
	s_and_b64 exec, exec, vcc
	s_cbranch_execz .LBB54_196
; %bb.195:
	v_mov_b32_e32 v22, 0
	ds_write_b16 v22, v74 offset:12
	ds_write_b8 v22, v72 offset:14
.LBB54_196:
	s_or_b64 exec, exec, s[58:59]
	v_mov_b32_e32 v22, 0
	s_waitcnt lgkmcnt(0)
	s_barrier
	ds_read_b32 v23, v22 offset:12
	v_lshrrev_b32_e32 v25, 16, v50
	v_cmp_ne_u32_e32 vcc, 0, v0
	v_mov_b32_e32 v24, v50
	s_and_saveexec_b64 s[2:3], vcc
	s_cbranch_execz .LBB54_198
; %bb.197:
	v_lshrrev_b32_e32 v24, 16, v62
	v_cndmask_b32_e64 v25, v62, v60, s[52:53]
	v_cndmask_b32_e64 v26, v24, v61, s[52:53]
	v_lshlrev_b32_e32 v24, 16, v25
	s_mov_b32 s52, 0x10000
	v_cmp_gt_f32_e32 vcc, v59, v24
	v_and_b32_e32 v26, 1, v26
	s_nop 0
	v_cndmask_b32_e32 v24, v25, v50, vcc
	v_cmp_gt_u32_e32 vcc, s52, v50
	v_and_b32_e32 v25, 0x10000, v50
	s_nop 0
	v_cndmask_b32_e32 v24, v50, v24, vcc
	v_cmp_ne_u32_e32 vcc, 0, v25
	s_nop 1
	v_cndmask_b32_e64 v25, v26, 1, vcc
.LBB54_198:
	s_or_b64 exec, exec, s[2:3]
	s_waitcnt lgkmcnt(0)
	v_lshlrev_b32_e32 v26, 16, v23
	v_lshlrev_b32_e32 v27, 16, v24
	v_cmp_lt_f32_e32 vcc, v26, v27
	s_nop 1
	v_cndmask_b32_e32 v23, v23, v24, vcc
	v_cmp_eq_u16_sdwa vcc, v25, v22 src0_sel:BYTE_0 src1_sel:DWORD
	s_nop 1
	v_cndmask_b32_e32 v23, v24, v23, vcc
	v_lshlrev_b32_e32 v24, 16, v23
	v_cmp_gt_f32_e32 vcc, v57, v24
	v_and_b32_e32 v22, 0xffff, v23
	s_nop 0
	v_cndmask_b32_e32 v23, v23, v51, vcc
	v_cndmask_b32_e64 v23, v51, v23, s[4:5]
	v_lshlrev_b32_e32 v24, 16, v23
	v_cmp_gt_f32_e32 vcc, v56, v24
	s_nop 1
	v_cndmask_b32_e32 v24, v23, v1, vcc
	v_cndmask_b32_e64 v24, v1, v24, s[6:7]
	v_lshlrev_b32_e32 v25, 16, v24
	v_cmp_gt_f32_e32 vcc, v55, v25
	;; [unrolled: 5-line block ×22, first 2 shown]
	s_nop 1
	v_cndmask_b32_e32 v72, v71, v32, vcc
	v_cndmask_b32_e64 v72, v32, v72, s[50:51]
	s_branch .LBB54_253
.LBB54_199:
	s_or_b64 exec, exec, s[66:67]
                                        ; implicit-def: $vgpr6
	s_and_saveexec_b64 s[4:5], s[6:7]
	s_cbranch_execz .LBB54_53
.LBB54_200:
	global_load_ushort v6, v[4:5], off offset:512
	s_or_b64 exec, exec, s[4:5]
                                        ; implicit-def: $vgpr7
	s_and_saveexec_b64 s[4:5], s[8:9]
	s_cbranch_execnz .LBB54_54
.LBB54_201:
	s_or_b64 exec, exec, s[4:5]
                                        ; implicit-def: $vgpr8
	s_and_saveexec_b64 s[4:5], s[10:11]
	s_cbranch_execz .LBB54_55
.LBB54_202:
	global_load_ushort v8, v[4:5], off offset:1536
	s_or_b64 exec, exec, s[4:5]
                                        ; implicit-def: $vgpr9
	s_and_saveexec_b64 s[4:5], s[12:13]
	s_cbranch_execnz .LBB54_56
.LBB54_203:
	s_or_b64 exec, exec, s[4:5]
                                        ; implicit-def: $vgpr10
	s_and_saveexec_b64 s[4:5], s[14:15]
	s_cbranch_execz .LBB54_57
.LBB54_204:
	global_load_ushort v10, v[4:5], off offset:2560
	s_or_b64 exec, exec, s[4:5]
                                        ; implicit-def: $vgpr11
	s_and_saveexec_b64 s[4:5], s[16:17]
	s_cbranch_execnz .LBB54_58
.LBB54_205:
	s_or_b64 exec, exec, s[4:5]
                                        ; implicit-def: $vgpr12
	s_and_saveexec_b64 s[4:5], s[18:19]
	s_cbranch_execz .LBB54_59
.LBB54_206:
	global_load_ushort v12, v[4:5], off offset:3584
	s_or_b64 exec, exec, s[4:5]
                                        ; implicit-def: $vgpr13
	s_and_saveexec_b64 s[4:5], s[20:21]
	s_cbranch_execnz .LBB54_60
.LBB54_207:
	s_or_b64 exec, exec, s[4:5]
                                        ; implicit-def: $vgpr14
	s_and_saveexec_b64 s[4:5], s[22:23]
	s_cbranch_execz .LBB54_61
.LBB54_208:
	v_add_co_u32_e32 v14, vcc, 0x1000, v4
	s_nop 1
	v_addc_co_u32_e32 v15, vcc, 0, v5, vcc
	global_load_ushort v14, v[14:15], off offset:512
	s_or_b64 exec, exec, s[4:5]
                                        ; implicit-def: $vgpr15
	s_and_saveexec_b64 s[4:5], s[24:25]
	s_cbranch_execnz .LBB54_62
.LBB54_209:
	s_or_b64 exec, exec, s[4:5]
                                        ; implicit-def: $vgpr16
	s_and_saveexec_b64 s[4:5], s[26:27]
	s_cbranch_execz .LBB54_63
.LBB54_210:
	v_add_co_u32_e32 v16, vcc, 0x1000, v4
	s_nop 1
	v_addc_co_u32_e32 v17, vcc, 0, v5, vcc
	global_load_ushort v16, v[16:17], off offset:1536
	s_or_b64 exec, exec, s[4:5]
                                        ; implicit-def: $vgpr17
	s_and_saveexec_b64 s[4:5], s[28:29]
	s_cbranch_execnz .LBB54_64
.LBB54_211:
	s_or_b64 exec, exec, s[4:5]
                                        ; implicit-def: $vgpr18
	s_and_saveexec_b64 s[4:5], s[30:31]
	s_cbranch_execz .LBB54_65
.LBB54_212:
	v_add_co_u32_e32 v18, vcc, 0x1000, v4
	s_nop 1
	v_addc_co_u32_e32 v19, vcc, 0, v5, vcc
	global_load_ushort v18, v[18:19], off offset:2560
	s_or_b64 exec, exec, s[4:5]
                                        ; implicit-def: $vgpr19
	s_and_saveexec_b64 s[4:5], s[34:35]
	s_cbranch_execnz .LBB54_66
.LBB54_213:
	s_or_b64 exec, exec, s[4:5]
                                        ; implicit-def: $vgpr20
	s_and_saveexec_b64 s[4:5], s[36:37]
	s_cbranch_execz .LBB54_67
.LBB54_214:
	v_add_co_u32_e32 v20, vcc, 0x1000, v4
	s_nop 1
	v_addc_co_u32_e32 v21, vcc, 0, v5, vcc
	global_load_ushort v20, v[20:21], off offset:3584
	s_or_b64 exec, exec, s[4:5]
                                        ; implicit-def: $vgpr21
	s_and_saveexec_b64 s[4:5], s[38:39]
	s_cbranch_execnz .LBB54_68
.LBB54_215:
	s_or_b64 exec, exec, s[4:5]
                                        ; implicit-def: $vgpr47
	s_and_saveexec_b64 s[4:5], s[40:41]
	s_cbranch_execz .LBB54_69
.LBB54_216:
	v_add_co_u32_e32 v48, vcc, 0x2000, v4
	s_nop 1
	v_addc_co_u32_e32 v49, vcc, 0, v5, vcc
	global_load_ushort v47, v[48:49], off offset:512
	s_or_b64 exec, exec, s[4:5]
                                        ; implicit-def: $vgpr49
	s_and_saveexec_b64 s[4:5], s[42:43]
	s_cbranch_execnz .LBB54_70
.LBB54_217:
	s_or_b64 exec, exec, s[4:5]
                                        ; implicit-def: $vgpr50
	s_and_saveexec_b64 s[4:5], s[44:45]
	s_cbranch_execz .LBB54_71
.LBB54_218:
	v_add_co_u32_e32 v50, vcc, 0x2000, v4
	s_nop 1
	v_addc_co_u32_e32 v51, vcc, 0, v5, vcc
	global_load_ushort v50, v[50:51], off offset:1536
	s_or_b64 exec, exec, s[4:5]
                                        ; implicit-def: $vgpr51
	s_and_saveexec_b64 s[4:5], s[46:47]
	s_cbranch_execnz .LBB54_72
.LBB54_219:
	s_or_b64 exec, exec, s[4:5]
                                        ; implicit-def: $vgpr52
	s_and_saveexec_b64 s[4:5], s[48:49]
	s_cbranch_execz .LBB54_73
.LBB54_220:
	v_add_co_u32_e32 v52, vcc, 0x2000, v4
	s_nop 1
	v_addc_co_u32_e32 v53, vcc, 0, v5, vcc
	global_load_ushort v52, v[52:53], off offset:2560
	s_or_b64 exec, exec, s[4:5]
                                        ; implicit-def: $vgpr54
	s_and_saveexec_b64 s[4:5], s[50:51]
	s_cbranch_execz .LBB54_75
	s_branch .LBB54_74
.LBB54_221:
                                        ; implicit-def: $vgpr22
                                        ; implicit-def: $vgpr23
                                        ; implicit-def: $vgpr24
                                        ; implicit-def: $vgpr25
                                        ; implicit-def: $vgpr26
                                        ; implicit-def: $vgpr27
                                        ; implicit-def: $vgpr28
                                        ; implicit-def: $vgpr30
                                        ; implicit-def: $vgpr29
                                        ; implicit-def: $vgpr31
                                        ; implicit-def: $vgpr59
                                        ; implicit-def: $vgpr60
                                        ; implicit-def: $vgpr61
                                        ; implicit-def: $vgpr62
                                        ; implicit-def: $vgpr63
                                        ; implicit-def: $vgpr65
                                        ; implicit-def: $vgpr64
                                        ; implicit-def: $vgpr66
                                        ; implicit-def: $vgpr67
                                        ; implicit-def: $vgpr68
                                        ; implicit-def: $vgpr69
                                        ; implicit-def: $vgpr70
                                        ; implicit-def: $vgpr71
                                        ; implicit-def: $vgpr72
	s_cbranch_execz .LBB54_253
; %bb.222:
	s_cmp_lg_u64 s[54:55], 0
	s_cselect_b64 s[2:3], -1, 0
	v_cmp_eq_u32_e32 vcc, 0, v0
	v_cmp_ne_u32_e64 s[4:5], 0, v0
	s_and_b64 s[2:3], vcc, s[2:3]
	s_and_saveexec_b64 s[6:7], s[2:3]
	s_cbranch_execz .LBB54_224
; %bb.223:
	v_mov_b32_e32 v22, 0
	global_load_ushort v23, v22, s[54:55]
	global_load_ubyte v24, v22, s[54:55] offset:2
	v_lshlrev_b32_e32 v22, 16, v50
	s_mov_b32 s8, 0x10000
	v_and_b32_e32 v25, 0x10000, v50
	v_mov_b32_e32 v26, 1
	v_mov_b32_e32 v27, 0x10000
	s_waitcnt vmcnt(1)
	v_lshlrev_b32_e32 v28, 16, v23
	v_cmp_lt_f32_e64 s[2:3], v28, v22
	s_waitcnt vmcnt(0)
	v_and_b32_sdwa v24, v24, v26 dst_sel:WORD_1 dst_unused:UNUSED_PAD src0_sel:DWORD src1_sel:DWORD
	v_cndmask_b32_e64 v22, v23, v50, s[2:3]
	v_cmp_gt_u32_e64 s[2:3], s8, v50
	s_nop 1
	v_cndmask_b32_e64 v22, v50, v22, s[2:3]
	v_cmp_eq_u32_e64 s[2:3], 0, v25
	s_nop 1
	v_cndmask_b32_e64 v23, v27, v24, s[2:3]
	v_or_b32_sdwa v50, v23, v22 dst_sel:DWORD dst_unused:UNUSED_PAD src0_sel:DWORD src1_sel:WORD_0
.LBB54_224:
	s_or_b64 exec, exec, s[6:7]
	v_lshlrev_b32_e32 v22, 16, v50
	s_mov_b32 s52, 0x10000
	v_cmp_lt_f32_e64 s[2:3], v22, v57
	v_cmp_gt_u32_e64 s[6:7], s52, v51
	v_and_b32_e32 v25, 0x10000, v51
	v_cndmask_b32_e64 v23, v50, v51, s[2:3]
	v_cndmask_b32_e64 v23, v51, v23, s[6:7]
	v_cmp_ne_u32_e64 s[54:55], 0, v25
	v_lshlrev_b32_e32 v25, 16, v23
	v_cmp_lt_f32_e64 s[2:3], v25, v56
	v_cmp_gt_u32_e64 s[8:9], s52, v1
	v_cmp_gt_u32_e64 s[10:11], s52, v18
	v_cndmask_b32_e64 v23, v23, v1, s[2:3]
	v_cndmask_b32_e64 v23, v1, v23, s[8:9]
	v_lshlrev_b32_e32 v25, 16, v23
	v_cmp_lt_f32_e64 s[2:3], v25, v55
	v_cmp_gt_u32_e64 s[12:13], s52, v19
	v_cmp_gt_u32_e64 s[14:15], s52, v20
	v_cndmask_b32_e64 v23, v23, v18, s[2:3]
	v_cndmask_b32_e64 v23, v18, v23, s[10:11]
	v_lshlrev_b32_e32 v25, 16, v23
	v_cmp_lt_f32_e64 s[2:3], v25, v54
	v_mov_b32_e32 v26, 1
	v_and_b32_sdwa v28, v18, v26 dst_sel:DWORD dst_unused:UNUSED_PAD src0_sel:WORD_1 src1_sel:DWORD
	v_cndmask_b32_e64 v23, v23, v19, s[2:3]
	v_cndmask_b32_e64 v23, v19, v23, s[12:13]
	v_lshlrev_b32_e32 v25, 16, v23
	v_cmp_lt_f32_e64 s[2:3], v25, v53
	v_and_b32_sdwa v29, v20, v26 dst_sel:DWORD dst_unused:UNUSED_PAD src0_sel:WORD_1 src1_sel:DWORD
	v_cmp_gt_u32_e64 s[16:17], s52, v21
	v_cndmask_b32_e64 v23, v23, v20, s[2:3]
	v_cndmask_b32_e64 v23, v20, v23, s[14:15]
	v_lshlrev_b32_e32 v25, 16, v23
	v_cmp_lt_f32_e64 s[2:3], v25, v52
	v_bfe_u32 v25, v19, 16, 1
	v_lshlrev_b16_e32 v25, 1, v25
	v_or_b32_e32 v25, v28, v25
	v_bfe_u32 v28, v21, 16, 1
	v_cndmask_b32_e64 v23, v23, v21, s[2:3]
	v_lshlrev_b16_e32 v28, 3, v28
	v_lshlrev_b16_e32 v29, 2, v29
	v_cndmask_b32_e64 v23, v21, v23, s[16:17]
	v_or_b32_e32 v28, v28, v29
	v_or_b32_e32 v28, v25, v28
	v_lshlrev_b32_e32 v25, 16, v23
	v_cmp_lt_f32_e64 s[2:3], v25, v49
	v_cmp_gt_u32_e64 s[18:19], s52, v2
	v_cmp_gt_u32_e64 s[20:21], s52, v3
	v_cndmask_b32_e64 v23, v23, v2, s[2:3]
	v_cndmask_b32_e64 v23, v2, v23, s[18:19]
	v_lshlrev_b32_e32 v25, 16, v23
	v_cmp_lt_f32_e64 s[2:3], v25, v48
	v_cmp_gt_u32_e64 s[22:23], s52, v4
	v_cmp_gt_u32_e64 s[24:25], s52, v5
	v_cndmask_b32_e64 v23, v23, v3, s[2:3]
	v_cndmask_b32_e64 v23, v3, v23, s[20:21]
	;; [unrolled: 6-line block ×7, first 2 shown]
	v_lshlrev_b32_e32 v25, 16, v23
	v_cmp_lt_f32_e64 s[2:3], v25, v42
	v_cmp_gt_u32_e64 s[48:49], s52, v16
	v_and_b32_sdwa v29, v10, v26 dst_sel:DWORD dst_unused:UNUSED_PAD src0_sel:WORD_1 src1_sel:DWORD
	v_cndmask_b32_e64 v23, v23, v9, s[2:3]
	v_cndmask_b32_e64 v23, v9, v23, s[34:35]
	v_lshlrev_b32_e32 v25, 16, v23
	v_cmp_lt_f32_e64 s[2:3], v25, v41
	v_and_b32_sdwa v30, v12, v26 dst_sel:DWORD dst_unused:UNUSED_PAD src0_sel:WORD_1 src1_sel:DWORD
	v_lshlrev_b16_e32 v30, 2, v30
	v_cndmask_b32_e64 v23, v23, v10, s[2:3]
	v_cndmask_b32_e64 v23, v10, v23, s[36:37]
	v_lshlrev_b32_e32 v25, 16, v23
	v_cmp_lt_f32_e64 s[2:3], v25, v40
	v_and_b32_sdwa v31, v16, v26 dst_sel:DWORD dst_unused:UNUSED_PAD src0_sel:WORD_1 src1_sel:DWORD
	v_lshlrev_b16_e32 v31, 2, v31
	;; [unrolled: 6-line block ×3, first 2 shown]
	v_cndmask_b32_e64 v23, v23, v12, s[2:3]
	v_cndmask_b32_e64 v23, v12, v23, s[40:41]
	v_lshlrev_b32_e32 v25, 16, v23
	v_cmp_lt_f32_e64 s[2:3], v25, v38
	v_cmp_gt_u32_e64 s[50:51], s52, v17
	v_cmp_gt_u32_e64 s[52:53], s52, v32
	v_cndmask_b32_e64 v23, v23, v13, s[2:3]
	v_cndmask_b32_e64 v23, v13, v23, s[42:43]
	v_lshlrev_b32_e32 v25, 16, v23
	v_cmp_lt_f32_e64 s[2:3], v25, v37
	v_mov_b32_e32 v24, 0x10000
	v_and_b32_e32 v27, 0x10000, v50
	v_cndmask_b32_e64 v23, v23, v14, s[2:3]
	v_cndmask_b32_e64 v23, v14, v23, s[44:45]
	v_lshlrev_b32_e32 v25, 16, v23
	v_cmp_lt_f32_e64 s[2:3], v25, v36
	s_nop 1
	v_cndmask_b32_e64 v23, v23, v15, s[2:3]
	v_cndmask_b32_e64 v23, v15, v23, s[46:47]
	v_lshlrev_b32_e32 v25, 16, v23
	v_cmp_lt_f32_e64 s[2:3], v25, v35
	s_nop 1
	v_cndmask_b32_e64 v23, v23, v16, s[2:3]
	v_cndmask_b32_e64 v23, v16, v23, s[48:49]
	v_lshlrev_b32_e32 v25, 16, v23
	v_cmp_lt_f32_e64 s[2:3], v25, v34
	v_bfe_u32 v25, v11, 16, 1
	v_lshlrev_b16_e32 v25, 1, v25
	v_or_b32_e32 v25, v29, v25
	v_bfe_u32 v29, v13, 16, 1
	v_lshlrev_b16_e32 v29, 3, v29
	v_or_b32_e32 v29, v29, v30
	v_or_b32_sdwa v25, v25, v29 dst_sel:BYTE_1 dst_unused:UNUSED_PAD src0_sel:DWORD src1_sel:DWORD
	v_bfe_u32 v29, v15, 16, 1
	v_lshlrev_b16_e32 v29, 1, v29
	v_and_b32_sdwa v30, v14, v26 dst_sel:DWORD dst_unused:UNUSED_PAD src0_sel:WORD_1 src1_sel:DWORD
	v_or_b32_e32 v29, v30, v29
	v_bfe_u32 v30, v17, 16, 1
	v_lshlrev_b16_e32 v30, 3, v30
	v_or_b32_e32 v30, v30, v31
	v_or_b32_e32 v29, v29, v30
	v_lshlrev_b16_e32 v29, 12, v29
	v_or_b32_e32 v25, v29, v25
	v_bfe_u32 v29, v3, 16, 1
	v_lshlrev_b16_e32 v29, 1, v29
	v_and_b32_sdwa v30, v2, v26 dst_sel:DWORD dst_unused:UNUSED_PAD src0_sel:WORD_1 src1_sel:DWORD
	v_or_b32_e32 v29, v30, v29
	v_bfe_u32 v30, v5, 16, 1
	v_and_b32_sdwa v31, v4, v26 dst_sel:DWORD dst_unused:UNUSED_PAD src0_sel:WORD_1 src1_sel:DWORD
	v_lshlrev_b16_e32 v30, 3, v30
	v_lshlrev_b16_e32 v31, 2, v31
	v_or_b32_e32 v30, v30, v31
	v_or_b32_e32 v29, v29, v30
	v_bfe_u32 v30, v7, 16, 1
	v_lshlrev_b16_e32 v30, 1, v30
	v_and_b32_sdwa v31, v6, v26 dst_sel:DWORD dst_unused:UNUSED_PAD src0_sel:WORD_1 src1_sel:DWORD
	v_or_b32_e32 v30, v31, v30
	v_bfe_u32 v31, v9, 16, 1
	v_lshlrev_b16_e32 v31, 3, v31
	v_or_b32_e32 v31, v31, v59
	v_or_b32_e32 v30, v30, v31
	v_cndmask_b32_e64 v23, v23, v17, s[2:3]
	v_lshlrev_b16_e32 v30, 4, v30
	v_cndmask_b32_e64 v23, v17, v23, s[50:51]
	v_or_b32_e32 v29, v29, v30
	v_or_b32_sdwa v29, v29, v25 dst_sel:DWORD dst_unused:UNUSED_PAD src0_sel:BYTE_0 src1_sel:DWORD
	v_lshlrev_b32_e32 v25, 16, v23
	v_cmp_lt_f32_e64 s[2:3], v25, v33
	s_nop 1
	v_cndmask_b32_e64 v23, v23, v32, s[2:3]
	v_cndmask_b32_e64 v25, v32, v23, s[52:53]
	v_or_b32_e32 v23, v29, v28
	v_cmp_ne_u16_e64 s[2:3], 0, v23
	v_or_b32_e32 v23, v32, v1
	v_and_b32_e32 v23, 0x10000, v23
	v_cmp_ne_u32_e64 s[58:59], 0, v23
	s_or_b64 s[2:3], s[58:59], s[2:3]
	s_or_b64 s[2:3], s[2:3], s[54:55]
	v_cndmask_b32_e64 v27, v27, v24, s[2:3]
	v_mbcnt_hi_u32_b32 v23, -1, v58
	v_and_b32_e32 v29, 15, v23
	v_or_b32_sdwa v28, v27, v25 dst_sel:DWORD dst_unused:UNUSED_PAD src0_sel:DWORD src1_sel:WORD_0
	v_lshrrev_b32_e32 v24, 16, v27
	v_cmp_ne_u32_e64 s[2:3], 0, v29
	v_mov_b32_dpp v30, v28 row_shr:1 row_mask:0xf bank_mask:0xf
	s_and_saveexec_b64 s[54:55], s[2:3]
	s_cbranch_execz .LBB54_226
; %bb.225:
	v_and_b32_e32 v24, 0x10000, v27
	v_and_b32_sdwa v26, v30, v26 dst_sel:DWORD dst_unused:UNUSED_PAD src0_sel:WORD_1 src1_sel:DWORD
	v_cmp_ne_u32_e64 s[2:3], 0, v24
	v_lshlrev_b32_e32 v28, 16, v30
	s_nop 0
	v_cndmask_b32_e64 v24, v26, 1, s[2:3]
	v_mov_b32_e32 v26, 16
	v_lshlrev_b32_sdwa v26, v26, v25 dst_sel:DWORD dst_unused:UNUSED_PAD src0_sel:DWORD src1_sel:WORD_0
	v_cmp_lt_f32_e64 s[2:3], v28, v26
	s_nop 1
	v_cndmask_b32_e64 v26, v30, v25, s[2:3]
	v_cmp_eq_u32_e64 s[2:3], 0, v27
	s_nop 1
	v_cndmask_b32_e64 v25, v25, v26, s[2:3]
	v_lshlrev_b32_e32 v26, 16, v24
	v_or_b32_sdwa v28, v26, v25 dst_sel:DWORD dst_unused:UNUSED_PAD src0_sel:DWORD src1_sel:WORD_0
.LBB54_226:
	s_or_b64 exec, exec, s[54:55]
	v_lshrrev_b32_e32 v27, 16, v28
	v_mov_b32_dpp v30, v28 row_shr:2 row_mask:0xf bank_mask:0xf
	v_cmp_lt_u32_e64 s[2:3], 1, v29
	v_mov_b32_e32 v26, v28
	s_and_saveexec_b64 s[54:55], s[2:3]
	s_cbranch_execz .LBB54_228
; %bb.227:
	v_and_b32_e32 v24, 0x10000, v28
	v_mov_b32_e32 v25, 1
	v_and_b32_sdwa v25, v30, v25 dst_sel:DWORD dst_unused:UNUSED_PAD src0_sel:WORD_1 src1_sel:DWORD
	v_cmp_ne_u32_e64 s[2:3], 0, v24
	v_lshlrev_b32_e32 v26, 16, v30
	s_mov_b32 s58, 0x10000
	v_cndmask_b32_e64 v24, v25, 1, s[2:3]
	v_lshlrev_b32_e32 v25, 16, v28
	v_cmp_lt_f32_e64 s[2:3], v26, v25
	v_lshlrev_b32_e32 v26, 16, v24
	v_mov_b32_e32 v27, v24
	v_cndmask_b32_e64 v25, v30, v28, s[2:3]
	v_cmp_gt_u32_e64 s[2:3], s58, v28
	s_nop 1
	v_cndmask_b32_e64 v25, v28, v25, s[2:3]
	v_or_b32_sdwa v28, v26, v25 dst_sel:DWORD dst_unused:UNUSED_PAD src0_sel:DWORD src1_sel:WORD_0
	v_mov_b32_e32 v26, v25
.LBB54_228:
	s_or_b64 exec, exec, s[54:55]
	v_mov_b32_dpp v30, v28 row_shr:4 row_mask:0xf bank_mask:0xf
	v_cmp_lt_u32_e64 s[2:3], 3, v29
	s_and_saveexec_b64 s[54:55], s[2:3]
	s_cbranch_execz .LBB54_230
; %bb.229:
	v_and_b32_e32 v24, 1, v27
	v_mov_b32_e32 v25, 1
	v_and_b32_sdwa v25, v30, v25 dst_sel:DWORD dst_unused:UNUSED_PAD src0_sel:WORD_1 src1_sel:DWORD
	v_cmp_eq_u32_e64 s[2:3], 1, v24
	v_lshlrev_b32_e32 v28, 16, v26
	s_nop 0
	v_cndmask_b32_e64 v24, v25, 1, s[2:3]
	v_lshlrev_b32_e32 v25, 16, v30
	v_cmp_lt_f32_e64 s[2:3], v25, v28
	s_nop 1
	v_cndmask_b32_e64 v25, v30, v26, s[2:3]
	v_cmp_eq_u16_e64 s[2:3], 0, v27
	v_mov_b32_e32 v27, v24
	s_nop 0
	v_cndmask_b32_e64 v25, v26, v25, s[2:3]
	v_lshlrev_b32_e32 v26, 16, v24
	v_or_b32_sdwa v28, v26, v25 dst_sel:DWORD dst_unused:UNUSED_PAD src0_sel:DWORD src1_sel:WORD_0
	v_mov_b32_e32 v26, v25
.LBB54_230:
	s_or_b64 exec, exec, s[54:55]
	v_mov_b32_dpp v30, v28 row_shr:8 row_mask:0xf bank_mask:0xf
	v_cmp_lt_u32_e64 s[2:3], 7, v29
	s_and_saveexec_b64 s[54:55], s[2:3]
	s_cbranch_execz .LBB54_232
; %bb.231:
	v_and_b32_e32 v24, 1, v27
	v_mov_b32_e32 v25, 1
	v_and_b32_sdwa v25, v30, v25 dst_sel:DWORD dst_unused:UNUSED_PAD src0_sel:WORD_1 src1_sel:DWORD
	v_cmp_eq_u32_e64 s[2:3], 1, v24
	v_lshlrev_b32_e32 v28, 16, v26
	s_nop 0
	v_cndmask_b32_e64 v24, v25, 1, s[2:3]
	v_lshlrev_b32_e32 v25, 16, v30
	v_cmp_lt_f32_e64 s[2:3], v25, v28
	s_nop 1
	v_cndmask_b32_e64 v25, v30, v26, s[2:3]
	v_cmp_eq_u16_e64 s[2:3], 0, v27
	v_mov_b32_e32 v27, v24
	s_nop 0
	v_cndmask_b32_e64 v25, v26, v25, s[2:3]
	v_lshlrev_b32_e32 v26, 16, v24
	v_or_b32_sdwa v28, v26, v25 dst_sel:DWORD dst_unused:UNUSED_PAD src0_sel:DWORD src1_sel:WORD_0
	v_mov_b32_e32 v26, v25
.LBB54_232:
	s_or_b64 exec, exec, s[54:55]
	v_and_b32_e32 v30, 16, v23
	v_mov_b32_dpp v29, v28 row_bcast:15 row_mask:0xf bank_mask:0xf
	v_cmp_ne_u32_e64 s[2:3], 0, v30
	s_and_saveexec_b64 s[54:55], s[2:3]
	s_cbranch_execz .LBB54_234
; %bb.233:
	v_and_b32_e32 v24, 1, v27
	v_mov_b32_e32 v25, 1
	v_and_b32_sdwa v25, v29, v25 dst_sel:DWORD dst_unused:UNUSED_PAD src0_sel:WORD_1 src1_sel:DWORD
	v_cmp_eq_u32_e64 s[2:3], 1, v24
	v_lshlrev_b32_e32 v28, 16, v26
	s_nop 0
	v_cndmask_b32_e64 v24, v25, 1, s[2:3]
	v_lshlrev_b32_e32 v25, 16, v29
	v_cmp_lt_f32_e64 s[2:3], v25, v28
	s_nop 1
	v_cndmask_b32_e64 v25, v29, v26, s[2:3]
	v_cmp_eq_u16_e64 s[2:3], 0, v27
	v_mov_b32_e32 v27, v24
	s_nop 0
	v_cndmask_b32_e64 v25, v26, v25, s[2:3]
	v_lshlrev_b32_e32 v26, 16, v24
	v_or_b32_sdwa v28, v26, v25 dst_sel:DWORD dst_unused:UNUSED_PAD src0_sel:DWORD src1_sel:WORD_0
	v_mov_b32_e32 v26, v25
.LBB54_234:
	s_or_b64 exec, exec, s[54:55]
	v_mov_b32_dpp v28, v28 row_bcast:31 row_mask:0xf bank_mask:0xf
	v_cmp_lt_u32_e64 s[2:3], 31, v23
	s_and_saveexec_b64 s[54:55], s[2:3]
; %bb.235:
	v_and_b32_e32 v24, 1, v27
	v_mov_b32_e32 v25, 1
	v_and_b32_sdwa v25, v28, v25 dst_sel:DWORD dst_unused:UNUSED_PAD src0_sel:WORD_1 src1_sel:DWORD
	v_cmp_eq_u32_e64 s[2:3], 1, v24
	v_lshlrev_b32_e32 v29, 16, v26
	s_nop 0
	v_cndmask_b32_e64 v24, v25, 1, s[2:3]
	v_lshlrev_b32_e32 v25, 16, v28
	v_cmp_lt_f32_e64 s[2:3], v25, v29
	s_nop 1
	v_cndmask_b32_e64 v25, v28, v26, s[2:3]
	v_cmp_eq_u16_e64 s[2:3], 0, v27
	s_nop 1
	v_cndmask_b32_e64 v25, v26, v25, s[2:3]
; %bb.236:
	s_or_b64 exec, exec, s[54:55]
	v_or_b32_e32 v27, 63, v0
	v_lshrrev_b32_e32 v26, 6, v0
	v_cmp_eq_u32_e64 s[2:3], v27, v0
	s_and_saveexec_b64 s[54:55], s[2:3]
	s_cbranch_execz .LBB54_238
; %bb.237:
	v_lshlrev_b32_e32 v27, 2, v26
	ds_write_b16 v27, v25
	ds_write_b8 v27, v24 offset:2
.LBB54_238:
	s_or_b64 exec, exec, s[54:55]
	v_cmp_gt_u32_e64 s[2:3], 4, v0
	s_waitcnt lgkmcnt(0)
	s_barrier
	s_and_saveexec_b64 s[54:55], s[2:3]
	s_cbranch_execz .LBB54_244
; %bb.239:
	v_lshlrev_b32_e32 v27, 2, v0
	ds_read_b32 v28, v27
	v_and_b32_e32 v30, 3, v23
	v_cmp_ne_u32_e64 s[2:3], 0, v30
	s_waitcnt lgkmcnt(0)
	v_lshrrev_b32_e32 v29, 16, v28
	v_mov_b32_dpp v58, v28 row_shr:1 row_mask:0xf bank_mask:0xf
	v_mov_b32_e32 v31, v28
	s_and_saveexec_b64 s[58:59], s[2:3]
	s_cbranch_execz .LBB54_241
; %bb.240:
	v_and_b32_e32 v31, 0x10000, v28
	v_mov_b32_e32 v60, 1
	v_and_b32_sdwa v60, v58, v60 dst_sel:DWORD dst_unused:UNUSED_PAD src0_sel:WORD_1 src1_sel:DWORD
	v_cmp_ne_u32_e64 s[2:3], 0, v31
	v_lshlrev_b32_e32 v61, 16, v28
	v_lshlrev_b32_e32 v62, 16, v58
	v_cndmask_b32_e64 v60, v60, 1, s[2:3]
	v_mov_b32_e32 v31, 0
	v_cmp_lt_f32_e64 s[2:3], v62, v61
	v_and_b32_e32 v59, 0xff000000, v28
	s_nop 0
	v_cndmask_b32_e64 v58, v58, v28, s[2:3]
	v_cmp_eq_u16_sdwa s[2:3], v29, v31 src0_sel:BYTE_0 src1_sel:DWORD
	s_nop 1
	v_cndmask_b32_e64 v31, v28, v58, s[2:3]
	v_lshlrev_b32_e32 v28, 16, v60
	v_and_b32_e32 v29, 0xffff, v31
	v_or3_b32 v28, v28, v59, v29
	v_mov_b32_e32 v29, v60
.LBB54_241:
	s_or_b64 exec, exec, s[58:59]
	v_mov_b32_dpp v58, v28 row_shr:2 row_mask:0xf bank_mask:0xf
	v_cmp_lt_u32_e64 s[2:3], 1, v30
	s_and_saveexec_b64 s[58:59], s[2:3]
	s_cbranch_execz .LBB54_243
; %bb.242:
	v_and_b32_e32 v29, 0x10000, v28
	v_mov_b32_e32 v30, 1
	v_and_b32_sdwa v30, v58, v30 dst_sel:DWORD dst_unused:UNUSED_PAD src0_sel:WORD_1 src1_sel:DWORD
	v_cmp_eq_u32_e64 s[2:3], 0, v29
	v_lshlrev_b32_e32 v31, 16, v28
	v_lshlrev_b32_e32 v59, 16, v58
	v_cndmask_b32_e64 v29, 1, v30, s[2:3]
	v_and_b32_e32 v30, 0xff0000, v28
	v_cmp_lt_f32_e64 s[2:3], v59, v31
	s_nop 1
	v_cndmask_b32_e64 v31, v58, v28, s[2:3]
	v_cmp_eq_u32_e64 s[2:3], 0, v30
	s_nop 1
	v_cndmask_b32_e64 v31, v28, v31, s[2:3]
.LBB54_243:
	s_or_b64 exec, exec, s[58:59]
	ds_write_b16 v27, v31
	ds_write_b8 v27, v29 offset:2
.LBB54_244:
	s_or_b64 exec, exec, s[54:55]
	v_cmp_lt_u32_e64 s[2:3], 63, v0
	v_mov_b32_e32 v27, 0
	s_waitcnt lgkmcnt(0)
	s_barrier
	s_and_saveexec_b64 s[54:55], s[2:3]
	s_cbranch_execz .LBB54_246
; %bb.245:
	v_lshl_add_u32 v26, v26, 2, -4
	ds_read_u16 v27, v26
	ds_read_u8 v26, v26 offset:2
	v_lshlrev_b32_e32 v28, 16, v25
	s_waitcnt lgkmcnt(1)
	v_lshlrev_b32_e32 v29, 16, v27
	v_cmp_lt_f32_e64 s[2:3], v29, v28
	s_nop 1
	v_cndmask_b32_e64 v28, v27, v25, s[2:3]
	v_cmp_eq_u16_e64 s[2:3], 0, v24
	v_and_b32_e32 v24, 1, v24
	s_nop 0
	v_cndmask_b32_e64 v25, v25, v28, s[2:3]
	v_cmp_eq_u32_e64 s[2:3], 1, v24
	s_waitcnt lgkmcnt(0)
	s_nop 0
	v_cndmask_b32_e64 v24, v26, 1, s[2:3]
.LBB54_246:
	s_or_b64 exec, exec, s[54:55]
	v_and_b32_e32 v24, 0xff, v24
	v_and_b32_e32 v25, 0xffff, v25
	v_lshl_or_b32 v24, v24, 16, v25
	v_add_u32_e32 v25, -1, v23
	v_and_b32_e32 v26, 64, v23
	v_cmp_lt_i32_e64 s[2:3], v25, v26
	s_nop 1
	v_cndmask_b32_e64 v25, v25, v23, s[2:3]
	v_lshlrev_b32_e32 v25, 2, v25
	ds_bpermute_b32 v25, v25, v24
                                        ; implicit-def: $vgpr24
	s_and_saveexec_b64 s[2:3], s[4:5]
	s_xor_b64 s[4:5], exec, s[2:3]
	s_cbranch_execz .LBB54_248
; %bb.247:
	v_cmp_eq_u32_e64 s[2:3], 0, v23
	v_and_b32_e32 v24, 0xff0000, v50
	s_waitcnt lgkmcnt(0)
	v_cndmask_b32_e64 v23, v25, v27, s[2:3]
	v_lshlrev_b32_e32 v25, 16, v23
	v_cmp_gt_f32_e64 s[2:3], v22, v25
	s_nop 1
	v_cndmask_b32_e64 v22, v23, v50, s[2:3]
	v_cmp_eq_u32_e64 s[2:3], 0, v24
	s_nop 1
	v_cndmask_b32_e64 v50, v50, v22, s[2:3]
	v_and_b32_e32 v24, 0xffff, v50
.LBB54_248:
	s_or_saveexec_b64 s[2:3], s[4:5]
	v_mov_b32_e32 v22, v24
	s_xor_b64 exec, exec, s[2:3]
; %bb.249:
	v_and_b32_e32 v24, 0xffff, v50
	v_mov_b32_e32 v22, v50
; %bb.250:
	s_or_b64 exec, exec, s[2:3]
	v_lshlrev_b32_e32 v23, 16, v24
	v_cmp_gt_f32_e64 s[2:3], v57, v23
	s_nop 1
	v_cndmask_b32_e64 v23, v50, v51, s[2:3]
	v_cndmask_b32_e64 v23, v51, v23, s[6:7]
	v_lshlrev_b32_e32 v24, 16, v23
	v_cmp_gt_f32_e64 s[2:3], v56, v24
	s_nop 1
	v_cndmask_b32_e64 v24, v23, v1, s[2:3]
	v_cndmask_b32_e64 v24, v1, v24, s[8:9]
	v_lshlrev_b32_e32 v1, 16, v24
	v_cmp_gt_f32_e64 s[2:3], v55, v1
	s_nop 1
	v_cndmask_b32_e64 v1, v24, v18, s[2:3]
	s_waitcnt lgkmcnt(0)
	v_cndmask_b32_e64 v25, v18, v1, s[10:11]
	v_lshlrev_b32_e32 v1, 16, v25
	v_cmp_gt_f32_e64 s[2:3], v54, v1
	s_nop 1
	v_cndmask_b32_e64 v1, v25, v19, s[2:3]
	v_cndmask_b32_e64 v26, v19, v1, s[12:13]
	v_lshlrev_b32_e32 v1, 16, v26
	v_cmp_gt_f32_e64 s[2:3], v53, v1
	s_nop 1
	v_cndmask_b32_e64 v1, v26, v20, s[2:3]
	;; [unrolled: 5-line block ×20, first 2 shown]
	s_and_saveexec_b64 s[2:3], vcc
	s_cbranch_execz .LBB54_252
; %bb.251:
	v_mov_b32_e32 v4, 0
	ds_read_u8 v2, v4 offset:14
	ds_read_u16 v3, v4 offset:12
	s_waitcnt lgkmcnt(1)
	v_lshlrev_b32_e32 v2, 16, v2
	s_waitcnt lgkmcnt(0)
	v_or_b32_e32 v2, v2, v3
	v_mov_b32_e32 v3, 2
	global_store_dwordx2 v4, v[2:3], s[60:61] offset:512 sc1
.LBB54_252:
	s_or_b64 exec, exec, s[2:3]
	v_cndmask_b32_e64 v72, v32, v1, s[52:53]
.LBB54_253:
	s_load_dwordx2 s[0:1], s[0:1], 0x18
	v_mul_u32_u24_e32 v6, 24, v0
	v_lshlrev_b32_e32 v2, 1, v0
	s_waitcnt lgkmcnt(0)
	s_add_u32 s0, s0, s68
	s_addc_u32 s1, s1, s69
	s_and_b64 vcc, exec, s[56:57]
	s_cbranch_vccz .LBB54_301
; %bb.254:
	s_mov_b32 s2, 0x5040100
	v_lshlrev_b32_e32 v36, 1, v6
	v_perm_b32 v11, v30, v28, s2
	v_perm_b32 v10, v27, v26, s2
	;; [unrolled: 1-line block ×4, first 2 shown]
	s_barrier
	ds_write_b128 v36, v[8:11]
	v_perm_b32 v11, v65, v63, s2
	v_perm_b32 v10, v62, v61, s2
	;; [unrolled: 1-line block ×4, first 2 shown]
	ds_write_b128 v36, v[8:11] offset:16
	v_perm_b32 v11, v72, v71, s2
	v_perm_b32 v10, v70, v69, s2
	v_perm_b32 v9, v68, v67, s2
	v_perm_b32 v8, v66, v64, s2
	s_movk_i32 s2, 0xffd2
	v_mad_i32_i24 v3, v0, s2, v36
	ds_write_b128 v36, v[8:11] offset:32
	s_waitcnt lgkmcnt(0)
	s_barrier
	ds_read_u16 v39, v3 offset:512
	ds_read_u16 v38, v3 offset:1024
	;; [unrolled: 1-line block ×23, first 2 shown]
	s_add_i32 s33, s33, s62
	v_mov_b32_e32 v3, 0
	v_lshl_add_u64 v[4:5], s[0:1], 0, v[2:3]
	v_cmp_gt_u32_e32 vcc, s33, v0
	s_and_saveexec_b64 s[2:3], vcc
	s_cbranch_execz .LBB54_256
; %bb.255:
	v_mul_i32_i24_e32 v40, 0xffffffd2, v0
	v_add_u32_e32 v36, v36, v40
	ds_read_u16 v36, v36
	s_waitcnt lgkmcnt(0)
	global_store_short v[4:5], v36, off
.LBB54_256:
	s_or_b64 exec, exec, s[2:3]
	v_or_b32_e32 v36, 0x100, v0
	v_cmp_gt_u32_e32 vcc, s33, v36
	s_and_saveexec_b64 s[2:3], vcc
	s_cbranch_execz .LBB54_258
; %bb.257:
	s_waitcnt lgkmcnt(14)
	global_store_short v[4:5], v39, off offset:512
.LBB54_258:
	s_or_b64 exec, exec, s[2:3]
	v_or_b32_e32 v36, 0x200, v0
	v_cmp_gt_u32_e32 vcc, s33, v36
	s_and_saveexec_b64 s[2:3], vcc
	s_cbranch_execz .LBB54_260
; %bb.259:
	s_waitcnt lgkmcnt(14)
	global_store_short v[4:5], v38, off offset:1024
.LBB54_260:
	;; [unrolled: 9-line block ×4, first 2 shown]
	s_or_b64 exec, exec, s[2:3]
	s_waitcnt lgkmcnt(14)
	v_or_b32_e32 v35, 0x500, v0
	v_cmp_gt_u32_e32 vcc, s33, v35
	s_and_saveexec_b64 s[2:3], vcc
	s_cbranch_execz .LBB54_266
; %bb.265:
	global_store_short v[4:5], v34, off offset:2560
.LBB54_266:
	s_or_b64 exec, exec, s[2:3]
	v_or_b32_e32 v34, 0x600, v0
	v_cmp_gt_u32_e32 vcc, s33, v34
	s_and_saveexec_b64 s[2:3], vcc
	s_cbranch_execz .LBB54_268
; %bb.267:
	global_store_short v[4:5], v33, off offset:3072
.LBB54_268:
	s_or_b64 exec, exec, s[2:3]
	;; [unrolled: 8-line block ×3, first 2 shown]
	v_or_b32_e32 v32, 0x800, v0
	v_cmp_gt_u32_e32 vcc, s33, v32
	s_and_saveexec_b64 s[2:3], vcc
	s_cbranch_execz .LBB54_272
; %bb.271:
	v_add_co_u32_e32 v32, vcc, 0x1000, v4
	s_nop 1
	v_addc_co_u32_e32 v33, vcc, 0, v5, vcc
	global_store_short v[32:33], v21, off
.LBB54_272:
	s_or_b64 exec, exec, s[2:3]
	v_or_b32_e32 v21, 0x900, v0
	v_cmp_gt_u32_e32 vcc, s33, v21
	s_and_saveexec_b64 s[2:3], vcc
	s_cbranch_execz .LBB54_274
; %bb.273:
	v_add_co_u32_e32 v32, vcc, 0x1000, v4
	s_nop 1
	v_addc_co_u32_e32 v33, vcc, 0, v5, vcc
	global_store_short v[32:33], v20, off offset:512
.LBB54_274:
	s_or_b64 exec, exec, s[2:3]
	v_or_b32_e32 v20, 0xa00, v0
	v_cmp_gt_u32_e32 vcc, s33, v20
	s_and_saveexec_b64 s[2:3], vcc
	s_cbranch_execz .LBB54_276
; %bb.275:
	v_add_co_u32_e32 v20, vcc, 0x1000, v4
	s_nop 1
	v_addc_co_u32_e32 v21, vcc, 0, v5, vcc
	s_waitcnt lgkmcnt(13)
	global_store_short v[20:21], v19, off offset:1024
.LBB54_276:
	s_or_b64 exec, exec, s[2:3]
	s_waitcnt lgkmcnt(13)
	v_or_b32_e32 v19, 0xb00, v0
	v_cmp_gt_u32_e32 vcc, s33, v19
	s_and_saveexec_b64 s[2:3], vcc
	s_cbranch_execz .LBB54_278
; %bb.277:
	v_add_co_u32_e32 v20, vcc, 0x1000, v4
	s_nop 1
	v_addc_co_u32_e32 v21, vcc, 0, v5, vcc
	s_waitcnt lgkmcnt(12)
	global_store_short v[20:21], v18, off offset:1536
.LBB54_278:
	s_or_b64 exec, exec, s[2:3]
	s_waitcnt lgkmcnt(12)
	;; [unrolled: 13-line block ×6, first 2 shown]
	v_or_b32_e32 v14, 0x1000, v0
	v_cmp_gt_u32_e32 vcc, s33, v14
	s_and_saveexec_b64 s[2:3], vcc
	s_cbranch_execz .LBB54_288
; %bb.287:
	v_add_co_u32_e32 v14, vcc, 0x2000, v4
	s_nop 1
	v_addc_co_u32_e32 v15, vcc, 0, v5, vcc
	s_waitcnt lgkmcnt(7)
	global_store_short v[14:15], v13, off
.LBB54_288:
	s_or_b64 exec, exec, s[2:3]
	s_waitcnt lgkmcnt(7)
	v_or_b32_e32 v13, 0x1100, v0
	v_cmp_gt_u32_e32 vcc, s33, v13
	s_and_saveexec_b64 s[2:3], vcc
	s_cbranch_execz .LBB54_290
; %bb.289:
	v_add_co_u32_e32 v14, vcc, 0x2000, v4
	s_nop 1
	v_addc_co_u32_e32 v15, vcc, 0, v5, vcc
	s_waitcnt lgkmcnt(6)
	global_store_short v[14:15], v12, off offset:512
.LBB54_290:
	s_or_b64 exec, exec, s[2:3]
	s_waitcnt lgkmcnt(6)
	v_or_b32_e32 v12, 0x1200, v0
	v_cmp_gt_u32_e32 vcc, s33, v12
	s_and_saveexec_b64 s[2:3], vcc
	s_cbranch_execz .LBB54_292
; %bb.291:
	v_add_co_u32_e32 v12, vcc, 0x2000, v4
	s_nop 1
	v_addc_co_u32_e32 v13, vcc, 0, v5, vcc
	s_waitcnt lgkmcnt(5)
	global_store_short v[12:13], v11, off offset:1024
.LBB54_292:
	;; [unrolled: 13-line block ×6, first 2 shown]
	s_or_b64 exec, exec, s[2:3]
	s_waitcnt lgkmcnt(1)
	v_mov_b32_e32 v1, v3
	v_or_b32_e32 v3, 0x1700, v0
	v_cmp_gt_u32_e64 s[2:3], s33, v3
	s_branch .LBB54_303
.LBB54_301:
	s_mov_b64 s[2:3], 0
                                        ; implicit-def: $vgpr7
	s_cbranch_execz .LBB54_303
; %bb.302:
	s_mov_b32 s4, 0x5040100
	v_lshlrev_b32_e32 v3, 1, v6
	s_waitcnt lgkmcnt(0)
	v_perm_b32 v7, v30, v28, s4
	v_perm_b32 v6, v27, v26, s4
	;; [unrolled: 1-line block ×4, first 2 shown]
	s_barrier
	ds_write_b128 v3, v[4:7]
	v_perm_b32 v7, v65, v63, s4
	v_perm_b32 v6, v62, v61, s4
	;; [unrolled: 1-line block ×4, first 2 shown]
	ds_write_b128 v3, v[4:7] offset:16
	v_perm_b32 v7, v72, v71, s4
	v_perm_b32 v6, v70, v69, s4
	;; [unrolled: 1-line block ×4, first 2 shown]
	s_movk_i32 s4, 0xffd2
	ds_write_b128 v3, v[4:7] offset:32
	v_mov_b32_e32 v1, 0
	v_mad_i32_i24 v3, v0, s4, v3
	s_waitcnt lgkmcnt(0)
	s_barrier
	ds_read_u16 v6, v3
	ds_read_u16 v8, v3 offset:512
	ds_read_u16 v9, v3 offset:1024
	;; [unrolled: 1-line block ×23, first 2 shown]
	v_mov_b32_e32 v3, v1
	v_lshl_add_u64 v[4:5], s[0:1], 0, v[2:3]
	s_movk_i32 s4, 0x1000
	s_waitcnt lgkmcnt(14)
	global_store_short v2, v6, s[0:1]
	global_store_short v2, v8, s[0:1] offset:512
	global_store_short v2, v9, s[0:1] offset:1024
	;; [unrolled: 1-line block ×7, first 2 shown]
	v_add_co_u32_e32 v2, vcc, s4, v4
	s_or_b64 s[2:3], s[2:3], exec
	s_nop 0
	v_addc_co_u32_e32 v3, vcc, 0, v5, vcc
	global_store_short v[2:3], v15, off
	global_store_short v[2:3], v16, off offset:512
	s_waitcnt lgkmcnt(13)
	global_store_short v[2:3], v17, off offset:1024
	s_waitcnt lgkmcnt(12)
	;; [unrolled: 2-line block ×6, first 2 shown]
	global_store_short v[2:3], v22, off offset:3584
	v_add_co_u32_e32 v2, vcc, 0x2000, v4
	s_nop 1
	v_addc_co_u32_e32 v3, vcc, 0, v5, vcc
	s_waitcnt lgkmcnt(7)
	global_store_short v[2:3], v23, off
	s_waitcnt lgkmcnt(6)
	global_store_short v[2:3], v24, off offset:512
	s_waitcnt lgkmcnt(5)
	global_store_short v[2:3], v25, off offset:1024
	;; [unrolled: 2-line block ×6, first 2 shown]
.LBB54_303:
	s_and_saveexec_b64 s[4:5], s[2:3]
	s_cbranch_execz .LBB54_305
; %bb.304:
	v_lshl_add_u64 v[0:1], v[0:1], 1, s[0:1]
	v_add_co_u32_e32 v0, vcc, 0x2000, v0
	s_nop 1
	v_addc_co_u32_e32 v1, vcc, 0, v1, vcc
	s_waitcnt lgkmcnt(0)
	global_store_short v[0:1], v7, off offset:3584
	s_endpgm
.LBB54_305:
	s_endpgm
	.section	.rodata,"a",@progbits
	.p2align	6, 0x0
	.amdhsa_kernel _ZN7rocprim6detail25device_scan_by_key_kernelILNS0_25lookback_scan_determinismE0ELb0ENS0_26wrapped_scan_by_key_configINS_14default_configEi12hip_bfloat16EEPiN6hipcub22TransformInputIteratorIS5_NS8_6CastOpIS5_EEPS5_lEESC_S5_NS8_8EqualityENS8_3MaxENS0_19lookback_scan_stateINS_5tupleIJS5_bEEELb0ELb1EEES5_EEvT2_T3_T4_T5_T6_T7_T8_mmmPKNSH_IJT9_bEEE
		.amdhsa_group_segment_fixed_size 26624
		.amdhsa_private_segment_fixed_size 0
		.amdhsa_kernarg_size 80
		.amdhsa_user_sgpr_count 2
		.amdhsa_user_sgpr_dispatch_ptr 0
		.amdhsa_user_sgpr_queue_ptr 0
		.amdhsa_user_sgpr_kernarg_segment_ptr 1
		.amdhsa_user_sgpr_dispatch_id 0
		.amdhsa_user_sgpr_kernarg_preload_length 0
		.amdhsa_user_sgpr_kernarg_preload_offset 0
		.amdhsa_user_sgpr_private_segment_size 0
		.amdhsa_uses_dynamic_stack 0
		.amdhsa_enable_private_segment 0
		.amdhsa_system_sgpr_workgroup_id_x 1
		.amdhsa_system_sgpr_workgroup_id_y 0
		.amdhsa_system_sgpr_workgroup_id_z 0
		.amdhsa_system_sgpr_workgroup_info 0
		.amdhsa_system_vgpr_workitem_id 0
		.amdhsa_next_free_vgpr 81
		.amdhsa_next_free_sgpr 76
		.amdhsa_accum_offset 84
		.amdhsa_reserve_vcc 1
		.amdhsa_float_round_mode_32 0
		.amdhsa_float_round_mode_16_64 0
		.amdhsa_float_denorm_mode_32 3
		.amdhsa_float_denorm_mode_16_64 3
		.amdhsa_dx10_clamp 1
		.amdhsa_ieee_mode 1
		.amdhsa_fp16_overflow 0
		.amdhsa_tg_split 0
		.amdhsa_exception_fp_ieee_invalid_op 0
		.amdhsa_exception_fp_denorm_src 0
		.amdhsa_exception_fp_ieee_div_zero 0
		.amdhsa_exception_fp_ieee_overflow 0
		.amdhsa_exception_fp_ieee_underflow 0
		.amdhsa_exception_fp_ieee_inexact 0
		.amdhsa_exception_int_div_zero 0
	.end_amdhsa_kernel
	.section	.text._ZN7rocprim6detail25device_scan_by_key_kernelILNS0_25lookback_scan_determinismE0ELb0ENS0_26wrapped_scan_by_key_configINS_14default_configEi12hip_bfloat16EEPiN6hipcub22TransformInputIteratorIS5_NS8_6CastOpIS5_EEPS5_lEESC_S5_NS8_8EqualityENS8_3MaxENS0_19lookback_scan_stateINS_5tupleIJS5_bEEELb0ELb1EEES5_EEvT2_T3_T4_T5_T6_T7_T8_mmmPKNSH_IJT9_bEEE,"axG",@progbits,_ZN7rocprim6detail25device_scan_by_key_kernelILNS0_25lookback_scan_determinismE0ELb0ENS0_26wrapped_scan_by_key_configINS_14default_configEi12hip_bfloat16EEPiN6hipcub22TransformInputIteratorIS5_NS8_6CastOpIS5_EEPS5_lEESC_S5_NS8_8EqualityENS8_3MaxENS0_19lookback_scan_stateINS_5tupleIJS5_bEEELb0ELb1EEES5_EEvT2_T3_T4_T5_T6_T7_T8_mmmPKNSH_IJT9_bEEE,comdat
.Lfunc_end54:
	.size	_ZN7rocprim6detail25device_scan_by_key_kernelILNS0_25lookback_scan_determinismE0ELb0ENS0_26wrapped_scan_by_key_configINS_14default_configEi12hip_bfloat16EEPiN6hipcub22TransformInputIteratorIS5_NS8_6CastOpIS5_EEPS5_lEESC_S5_NS8_8EqualityENS8_3MaxENS0_19lookback_scan_stateINS_5tupleIJS5_bEEELb0ELb1EEES5_EEvT2_T3_T4_T5_T6_T7_T8_mmmPKNSH_IJT9_bEEE, .Lfunc_end54-_ZN7rocprim6detail25device_scan_by_key_kernelILNS0_25lookback_scan_determinismE0ELb0ENS0_26wrapped_scan_by_key_configINS_14default_configEi12hip_bfloat16EEPiN6hipcub22TransformInputIteratorIS5_NS8_6CastOpIS5_EEPS5_lEESC_S5_NS8_8EqualityENS8_3MaxENS0_19lookback_scan_stateINS_5tupleIJS5_bEEELb0ELb1EEES5_EEvT2_T3_T4_T5_T6_T7_T8_mmmPKNSH_IJT9_bEEE
                                        ; -- End function
	.section	.AMDGPU.csdata,"",@progbits
; Kernel info:
; codeLenInByte = 18232
; NumSgprs: 82
; NumVgprs: 81
; NumAgprs: 0
; TotalNumVgprs: 81
; ScratchSize: 0
; MemoryBound: 0
; FloatMode: 240
; IeeeMode: 1
; LDSByteSize: 26624 bytes/workgroup (compile time only)
; SGPRBlocks: 10
; VGPRBlocks: 10
; NumSGPRsForWavesPerEU: 82
; NumVGPRsForWavesPerEU: 81
; AccumOffset: 84
; Occupancy: 2
; WaveLimiterHint : 1
; COMPUTE_PGM_RSRC2:SCRATCH_EN: 0
; COMPUTE_PGM_RSRC2:USER_SGPR: 2
; COMPUTE_PGM_RSRC2:TRAP_HANDLER: 0
; COMPUTE_PGM_RSRC2:TGID_X_EN: 1
; COMPUTE_PGM_RSRC2:TGID_Y_EN: 0
; COMPUTE_PGM_RSRC2:TGID_Z_EN: 0
; COMPUTE_PGM_RSRC2:TIDIG_COMP_CNT: 0
; COMPUTE_PGM_RSRC3_GFX90A:ACCUM_OFFSET: 20
; COMPUTE_PGM_RSRC3_GFX90A:TG_SPLIT: 0
	.section	.text._ZN7rocprim6detail25device_scan_by_key_kernelILNS0_25lookback_scan_determinismE0ELb0ENS0_26wrapped_scan_by_key_configINS_14default_configEiiEEPiN6hipcub22TransformInputIteratorIiNS7_6CastOpIiEES6_lEEPdiNS7_8EqualityENS7_3SumENS0_19lookback_scan_stateINS_5tupleIJibEEELb1ELb1EEEiEEvT2_T3_T4_T5_T6_T7_T8_mmmPKNSG_IJT9_bEEE,"axG",@progbits,_ZN7rocprim6detail25device_scan_by_key_kernelILNS0_25lookback_scan_determinismE0ELb0ENS0_26wrapped_scan_by_key_configINS_14default_configEiiEEPiN6hipcub22TransformInputIteratorIiNS7_6CastOpIiEES6_lEEPdiNS7_8EqualityENS7_3SumENS0_19lookback_scan_stateINS_5tupleIJibEEELb1ELb1EEEiEEvT2_T3_T4_T5_T6_T7_T8_mmmPKNSG_IJT9_bEEE,comdat
	.protected	_ZN7rocprim6detail25device_scan_by_key_kernelILNS0_25lookback_scan_determinismE0ELb0ENS0_26wrapped_scan_by_key_configINS_14default_configEiiEEPiN6hipcub22TransformInputIteratorIiNS7_6CastOpIiEES6_lEEPdiNS7_8EqualityENS7_3SumENS0_19lookback_scan_stateINS_5tupleIJibEEELb1ELb1EEEiEEvT2_T3_T4_T5_T6_T7_T8_mmmPKNSG_IJT9_bEEE ; -- Begin function _ZN7rocprim6detail25device_scan_by_key_kernelILNS0_25lookback_scan_determinismE0ELb0ENS0_26wrapped_scan_by_key_configINS_14default_configEiiEEPiN6hipcub22TransformInputIteratorIiNS7_6CastOpIiEES6_lEEPdiNS7_8EqualityENS7_3SumENS0_19lookback_scan_stateINS_5tupleIJibEEELb1ELb1EEEiEEvT2_T3_T4_T5_T6_T7_T8_mmmPKNSG_IJT9_bEEE
	.globl	_ZN7rocprim6detail25device_scan_by_key_kernelILNS0_25lookback_scan_determinismE0ELb0ENS0_26wrapped_scan_by_key_configINS_14default_configEiiEEPiN6hipcub22TransformInputIteratorIiNS7_6CastOpIiEES6_lEEPdiNS7_8EqualityENS7_3SumENS0_19lookback_scan_stateINS_5tupleIJibEEELb1ELb1EEEiEEvT2_T3_T4_T5_T6_T7_T8_mmmPKNSG_IJT9_bEEE
	.p2align	8
	.type	_ZN7rocprim6detail25device_scan_by_key_kernelILNS0_25lookback_scan_determinismE0ELb0ENS0_26wrapped_scan_by_key_configINS_14default_configEiiEEPiN6hipcub22TransformInputIteratorIiNS7_6CastOpIiEES6_lEEPdiNS7_8EqualityENS7_3SumENS0_19lookback_scan_stateINS_5tupleIJibEEELb1ELb1EEEiEEvT2_T3_T4_T5_T6_T7_T8_mmmPKNSG_IJT9_bEEE,@function
_ZN7rocprim6detail25device_scan_by_key_kernelILNS0_25lookback_scan_determinismE0ELb0ENS0_26wrapped_scan_by_key_configINS_14default_configEiiEEPiN6hipcub22TransformInputIteratorIiNS7_6CastOpIiEES6_lEEPdiNS7_8EqualityENS7_3SumENS0_19lookback_scan_stateINS_5tupleIJibEEELb1ELb1EEEiEEvT2_T3_T4_T5_T6_T7_T8_mmmPKNSG_IJT9_bEEE: ; @_ZN7rocprim6detail25device_scan_by_key_kernelILNS0_25lookback_scan_determinismE0ELb0ENS0_26wrapped_scan_by_key_configINS_14default_configEiiEEPiN6hipcub22TransformInputIteratorIiNS7_6CastOpIiEES6_lEEPdiNS7_8EqualityENS7_3SumENS0_19lookback_scan_stateINS_5tupleIJibEEELb1ELb1EEEiEEvT2_T3_T4_T5_T6_T7_T8_mmmPKNSG_IJT9_bEEE
; %bb.0:
	s_endpgm
	.section	.rodata,"a",@progbits
	.p2align	6, 0x0
	.amdhsa_kernel _ZN7rocprim6detail25device_scan_by_key_kernelILNS0_25lookback_scan_determinismE0ELb0ENS0_26wrapped_scan_by_key_configINS_14default_configEiiEEPiN6hipcub22TransformInputIteratorIiNS7_6CastOpIiEES6_lEEPdiNS7_8EqualityENS7_3SumENS0_19lookback_scan_stateINS_5tupleIJibEEELb1ELb1EEEiEEvT2_T3_T4_T5_T6_T7_T8_mmmPKNSG_IJT9_bEEE
		.amdhsa_group_segment_fixed_size 0
		.amdhsa_private_segment_fixed_size 0
		.amdhsa_kernarg_size 80
		.amdhsa_user_sgpr_count 2
		.amdhsa_user_sgpr_dispatch_ptr 0
		.amdhsa_user_sgpr_queue_ptr 0
		.amdhsa_user_sgpr_kernarg_segment_ptr 1
		.amdhsa_user_sgpr_dispatch_id 0
		.amdhsa_user_sgpr_kernarg_preload_length 0
		.amdhsa_user_sgpr_kernarg_preload_offset 0
		.amdhsa_user_sgpr_private_segment_size 0
		.amdhsa_uses_dynamic_stack 0
		.amdhsa_enable_private_segment 0
		.amdhsa_system_sgpr_workgroup_id_x 1
		.amdhsa_system_sgpr_workgroup_id_y 0
		.amdhsa_system_sgpr_workgroup_id_z 0
		.amdhsa_system_sgpr_workgroup_info 0
		.amdhsa_system_vgpr_workitem_id 0
		.amdhsa_next_free_vgpr 1
		.amdhsa_next_free_sgpr 0
		.amdhsa_accum_offset 4
		.amdhsa_reserve_vcc 0
		.amdhsa_float_round_mode_32 0
		.amdhsa_float_round_mode_16_64 0
		.amdhsa_float_denorm_mode_32 3
		.amdhsa_float_denorm_mode_16_64 3
		.amdhsa_dx10_clamp 1
		.amdhsa_ieee_mode 1
		.amdhsa_fp16_overflow 0
		.amdhsa_tg_split 0
		.amdhsa_exception_fp_ieee_invalid_op 0
		.amdhsa_exception_fp_denorm_src 0
		.amdhsa_exception_fp_ieee_div_zero 0
		.amdhsa_exception_fp_ieee_overflow 0
		.amdhsa_exception_fp_ieee_underflow 0
		.amdhsa_exception_fp_ieee_inexact 0
		.amdhsa_exception_int_div_zero 0
	.end_amdhsa_kernel
	.section	.text._ZN7rocprim6detail25device_scan_by_key_kernelILNS0_25lookback_scan_determinismE0ELb0ENS0_26wrapped_scan_by_key_configINS_14default_configEiiEEPiN6hipcub22TransformInputIteratorIiNS7_6CastOpIiEES6_lEEPdiNS7_8EqualityENS7_3SumENS0_19lookback_scan_stateINS_5tupleIJibEEELb1ELb1EEEiEEvT2_T3_T4_T5_T6_T7_T8_mmmPKNSG_IJT9_bEEE,"axG",@progbits,_ZN7rocprim6detail25device_scan_by_key_kernelILNS0_25lookback_scan_determinismE0ELb0ENS0_26wrapped_scan_by_key_configINS_14default_configEiiEEPiN6hipcub22TransformInputIteratorIiNS7_6CastOpIiEES6_lEEPdiNS7_8EqualityENS7_3SumENS0_19lookback_scan_stateINS_5tupleIJibEEELb1ELb1EEEiEEvT2_T3_T4_T5_T6_T7_T8_mmmPKNSG_IJT9_bEEE,comdat
.Lfunc_end55:
	.size	_ZN7rocprim6detail25device_scan_by_key_kernelILNS0_25lookback_scan_determinismE0ELb0ENS0_26wrapped_scan_by_key_configINS_14default_configEiiEEPiN6hipcub22TransformInputIteratorIiNS7_6CastOpIiEES6_lEEPdiNS7_8EqualityENS7_3SumENS0_19lookback_scan_stateINS_5tupleIJibEEELb1ELb1EEEiEEvT2_T3_T4_T5_T6_T7_T8_mmmPKNSG_IJT9_bEEE, .Lfunc_end55-_ZN7rocprim6detail25device_scan_by_key_kernelILNS0_25lookback_scan_determinismE0ELb0ENS0_26wrapped_scan_by_key_configINS_14default_configEiiEEPiN6hipcub22TransformInputIteratorIiNS7_6CastOpIiEES6_lEEPdiNS7_8EqualityENS7_3SumENS0_19lookback_scan_stateINS_5tupleIJibEEELb1ELb1EEEiEEvT2_T3_T4_T5_T6_T7_T8_mmmPKNSG_IJT9_bEEE
                                        ; -- End function
	.section	.AMDGPU.csdata,"",@progbits
; Kernel info:
; codeLenInByte = 4
; NumSgprs: 6
; NumVgprs: 0
; NumAgprs: 0
; TotalNumVgprs: 0
; ScratchSize: 0
; MemoryBound: 0
; FloatMode: 240
; IeeeMode: 1
; LDSByteSize: 0 bytes/workgroup (compile time only)
; SGPRBlocks: 0
; VGPRBlocks: 0
; NumSGPRsForWavesPerEU: 6
; NumVGPRsForWavesPerEU: 1
; AccumOffset: 4
; Occupancy: 8
; WaveLimiterHint : 0
; COMPUTE_PGM_RSRC2:SCRATCH_EN: 0
; COMPUTE_PGM_RSRC2:USER_SGPR: 2
; COMPUTE_PGM_RSRC2:TRAP_HANDLER: 0
; COMPUTE_PGM_RSRC2:TGID_X_EN: 1
; COMPUTE_PGM_RSRC2:TGID_Y_EN: 0
; COMPUTE_PGM_RSRC2:TGID_Z_EN: 0
; COMPUTE_PGM_RSRC2:TIDIG_COMP_CNT: 0
; COMPUTE_PGM_RSRC3_GFX90A:ACCUM_OFFSET: 0
; COMPUTE_PGM_RSRC3_GFX90A:TG_SPLIT: 0
	.section	.text._ZN7rocprim6detail25device_scan_by_key_kernelILNS0_25lookback_scan_determinismE0ELb0ENS0_26wrapped_scan_by_key_configINS_14default_configEiiEEPiN6hipcub22TransformInputIteratorIiNS7_6CastOpIiEES6_lEEPdiNS7_8EqualityENS7_3SumENS0_19lookback_scan_stateINS_5tupleIJibEEELb0ELb1EEEiEEvT2_T3_T4_T5_T6_T7_T8_mmmPKNSG_IJT9_bEEE,"axG",@progbits,_ZN7rocprim6detail25device_scan_by_key_kernelILNS0_25lookback_scan_determinismE0ELb0ENS0_26wrapped_scan_by_key_configINS_14default_configEiiEEPiN6hipcub22TransformInputIteratorIiNS7_6CastOpIiEES6_lEEPdiNS7_8EqualityENS7_3SumENS0_19lookback_scan_stateINS_5tupleIJibEEELb0ELb1EEEiEEvT2_T3_T4_T5_T6_T7_T8_mmmPKNSG_IJT9_bEEE,comdat
	.protected	_ZN7rocprim6detail25device_scan_by_key_kernelILNS0_25lookback_scan_determinismE0ELb0ENS0_26wrapped_scan_by_key_configINS_14default_configEiiEEPiN6hipcub22TransformInputIteratorIiNS7_6CastOpIiEES6_lEEPdiNS7_8EqualityENS7_3SumENS0_19lookback_scan_stateINS_5tupleIJibEEELb0ELb1EEEiEEvT2_T3_T4_T5_T6_T7_T8_mmmPKNSG_IJT9_bEEE ; -- Begin function _ZN7rocprim6detail25device_scan_by_key_kernelILNS0_25lookback_scan_determinismE0ELb0ENS0_26wrapped_scan_by_key_configINS_14default_configEiiEEPiN6hipcub22TransformInputIteratorIiNS7_6CastOpIiEES6_lEEPdiNS7_8EqualityENS7_3SumENS0_19lookback_scan_stateINS_5tupleIJibEEELb0ELb1EEEiEEvT2_T3_T4_T5_T6_T7_T8_mmmPKNSG_IJT9_bEEE
	.globl	_ZN7rocprim6detail25device_scan_by_key_kernelILNS0_25lookback_scan_determinismE0ELb0ENS0_26wrapped_scan_by_key_configINS_14default_configEiiEEPiN6hipcub22TransformInputIteratorIiNS7_6CastOpIiEES6_lEEPdiNS7_8EqualityENS7_3SumENS0_19lookback_scan_stateINS_5tupleIJibEEELb0ELb1EEEiEEvT2_T3_T4_T5_T6_T7_T8_mmmPKNSG_IJT9_bEEE
	.p2align	8
	.type	_ZN7rocprim6detail25device_scan_by_key_kernelILNS0_25lookback_scan_determinismE0ELb0ENS0_26wrapped_scan_by_key_configINS_14default_configEiiEEPiN6hipcub22TransformInputIteratorIiNS7_6CastOpIiEES6_lEEPdiNS7_8EqualityENS7_3SumENS0_19lookback_scan_stateINS_5tupleIJibEEELb0ELb1EEEiEEvT2_T3_T4_T5_T6_T7_T8_mmmPKNSG_IJT9_bEEE,@function
_ZN7rocprim6detail25device_scan_by_key_kernelILNS0_25lookback_scan_determinismE0ELb0ENS0_26wrapped_scan_by_key_configINS_14default_configEiiEEPiN6hipcub22TransformInputIteratorIiNS7_6CastOpIiEES6_lEEPdiNS7_8EqualityENS7_3SumENS0_19lookback_scan_stateINS_5tupleIJibEEELb0ELb1EEEiEEvT2_T3_T4_T5_T6_T7_T8_mmmPKNSG_IJT9_bEEE: ; @_ZN7rocprim6detail25device_scan_by_key_kernelILNS0_25lookback_scan_determinismE0ELb0ENS0_26wrapped_scan_by_key_configINS_14default_configEiiEEPiN6hipcub22TransformInputIteratorIiNS7_6CastOpIiEES6_lEEPdiNS7_8EqualityENS7_3SumENS0_19lookback_scan_stateINS_5tupleIJibEEELb0ELb1EEEiEEvT2_T3_T4_T5_T6_T7_T8_mmmPKNSG_IJT9_bEEE
; %bb.0:
	s_load_dwordx4 s[4:7], s[0:1], 0x0
	s_load_dwordx8 s[68:75], s[0:1], 0x28
	s_load_dwordx2 s[76:77], s[0:1], 0x48
	s_mul_i32 s66, s2, 0x1700
	s_mov_b32 s67, 0
	s_lshl_b64 s[8:9], s[66:67], 2
	s_waitcnt lgkmcnt(0)
	s_add_u32 s54, s4, s8
	s_addc_u32 s55, s5, s9
	s_add_u32 s52, s6, s8
	s_addc_u32 s53, s7, s9
	;; [unrolled: 2-line block ×3, first 2 shown]
	s_add_u32 s8, s74, -1
	s_addc_u32 s9, s75, -1
	v_mov_b64_e32 v[2:3], s[8:9]
	v_cmp_ge_u64_e64 s[64:65], s[4:5], v[2:3]
	s_mov_b64 s[6:7], -1
	s_and_b64 vcc, exec, s[64:65]
	s_mul_i32 s33, s8, 0xffffe900
	s_cbranch_vccz .LBB56_71
; %bb.1:
	s_load_dword s56, s[54:55], 0x0
	s_add_i32 s3, s33, s70
	v_mov_b32_e32 v3, 0
	v_lshlrev_b32_e32 v2, 2, v0
	v_lshl_add_u64 v[4:5], s[54:55], 0, v[2:3]
	v_cmp_gt_u32_e64 s[4:5], s3, v0
	s_waitcnt lgkmcnt(0)
	v_mov_b32_e32 v1, s56
	s_and_saveexec_b64 s[6:7], s[4:5]
	s_cbranch_execz .LBB56_3
; %bb.2:
	global_load_dword v1, v[4:5], off
.LBB56_3:
	s_or_b64 exec, exec, s[6:7]
	v_or_b32_e32 v3, 0x100, v0
	v_cmp_gt_u32_e64 s[6:7], s3, v3
	v_mov_b32_e32 v3, s56
	s_and_saveexec_b64 s[8:9], s[6:7]
	s_cbranch_execz .LBB56_5
; %bb.4:
	global_load_dword v3, v[4:5], off offset:1024
.LBB56_5:
	s_or_b64 exec, exec, s[8:9]
	v_or_b32_e32 v6, 0x200, v0
	v_cmp_gt_u32_e64 s[8:9], s3, v6
	v_mov_b32_e32 v6, s56
	s_and_saveexec_b64 s[10:11], s[8:9]
	s_cbranch_execz .LBB56_7
; %bb.6:
	global_load_dword v6, v[4:5], off offset:2048
.LBB56_7:
	;; [unrolled: 9-line block ×3, first 2 shown]
	s_or_b64 exec, exec, s[12:13]
	v_or_b32_e32 v8, 0x400, v0
	v_cmp_gt_u32_e64 s[12:13], s3, v8
	v_mov_b32_e32 v8, s56
	s_and_saveexec_b64 s[14:15], s[12:13]
	s_cbranch_execz .LBB56_11
; %bb.10:
	v_add_co_u32_e32 v8, vcc, 0x1000, v4
	s_nop 1
	v_addc_co_u32_e32 v9, vcc, 0, v5, vcc
	global_load_dword v8, v[8:9], off
.LBB56_11:
	s_or_b64 exec, exec, s[14:15]
	v_or_b32_e32 v9, 0x500, v0
	v_cmp_gt_u32_e64 s[14:15], s3, v9
	v_mov_b32_e32 v9, s56
	s_and_saveexec_b64 s[16:17], s[14:15]
	s_cbranch_execz .LBB56_13
; %bb.12:
	v_add_co_u32_e32 v10, vcc, 0x1000, v4
	s_nop 1
	v_addc_co_u32_e32 v11, vcc, 0, v5, vcc
	global_load_dword v9, v[10:11], off offset:1024
.LBB56_13:
	s_or_b64 exec, exec, s[16:17]
	v_or_b32_e32 v10, 0x600, v0
	v_cmp_gt_u32_e64 s[16:17], s3, v10
	v_mov_b32_e32 v10, s56
	s_and_saveexec_b64 s[18:19], s[16:17]
	s_cbranch_execz .LBB56_15
; %bb.14:
	v_add_co_u32_e32 v10, vcc, 0x1000, v4
	s_nop 1
	v_addc_co_u32_e32 v11, vcc, 0, v5, vcc
	global_load_dword v10, v[10:11], off offset:2048
.LBB56_15:
	s_or_b64 exec, exec, s[18:19]
	v_or_b32_e32 v11, 0x700, v0
	v_cmp_gt_u32_e64 s[18:19], s3, v11
	v_mov_b32_e32 v11, s56
	s_and_saveexec_b64 s[20:21], s[18:19]
	s_cbranch_execz .LBB56_17
; %bb.16:
	v_add_co_u32_e32 v12, vcc, 0x1000, v4
	s_nop 1
	v_addc_co_u32_e32 v13, vcc, 0, v5, vcc
	global_load_dword v11, v[12:13], off offset:3072
.LBB56_17:
	s_or_b64 exec, exec, s[20:21]
	v_or_b32_e32 v12, 0x800, v0
	v_cmp_gt_u32_e64 s[20:21], s3, v12
	v_mov_b32_e32 v12, s56
	s_and_saveexec_b64 s[22:23], s[20:21]
	s_cbranch_execz .LBB56_19
; %bb.18:
	v_add_co_u32_e32 v12, vcc, 0x2000, v4
	s_nop 1
	v_addc_co_u32_e32 v13, vcc, 0, v5, vcc
	global_load_dword v12, v[12:13], off
.LBB56_19:
	s_or_b64 exec, exec, s[22:23]
	v_or_b32_e32 v13, 0x900, v0
	v_cmp_gt_u32_e64 s[22:23], s3, v13
	v_mov_b32_e32 v13, s56
	s_and_saveexec_b64 s[24:25], s[22:23]
	s_cbranch_execz .LBB56_21
; %bb.20:
	v_add_co_u32_e32 v14, vcc, 0x2000, v4
	s_nop 1
	v_addc_co_u32_e32 v15, vcc, 0, v5, vcc
	global_load_dword v13, v[14:15], off offset:1024
.LBB56_21:
	s_or_b64 exec, exec, s[24:25]
	v_or_b32_e32 v14, 0xa00, v0
	v_cmp_gt_u32_e64 s[24:25], s3, v14
	v_mov_b32_e32 v14, s56
	s_and_saveexec_b64 s[26:27], s[24:25]
	s_cbranch_execz .LBB56_23
; %bb.22:
	v_add_co_u32_e32 v14, vcc, 0x2000, v4
	s_nop 1
	v_addc_co_u32_e32 v15, vcc, 0, v5, vcc
	global_load_dword v14, v[14:15], off offset:2048
.LBB56_23:
	s_or_b64 exec, exec, s[26:27]
	v_or_b32_e32 v15, 0xb00, v0
	v_cmp_gt_u32_e64 s[26:27], s3, v15
	v_mov_b32_e32 v15, s56
	s_and_saveexec_b64 s[28:29], s[26:27]
	s_cbranch_execz .LBB56_25
; %bb.24:
	v_add_co_u32_e32 v16, vcc, 0x2000, v4
	s_nop 1
	v_addc_co_u32_e32 v17, vcc, 0, v5, vcc
	global_load_dword v15, v[16:17], off offset:3072
.LBB56_25:
	;; [unrolled: 48-line block ×4, first 2 shown]
	s_or_b64 exec, exec, s[46:47]
	v_or_b32_e32 v24, 0x1400, v0
	v_cmp_gt_u32_e64 s[46:47], s3, v24
	v_mov_b32_e32 v24, s56
	s_and_saveexec_b64 s[48:49], s[46:47]
	s_cbranch_execz .LBB56_43
; %bb.42:
	v_add_co_u32_e32 v24, vcc, 0x5000, v4
	s_nop 1
	v_addc_co_u32_e32 v25, vcc, 0, v5, vcc
	global_load_dword v24, v[24:25], off
.LBB56_43:
	s_or_b64 exec, exec, s[48:49]
	v_or_b32_e32 v25, 0x1500, v0
	v_cmp_gt_u32_e64 s[48:49], s3, v25
	v_mov_b32_e32 v25, s56
	s_and_saveexec_b64 s[50:51], s[48:49]
	s_cbranch_execz .LBB56_45
; %bb.44:
	v_add_co_u32_e32 v26, vcc, 0x5000, v4
	s_nop 1
	v_addc_co_u32_e32 v27, vcc, 0, v5, vcc
	global_load_dword v25, v[26:27], off offset:1024
.LBB56_45:
	s_or_b64 exec, exec, s[50:51]
	v_or_b32_e32 v26, 0x1600, v0
	v_cmp_gt_u32_e64 s[50:51], s3, v26
	v_mov_b32_e32 v26, s56
	s_and_saveexec_b64 s[56:57], s[50:51]
	s_cbranch_execz .LBB56_47
; %bb.46:
	v_add_co_u32_e32 v4, vcc, 0x5000, v4
	s_nop 1
	v_addc_co_u32_e32 v5, vcc, 0, v5, vcc
	global_load_dword v26, v[4:5], off offset:2048
.LBB56_47:
	s_or_b64 exec, exec, s[56:57]
	s_movk_i32 s56, 0x58
	s_waitcnt vmcnt(0)
	ds_write2st64_b32 v2, v1, v3 offset1:4
	ds_write2st64_b32 v2, v6, v7 offset0:8 offset1:12
	ds_write2st64_b32 v2, v8, v9 offset0:16 offset1:20
	;; [unrolled: 1-line block ×10, first 2 shown]
	ds_write_b32 v2, v26 offset:22528
	v_mad_u32_u24 v1, v0, s56, v2
	s_sub_u32 s56, 0, s2
	s_subb_u32 s57, 0, 0
	s_cmp_eq_u64 s[56:57], s[72:73]
	s_cselect_b32 s56, 0, -4
	s_cselect_b32 s57, 0, -1
	s_add_u32 s56, s54, s56
	s_addc_u32 s57, s55, s57
	s_waitcnt lgkmcnt(0)
	s_barrier
	ds_read2_b32 v[68:69], v1 offset1:1
	ds_read2_b32 v[66:67], v1 offset0:2 offset1:3
	ds_read2_b32 v[64:65], v1 offset0:4 offset1:5
	;; [unrolled: 1-line block ×10, first 2 shown]
	ds_read_b32 v72, v1 offset:88
	s_load_dword s56, s[56:57], 0x0
	s_movk_i32 s57, 0xffa8
	v_mad_i32_i24 v3, v0, s57, v1
	v_cmp_ne_u32_e32 vcc, 0, v0
	s_waitcnt lgkmcnt(0)
	ds_write_b32 v3, v72 offset:23552
	v_mov_b32_e32 v70, s56
	s_waitcnt lgkmcnt(0)
	s_barrier
	s_and_saveexec_b64 s[56:57], vcc
	s_cbranch_execz .LBB56_49
; %bb.48:
	v_mul_i32_i24_e32 v3, 0xffffffa8, v0
	v_add_u32_e32 v3, v1, v3
	ds_read_b32 v70, v3 offset:23548
.LBB56_49:
	s_or_b64 exec, exec, s[56:57]
	v_mov_b32_e32 v3, 0
	v_lshl_add_u64 v[10:11], s[52:53], 0, v[2:3]
	s_waitcnt lgkmcnt(0)
	s_barrier
	s_waitcnt lgkmcnt(0)
                                        ; implicit-def: $vgpr3
	s_and_saveexec_b64 s[56:57], s[4:5]
	s_cbranch_execz .LBB56_72
; %bb.50:
	global_load_dword v3, v[10:11], off
	s_or_b64 exec, exec, s[56:57]
                                        ; implicit-def: $vgpr12
	s_and_saveexec_b64 s[4:5], s[6:7]
	s_cbranch_execnz .LBB56_73
.LBB56_51:
	s_or_b64 exec, exec, s[4:5]
                                        ; implicit-def: $vgpr13
	s_and_saveexec_b64 s[4:5], s[8:9]
	s_cbranch_execz .LBB56_74
.LBB56_52:
	global_load_dword v13, v[10:11], off offset:2048
	s_or_b64 exec, exec, s[4:5]
                                        ; implicit-def: $vgpr14
	s_and_saveexec_b64 s[4:5], s[10:11]
	s_cbranch_execnz .LBB56_75
.LBB56_53:
	s_or_b64 exec, exec, s[4:5]
                                        ; implicit-def: $vgpr15
	s_and_saveexec_b64 s[4:5], s[12:13]
	s_cbranch_execz .LBB56_76
.LBB56_54:
	v_add_co_u32_e32 v16, vcc, 0x1000, v10
	s_nop 1
	v_addc_co_u32_e32 v17, vcc, 0, v11, vcc
	global_load_dword v15, v[16:17], off
	s_or_b64 exec, exec, s[4:5]
                                        ; implicit-def: $vgpr16
	s_and_saveexec_b64 s[4:5], s[14:15]
	s_cbranch_execnz .LBB56_77
.LBB56_55:
	s_or_b64 exec, exec, s[4:5]
                                        ; implicit-def: $vgpr17
	s_and_saveexec_b64 s[4:5], s[16:17]
	s_cbranch_execz .LBB56_78
.LBB56_56:
	v_add_co_u32_e32 v18, vcc, 0x1000, v10
	s_nop 1
	v_addc_co_u32_e32 v19, vcc, 0, v11, vcc
	global_load_dword v17, v[18:19], off offset:2048
	s_or_b64 exec, exec, s[4:5]
                                        ; implicit-def: $vgpr18
	s_and_saveexec_b64 s[4:5], s[18:19]
	s_cbranch_execnz .LBB56_79
.LBB56_57:
	s_or_b64 exec, exec, s[4:5]
                                        ; implicit-def: $vgpr19
	s_and_saveexec_b64 s[4:5], s[20:21]
	s_cbranch_execz .LBB56_80
.LBB56_58:
	v_add_co_u32_e32 v20, vcc, 0x2000, v10
	s_nop 1
	v_addc_co_u32_e32 v21, vcc, 0, v11, vcc
	global_load_dword v19, v[20:21], off
	s_or_b64 exec, exec, s[4:5]
                                        ; implicit-def: $vgpr20
	s_and_saveexec_b64 s[4:5], s[22:23]
	s_cbranch_execnz .LBB56_81
.LBB56_59:
	s_or_b64 exec, exec, s[4:5]
                                        ; implicit-def: $vgpr21
	s_and_saveexec_b64 s[4:5], s[24:25]
	s_cbranch_execz .LBB56_82
.LBB56_60:
	v_add_co_u32_e32 v22, vcc, 0x2000, v10
	s_nop 1
	v_addc_co_u32_e32 v23, vcc, 0, v11, vcc
	global_load_dword v21, v[22:23], off offset:2048
	s_or_b64 exec, exec, s[4:5]
                                        ; implicit-def: $vgpr22
	s_and_saveexec_b64 s[4:5], s[26:27]
	s_cbranch_execnz .LBB56_83
.LBB56_61:
	s_or_b64 exec, exec, s[4:5]
                                        ; implicit-def: $vgpr23
	s_and_saveexec_b64 s[4:5], s[28:29]
	s_cbranch_execz .LBB56_84
.LBB56_62:
	v_add_co_u32_e32 v24, vcc, 0x3000, v10
	s_nop 1
	v_addc_co_u32_e32 v25, vcc, 0, v11, vcc
	global_load_dword v23, v[24:25], off
	s_or_b64 exec, exec, s[4:5]
                                        ; implicit-def: $vgpr24
	s_and_saveexec_b64 s[4:5], s[30:31]
	s_cbranch_execnz .LBB56_85
.LBB56_63:
	s_or_b64 exec, exec, s[4:5]
                                        ; implicit-def: $vgpr25
	s_and_saveexec_b64 s[4:5], s[34:35]
	s_cbranch_execz .LBB56_86
.LBB56_64:
	v_add_co_u32_e32 v26, vcc, 0x3000, v10
	s_nop 1
	v_addc_co_u32_e32 v27, vcc, 0, v11, vcc
	global_load_dword v25, v[26:27], off offset:2048
	s_or_b64 exec, exec, s[4:5]
                                        ; implicit-def: $vgpr26
	s_and_saveexec_b64 s[4:5], s[36:37]
	s_cbranch_execnz .LBB56_87
.LBB56_65:
	s_or_b64 exec, exec, s[4:5]
                                        ; implicit-def: $vgpr27
	s_and_saveexec_b64 s[4:5], s[38:39]
	s_cbranch_execz .LBB56_88
.LBB56_66:
	v_add_co_u32_e32 v28, vcc, 0x4000, v10
	s_nop 1
	v_addc_co_u32_e32 v29, vcc, 0, v11, vcc
	global_load_dword v27, v[28:29], off
	s_or_b64 exec, exec, s[4:5]
                                        ; implicit-def: $vgpr28
	s_and_saveexec_b64 s[4:5], s[40:41]
	s_cbranch_execnz .LBB56_89
.LBB56_67:
	s_or_b64 exec, exec, s[4:5]
                                        ; implicit-def: $vgpr29
	s_and_saveexec_b64 s[4:5], s[42:43]
	s_cbranch_execz .LBB56_90
.LBB56_68:
	v_add_co_u32_e32 v30, vcc, 0x4000, v10
	s_nop 1
	v_addc_co_u32_e32 v31, vcc, 0, v11, vcc
	global_load_dword v29, v[30:31], off offset:2048
	s_or_b64 exec, exec, s[4:5]
                                        ; implicit-def: $vgpr30
	s_and_saveexec_b64 s[4:5], s[44:45]
	s_cbranch_execnz .LBB56_91
.LBB56_69:
	s_or_b64 exec, exec, s[4:5]
                                        ; implicit-def: $vgpr31
	s_and_saveexec_b64 s[4:5], s[46:47]
	s_cbranch_execz .LBB56_92
.LBB56_70:
	v_add_co_u32_e32 v32, vcc, 0x5000, v10
	s_nop 1
	v_addc_co_u32_e32 v33, vcc, 0, v11, vcc
	global_load_dword v31, v[32:33], off
	s_or_b64 exec, exec, s[4:5]
                                        ; implicit-def: $vgpr32
	s_and_saveexec_b64 s[4:5], s[48:49]
	s_cbranch_execz .LBB56_94
	s_branch .LBB56_93
.LBB56_71:
	s_mov_b64 s[12:13], 0
                                        ; implicit-def: $sgpr10_sgpr11
                                        ; implicit-def: $vgpr3
                                        ; implicit-def: $vgpr10_vgpr11
                                        ; implicit-def: $vgpr12_vgpr13
                                        ; implicit-def: $vgpr14_vgpr15
                                        ; implicit-def: $vgpr16_vgpr17
                                        ; implicit-def: $vgpr18_vgpr19
                                        ; implicit-def: $vgpr20_vgpr21
                                        ; implicit-def: $vgpr22_vgpr23
                                        ; implicit-def: $vgpr24_vgpr25
                                        ; implicit-def: $vgpr26_vgpr27
                                        ; implicit-def: $vgpr28_vgpr29
                                        ; implicit-def: $vgpr30_vgpr31
                                        ; implicit-def: $vgpr32_vgpr33
                                        ; implicit-def: $vgpr34_vgpr35
                                        ; implicit-def: $vgpr36_vgpr37
                                        ; implicit-def: $vgpr38_vgpr39
                                        ; implicit-def: $vgpr40_vgpr41
                                        ; implicit-def: $vgpr42_vgpr43
                                        ; implicit-def: $vgpr44_vgpr45
                                        ; implicit-def: $vgpr46_vgpr47
                                        ; implicit-def: $vgpr48_vgpr49
                                        ; implicit-def: $vgpr50_vgpr51
                                        ; implicit-def: $vgpr52_vgpr53
                                        ; implicit-def: $sgpr8_sgpr9
	s_and_b64 vcc, exec, s[6:7]
	v_cmp_ne_u32_e64 s[4:5], 0, v0
	s_cbranch_vccz .LBB56_144
	s_branch .LBB56_141
.LBB56_72:
	s_or_b64 exec, exec, s[56:57]
                                        ; implicit-def: $vgpr12
	s_and_saveexec_b64 s[4:5], s[6:7]
	s_cbranch_execz .LBB56_51
.LBB56_73:
	global_load_dword v12, v[10:11], off offset:1024
	s_or_b64 exec, exec, s[4:5]
                                        ; implicit-def: $vgpr13
	s_and_saveexec_b64 s[4:5], s[8:9]
	s_cbranch_execnz .LBB56_52
.LBB56_74:
	s_or_b64 exec, exec, s[4:5]
                                        ; implicit-def: $vgpr14
	s_and_saveexec_b64 s[4:5], s[10:11]
	s_cbranch_execz .LBB56_53
.LBB56_75:
	global_load_dword v14, v[10:11], off offset:3072
	s_or_b64 exec, exec, s[4:5]
                                        ; implicit-def: $vgpr15
	s_and_saveexec_b64 s[4:5], s[12:13]
	s_cbranch_execnz .LBB56_54
.LBB56_76:
	s_or_b64 exec, exec, s[4:5]
                                        ; implicit-def: $vgpr16
	s_and_saveexec_b64 s[4:5], s[14:15]
	s_cbranch_execz .LBB56_55
.LBB56_77:
	v_add_co_u32_e32 v16, vcc, 0x1000, v10
	s_nop 1
	v_addc_co_u32_e32 v17, vcc, 0, v11, vcc
	global_load_dword v16, v[16:17], off offset:1024
	s_or_b64 exec, exec, s[4:5]
                                        ; implicit-def: $vgpr17
	s_and_saveexec_b64 s[4:5], s[16:17]
	s_cbranch_execnz .LBB56_56
.LBB56_78:
	s_or_b64 exec, exec, s[4:5]
                                        ; implicit-def: $vgpr18
	s_and_saveexec_b64 s[4:5], s[18:19]
	s_cbranch_execz .LBB56_57
.LBB56_79:
	v_add_co_u32_e32 v18, vcc, 0x1000, v10
	s_nop 1
	v_addc_co_u32_e32 v19, vcc, 0, v11, vcc
	global_load_dword v18, v[18:19], off offset:3072
	s_or_b64 exec, exec, s[4:5]
                                        ; implicit-def: $vgpr19
	s_and_saveexec_b64 s[4:5], s[20:21]
	s_cbranch_execnz .LBB56_58
.LBB56_80:
	s_or_b64 exec, exec, s[4:5]
                                        ; implicit-def: $vgpr20
	s_and_saveexec_b64 s[4:5], s[22:23]
	s_cbranch_execz .LBB56_59
.LBB56_81:
	v_add_co_u32_e32 v20, vcc, 0x2000, v10
	s_nop 1
	v_addc_co_u32_e32 v21, vcc, 0, v11, vcc
	global_load_dword v20, v[20:21], off offset:1024
	s_or_b64 exec, exec, s[4:5]
                                        ; implicit-def: $vgpr21
	s_and_saveexec_b64 s[4:5], s[24:25]
	s_cbranch_execnz .LBB56_60
.LBB56_82:
	s_or_b64 exec, exec, s[4:5]
                                        ; implicit-def: $vgpr22
	s_and_saveexec_b64 s[4:5], s[26:27]
	s_cbranch_execz .LBB56_61
.LBB56_83:
	v_add_co_u32_e32 v22, vcc, 0x2000, v10
	s_nop 1
	v_addc_co_u32_e32 v23, vcc, 0, v11, vcc
	global_load_dword v22, v[22:23], off offset:3072
	s_or_b64 exec, exec, s[4:5]
                                        ; implicit-def: $vgpr23
	s_and_saveexec_b64 s[4:5], s[28:29]
	s_cbranch_execnz .LBB56_62
.LBB56_84:
	s_or_b64 exec, exec, s[4:5]
                                        ; implicit-def: $vgpr24
	s_and_saveexec_b64 s[4:5], s[30:31]
	s_cbranch_execz .LBB56_63
.LBB56_85:
	v_add_co_u32_e32 v24, vcc, 0x3000, v10
	s_nop 1
	v_addc_co_u32_e32 v25, vcc, 0, v11, vcc
	global_load_dword v24, v[24:25], off offset:1024
	s_or_b64 exec, exec, s[4:5]
                                        ; implicit-def: $vgpr25
	s_and_saveexec_b64 s[4:5], s[34:35]
	s_cbranch_execnz .LBB56_64
.LBB56_86:
	s_or_b64 exec, exec, s[4:5]
                                        ; implicit-def: $vgpr26
	s_and_saveexec_b64 s[4:5], s[36:37]
	s_cbranch_execz .LBB56_65
.LBB56_87:
	v_add_co_u32_e32 v26, vcc, 0x3000, v10
	s_nop 1
	v_addc_co_u32_e32 v27, vcc, 0, v11, vcc
	global_load_dword v26, v[26:27], off offset:3072
	s_or_b64 exec, exec, s[4:5]
                                        ; implicit-def: $vgpr27
	s_and_saveexec_b64 s[4:5], s[38:39]
	s_cbranch_execnz .LBB56_66
.LBB56_88:
	s_or_b64 exec, exec, s[4:5]
                                        ; implicit-def: $vgpr28
	s_and_saveexec_b64 s[4:5], s[40:41]
	s_cbranch_execz .LBB56_67
.LBB56_89:
	v_add_co_u32_e32 v28, vcc, 0x4000, v10
	s_nop 1
	v_addc_co_u32_e32 v29, vcc, 0, v11, vcc
	global_load_dword v28, v[28:29], off offset:1024
	s_or_b64 exec, exec, s[4:5]
                                        ; implicit-def: $vgpr29
	s_and_saveexec_b64 s[4:5], s[42:43]
	s_cbranch_execnz .LBB56_68
.LBB56_90:
	s_or_b64 exec, exec, s[4:5]
                                        ; implicit-def: $vgpr30
	s_and_saveexec_b64 s[4:5], s[44:45]
	s_cbranch_execz .LBB56_69
.LBB56_91:
	v_add_co_u32_e32 v30, vcc, 0x4000, v10
	s_nop 1
	v_addc_co_u32_e32 v31, vcc, 0, v11, vcc
	global_load_dword v30, v[30:31], off offset:3072
	s_or_b64 exec, exec, s[4:5]
                                        ; implicit-def: $vgpr31
	s_and_saveexec_b64 s[4:5], s[46:47]
	s_cbranch_execnz .LBB56_70
.LBB56_92:
	s_or_b64 exec, exec, s[4:5]
                                        ; implicit-def: $vgpr32
	s_and_saveexec_b64 s[4:5], s[48:49]
	s_cbranch_execz .LBB56_94
.LBB56_93:
	v_add_co_u32_e32 v32, vcc, 0x5000, v10
	s_nop 1
	v_addc_co_u32_e32 v33, vcc, 0, v11, vcc
	global_load_dword v32, v[32:33], off offset:1024
.LBB56_94:
	s_or_b64 exec, exec, s[4:5]
	v_mul_u32_u24_e32 v73, 23, v0
                                        ; implicit-def: $vgpr33
	s_and_saveexec_b64 s[4:5], s[50:51]
	s_cbranch_execz .LBB56_96
; %bb.95:
	v_add_co_u32_e32 v10, vcc, 0x5000, v10
	s_nop 1
	v_addc_co_u32_e32 v11, vcc, 0, v11, vcc
	global_load_dword v33, v[10:11], off offset:2048
.LBB56_96:
	s_or_b64 exec, exec, s[4:5]
	v_mov_b64_e32 v[10:11], 0
	s_waitcnt vmcnt(0)
	ds_write2st64_b32 v2, v3, v12 offset1:4
	ds_write2st64_b32 v2, v13, v14 offset0:8 offset1:12
	ds_write2st64_b32 v2, v15, v16 offset0:16 offset1:20
	;; [unrolled: 1-line block ×10, first 2 shown]
	ds_write_b32 v2, v33 offset:22528
	v_cmp_gt_u32_e32 vcc, s3, v73
	s_mov_b64 s[12:13], 0
	s_mov_b64 s[6:7], 0
	v_mov_b64_e32 v[12:13], v[10:11]
	v_mov_b64_e32 v[14:15], v[10:11]
	;; [unrolled: 1-line block ×21, first 2 shown]
	s_waitcnt lgkmcnt(0)
	s_barrier
	s_waitcnt lgkmcnt(0)
                                        ; implicit-def: $sgpr10_sgpr11
                                        ; implicit-def: $vgpr3
	s_and_saveexec_b64 s[8:9], vcc
	s_cbranch_execz .LBB56_140
; %bb.97:
	ds_read_b32 v10, v1
	v_add_u32_e32 v2, 1, v73
	v_cmp_ne_u32_e32 vcc, v70, v68
	v_mov_b64_e32 v[12:13], 0
	s_mov_b64 s[4:5], 0
	v_cndmask_b32_e64 v11, 0, 1, vcc
	v_cmp_gt_u32_e32 vcc, s3, v2
	v_mov_b64_e32 v[14:15], v[12:13]
	v_mov_b64_e32 v[16:17], v[12:13]
	;; [unrolled: 1-line block ×20, first 2 shown]
                                        ; implicit-def: $sgpr14_sgpr15
                                        ; implicit-def: $vgpr3
	s_and_saveexec_b64 s[10:11], vcc
	s_cbranch_execz .LBB56_139
; %bb.98:
	ds_read2_b32 v[70:71], v1 offset0:1 offset1:2
	v_add_u32_e32 v2, 2, v73
	v_cmp_ne_u32_e32 vcc, v68, v69
	v_mov_b64_e32 v[14:15], 0
	s_mov_b64 s[16:17], 0
	v_cndmask_b32_e64 v13, 0, 1, vcc
	v_cmp_gt_u32_e32 vcc, s3, v2
	s_waitcnt lgkmcnt(0)
	v_mov_b32_e32 v12, v70
	v_mov_b64_e32 v[16:17], v[14:15]
	v_mov_b64_e32 v[18:19], v[14:15]
	;; [unrolled: 1-line block ×19, first 2 shown]
                                        ; implicit-def: $sgpr14_sgpr15
                                        ; implicit-def: $vgpr3
	s_and_saveexec_b64 s[12:13], vcc
	s_cbranch_execz .LBB56_138
; %bb.99:
	v_add_u32_e32 v2, 3, v73
	v_cmp_ne_u32_e32 vcc, v69, v66
	v_mov_b64_e32 v[16:17], 0
	v_mov_b32_e32 v14, v71
	v_cndmask_b32_e64 v15, 0, 1, vcc
	v_cmp_gt_u32_e32 vcc, s3, v2
	v_mov_b64_e32 v[18:19], v[16:17]
	v_mov_b64_e32 v[20:21], v[16:17]
	;; [unrolled: 1-line block ×18, first 2 shown]
                                        ; implicit-def: $sgpr18_sgpr19
                                        ; implicit-def: $vgpr3
	s_and_saveexec_b64 s[14:15], vcc
	s_cbranch_execz .LBB56_137
; %bb.100:
	ds_read2_b32 v[68:69], v1 offset0:3 offset1:4
	v_add_u32_e32 v2, 4, v73
	v_cmp_ne_u32_e32 vcc, v66, v67
	v_mov_b64_e32 v[18:19], 0
	s_mov_b64 s[20:21], 0
	v_cndmask_b32_e64 v17, 0, 1, vcc
	v_cmp_gt_u32_e32 vcc, s3, v2
	s_waitcnt lgkmcnt(0)
	v_mov_b32_e32 v16, v68
	v_mov_b64_e32 v[20:21], v[18:19]
	v_mov_b64_e32 v[22:23], v[18:19]
	;; [unrolled: 1-line block ×17, first 2 shown]
                                        ; implicit-def: $sgpr18_sgpr19
                                        ; implicit-def: $vgpr3
	s_and_saveexec_b64 s[16:17], vcc
	s_cbranch_execz .LBB56_136
; %bb.101:
	v_add_u32_e32 v2, 5, v73
	v_cmp_ne_u32_e32 vcc, v67, v64
	v_mov_b64_e32 v[20:21], 0
	v_mov_b32_e32 v18, v69
	v_cndmask_b32_e64 v19, 0, 1, vcc
	v_cmp_gt_u32_e32 vcc, s3, v2
	v_mov_b64_e32 v[22:23], v[20:21]
	v_mov_b64_e32 v[24:25], v[20:21]
	;; [unrolled: 1-line block ×16, first 2 shown]
                                        ; implicit-def: $sgpr22_sgpr23
                                        ; implicit-def: $vgpr3
	s_and_saveexec_b64 s[18:19], vcc
	s_cbranch_execz .LBB56_135
; %bb.102:
	ds_read2_b32 v[66:67], v1 offset0:5 offset1:6
	v_add_u32_e32 v2, 6, v73
	v_cmp_ne_u32_e32 vcc, v64, v65
	v_mov_b64_e32 v[22:23], 0
	s_mov_b64 s[24:25], 0
	v_cndmask_b32_e64 v21, 0, 1, vcc
	v_cmp_gt_u32_e32 vcc, s3, v2
	s_waitcnt lgkmcnt(0)
	v_mov_b32_e32 v20, v66
	v_mov_b64_e32 v[24:25], v[22:23]
	v_mov_b64_e32 v[26:27], v[22:23]
	v_mov_b64_e32 v[28:29], v[22:23]
	v_mov_b64_e32 v[30:31], v[22:23]
	v_mov_b64_e32 v[32:33], v[22:23]
	v_mov_b64_e32 v[34:35], v[22:23]
	v_mov_b64_e32 v[36:37], v[22:23]
	v_mov_b64_e32 v[38:39], v[22:23]
	v_mov_b64_e32 v[40:41], v[22:23]
	v_mov_b64_e32 v[42:43], v[22:23]
	v_mov_b64_e32 v[44:45], v[22:23]
	v_mov_b64_e32 v[46:47], v[22:23]
	v_mov_b64_e32 v[48:49], v[22:23]
	v_mov_b64_e32 v[50:51], v[22:23]
	v_mov_b64_e32 v[52:53], v[22:23]
                                        ; implicit-def: $sgpr22_sgpr23
                                        ; implicit-def: $vgpr3
	s_and_saveexec_b64 s[20:21], vcc
	s_cbranch_execz .LBB56_134
; %bb.103:
	v_add_u32_e32 v2, 7, v73
	v_cmp_ne_u32_e32 vcc, v65, v62
	v_mov_b64_e32 v[24:25], 0
	v_mov_b32_e32 v22, v67
	v_cndmask_b32_e64 v23, 0, 1, vcc
	v_cmp_gt_u32_e32 vcc, s3, v2
	v_mov_b64_e32 v[26:27], v[24:25]
	v_mov_b64_e32 v[28:29], v[24:25]
	;; [unrolled: 1-line block ×14, first 2 shown]
                                        ; implicit-def: $sgpr26_sgpr27
                                        ; implicit-def: $vgpr3
	s_and_saveexec_b64 s[22:23], vcc
	s_cbranch_execz .LBB56_133
; %bb.104:
	ds_read2_b32 v[64:65], v1 offset0:7 offset1:8
	v_add_u32_e32 v2, 8, v73
	v_cmp_ne_u32_e32 vcc, v62, v63
	v_mov_b64_e32 v[26:27], 0
	s_mov_b64 s[28:29], 0
	v_cndmask_b32_e64 v25, 0, 1, vcc
	v_cmp_gt_u32_e32 vcc, s3, v2
	s_waitcnt lgkmcnt(0)
	v_mov_b32_e32 v24, v64
	v_mov_b64_e32 v[28:29], v[26:27]
	v_mov_b64_e32 v[30:31], v[26:27]
	;; [unrolled: 1-line block ×13, first 2 shown]
                                        ; implicit-def: $sgpr26_sgpr27
                                        ; implicit-def: $vgpr3
	s_and_saveexec_b64 s[24:25], vcc
	s_cbranch_execz .LBB56_132
; %bb.105:
	v_add_u32_e32 v2, 9, v73
	v_cmp_ne_u32_e32 vcc, v63, v60
	v_mov_b64_e32 v[28:29], 0
	v_mov_b32_e32 v26, v65
	v_cndmask_b32_e64 v27, 0, 1, vcc
	v_cmp_gt_u32_e32 vcc, s3, v2
	v_mov_b64_e32 v[30:31], v[28:29]
	v_mov_b64_e32 v[32:33], v[28:29]
	;; [unrolled: 1-line block ×12, first 2 shown]
                                        ; implicit-def: $sgpr30_sgpr31
                                        ; implicit-def: $vgpr3
	s_and_saveexec_b64 s[26:27], vcc
	s_cbranch_execz .LBB56_131
; %bb.106:
	ds_read2_b32 v[62:63], v1 offset0:9 offset1:10
	v_add_u32_e32 v2, 10, v73
	v_cmp_ne_u32_e32 vcc, v60, v61
	v_mov_b64_e32 v[30:31], 0
	s_mov_b64 s[34:35], 0
	v_cndmask_b32_e64 v29, 0, 1, vcc
	v_cmp_gt_u32_e32 vcc, s3, v2
	s_waitcnt lgkmcnt(0)
	v_mov_b32_e32 v28, v62
	v_mov_b64_e32 v[32:33], v[30:31]
	v_mov_b64_e32 v[34:35], v[30:31]
	;; [unrolled: 1-line block ×11, first 2 shown]
                                        ; implicit-def: $sgpr30_sgpr31
                                        ; implicit-def: $vgpr3
	s_and_saveexec_b64 s[28:29], vcc
	s_cbranch_execz .LBB56_130
; %bb.107:
	v_add_u32_e32 v2, 11, v73
	v_cmp_ne_u32_e32 vcc, v61, v58
	v_mov_b64_e32 v[32:33], 0
	v_mov_b32_e32 v30, v63
	v_cndmask_b32_e64 v31, 0, 1, vcc
	v_cmp_gt_u32_e32 vcc, s3, v2
	v_mov_b64_e32 v[34:35], v[32:33]
	v_mov_b64_e32 v[36:37], v[32:33]
	v_mov_b64_e32 v[38:39], v[32:33]
	v_mov_b64_e32 v[40:41], v[32:33]
	v_mov_b64_e32 v[42:43], v[32:33]
	v_mov_b64_e32 v[44:45], v[32:33]
	v_mov_b64_e32 v[46:47], v[32:33]
	v_mov_b64_e32 v[48:49], v[32:33]
	v_mov_b64_e32 v[50:51], v[32:33]
	v_mov_b64_e32 v[52:53], v[32:33]
                                        ; implicit-def: $sgpr36_sgpr37
                                        ; implicit-def: $vgpr3
	s_and_saveexec_b64 s[30:31], vcc
	s_cbranch_execz .LBB56_129
; %bb.108:
	ds_read2_b32 v[60:61], v1 offset0:11 offset1:12
	v_add_u32_e32 v2, 12, v73
	v_cmp_ne_u32_e32 vcc, v58, v59
	v_mov_b64_e32 v[34:35], 0
	s_mov_b64 s[38:39], 0
	v_cndmask_b32_e64 v33, 0, 1, vcc
	v_cmp_gt_u32_e32 vcc, s3, v2
	s_waitcnt lgkmcnt(0)
	v_mov_b32_e32 v32, v60
	v_mov_b64_e32 v[36:37], v[34:35]
	v_mov_b64_e32 v[38:39], v[34:35]
	;; [unrolled: 1-line block ×9, first 2 shown]
                                        ; implicit-def: $sgpr36_sgpr37
                                        ; implicit-def: $vgpr3
	s_and_saveexec_b64 s[34:35], vcc
	s_cbranch_execz .LBB56_128
; %bb.109:
	v_add_u32_e32 v2, 13, v73
	v_cmp_ne_u32_e32 vcc, v59, v56
	v_mov_b64_e32 v[36:37], 0
	v_mov_b32_e32 v34, v61
	v_cndmask_b32_e64 v35, 0, 1, vcc
	v_cmp_gt_u32_e32 vcc, s3, v2
	v_mov_b64_e32 v[38:39], v[36:37]
	v_mov_b64_e32 v[40:41], v[36:37]
	;; [unrolled: 1-line block ×8, first 2 shown]
                                        ; implicit-def: $sgpr40_sgpr41
                                        ; implicit-def: $vgpr3
	s_and_saveexec_b64 s[36:37], vcc
	s_cbranch_execz .LBB56_127
; %bb.110:
	ds_read2_b32 v[58:59], v1 offset0:13 offset1:14
	v_add_u32_e32 v2, 14, v73
	v_cmp_ne_u32_e32 vcc, v56, v57
	v_mov_b64_e32 v[38:39], 0
	s_mov_b64 s[42:43], 0
	v_cndmask_b32_e64 v37, 0, 1, vcc
	v_cmp_gt_u32_e32 vcc, s3, v2
	s_waitcnt lgkmcnt(0)
	v_mov_b32_e32 v36, v58
	v_mov_b64_e32 v[40:41], v[38:39]
	v_mov_b64_e32 v[42:43], v[38:39]
	;; [unrolled: 1-line block ×7, first 2 shown]
                                        ; implicit-def: $sgpr40_sgpr41
                                        ; implicit-def: $vgpr3
	s_and_saveexec_b64 s[38:39], vcc
	s_cbranch_execz .LBB56_126
; %bb.111:
	v_add_u32_e32 v2, 15, v73
	v_cmp_ne_u32_e32 vcc, v57, v54
	v_mov_b64_e32 v[40:41], 0
	v_mov_b32_e32 v38, v59
	v_cndmask_b32_e64 v39, 0, 1, vcc
	v_cmp_gt_u32_e32 vcc, s3, v2
	v_mov_b64_e32 v[42:43], v[40:41]
	v_mov_b64_e32 v[44:45], v[40:41]
	v_mov_b64_e32 v[46:47], v[40:41]
	v_mov_b64_e32 v[48:49], v[40:41]
	v_mov_b64_e32 v[50:51], v[40:41]
	v_mov_b64_e32 v[52:53], v[40:41]
                                        ; implicit-def: $sgpr44_sgpr45
                                        ; implicit-def: $vgpr3
	s_and_saveexec_b64 s[40:41], vcc
	s_cbranch_execz .LBB56_125
; %bb.112:
	ds_read2_b32 v[56:57], v1 offset0:15 offset1:16
	v_add_u32_e32 v2, 16, v73
	v_cmp_ne_u32_e32 vcc, v54, v55
	v_mov_b64_e32 v[42:43], 0
	s_mov_b64 s[46:47], 0
	v_cndmask_b32_e64 v41, 0, 1, vcc
	v_cmp_gt_u32_e32 vcc, s3, v2
	s_waitcnt lgkmcnt(0)
	v_mov_b32_e32 v40, v56
	v_mov_b64_e32 v[44:45], v[42:43]
	v_mov_b64_e32 v[46:47], v[42:43]
	;; [unrolled: 1-line block ×5, first 2 shown]
                                        ; implicit-def: $sgpr44_sgpr45
                                        ; implicit-def: $vgpr3
	s_and_saveexec_b64 s[42:43], vcc
	s_cbranch_execz .LBB56_124
; %bb.113:
	v_add_u32_e32 v2, 17, v73
	v_cmp_ne_u32_e32 vcc, v55, v8
	v_mov_b64_e32 v[44:45], 0
	v_mov_b32_e32 v42, v57
	v_cndmask_b32_e64 v43, 0, 1, vcc
	v_cmp_gt_u32_e32 vcc, s3, v2
	v_mov_b64_e32 v[46:47], v[44:45]
	v_mov_b64_e32 v[48:49], v[44:45]
	;; [unrolled: 1-line block ×4, first 2 shown]
                                        ; implicit-def: $sgpr48_sgpr49
                                        ; implicit-def: $vgpr3
	s_and_saveexec_b64 s[44:45], vcc
	s_cbranch_execz .LBB56_123
; %bb.114:
	ds_read2_b32 v[54:55], v1 offset0:17 offset1:18
	v_add_u32_e32 v2, 18, v73
	v_cmp_ne_u32_e32 vcc, v8, v9
	v_mov_b64_e32 v[46:47], 0
	s_mov_b64 s[50:51], 0
	v_cndmask_b32_e64 v45, 0, 1, vcc
	v_cmp_gt_u32_e32 vcc, s3, v2
	s_waitcnt lgkmcnt(0)
	v_mov_b32_e32 v44, v54
	v_mov_b64_e32 v[48:49], v[46:47]
	v_mov_b64_e32 v[50:51], v[46:47]
	;; [unrolled: 1-line block ×3, first 2 shown]
                                        ; implicit-def: $sgpr48_sgpr49
                                        ; implicit-def: $vgpr3
	s_and_saveexec_b64 s[46:47], vcc
	s_cbranch_execz .LBB56_122
; %bb.115:
	v_add_u32_e32 v2, 19, v73
	v_cmp_ne_u32_e32 vcc, v9, v6
	v_mov_b64_e32 v[48:49], 0
	v_mov_b32_e32 v46, v55
	v_cndmask_b32_e64 v47, 0, 1, vcc
	v_cmp_gt_u32_e32 vcc, s3, v2
	v_mov_b64_e32 v[50:51], v[48:49]
	v_mov_b64_e32 v[52:53], v[48:49]
                                        ; implicit-def: $sgpr56_sgpr57
                                        ; implicit-def: $vgpr3
	s_and_saveexec_b64 s[48:49], vcc
	s_cbranch_execz .LBB56_121
; %bb.116:
	ds_read2_b32 v[8:9], v1 offset0:19 offset1:20
	v_add_u32_e32 v2, 20, v73
	v_cmp_ne_u32_e32 vcc, v6, v7
	v_mov_b64_e32 v[50:51], 0
	s_mov_b64 s[56:57], 0
	v_cndmask_b32_e64 v49, 0, 1, vcc
	v_cmp_gt_u32_e32 vcc, s3, v2
	s_waitcnt lgkmcnt(0)
	v_mov_b32_e32 v48, v8
	v_mov_b64_e32 v[52:53], v[50:51]
                                        ; implicit-def: $sgpr58_sgpr59
                                        ; implicit-def: $vgpr3
	s_and_saveexec_b64 s[50:51], vcc
	s_cbranch_execz .LBB56_120
; %bb.117:
	v_add_u32_e32 v2, 21, v73
	v_cmp_ne_u32_e32 vcc, v7, v4
	v_mov_b32_e32 v50, v9
	v_mov_b64_e32 v[52:53], 0
	v_cndmask_b32_e64 v51, 0, 1, vcc
	v_cmp_gt_u32_e32 vcc, s3, v2
                                        ; implicit-def: $sgpr58_sgpr59
                                        ; implicit-def: $vgpr3
	s_and_saveexec_b64 s[4:5], vcc
	s_xor_b64 s[60:61], exec, s[4:5]
	s_cbranch_execz .LBB56_119
; %bb.118:
	ds_read2_b32 v[2:3], v1 offset0:21 offset1:22
	v_add_u32_e32 v1, 22, v73
	v_cmp_ne_u32_e64 s[4:5], v4, v5
	v_cmp_ne_u32_e32 vcc, v5, v72
	s_and_b64 s[58:59], vcc, exec
	v_cndmask_b32_e64 v53, 0, 1, s[4:5]
	v_cmp_gt_u32_e64 s[4:5], s3, v1
	s_waitcnt lgkmcnt(0)
	v_mov_b32_e32 v52, v2
	s_and_b64 s[56:57], s[4:5], exec
.LBB56_119:
	s_or_b64 exec, exec, s[60:61]
	s_and_b64 s[58:59], s[58:59], exec
	s_and_b64 s[4:5], s[56:57], exec
.LBB56_120:
	s_or_b64 exec, exec, s[50:51]
	s_and_b64 s[56:57], s[58:59], exec
	s_and_b64 s[50:51], s[4:5], exec
.LBB56_121:
	s_or_b64 exec, exec, s[48:49]
	s_and_b64 s[48:49], s[56:57], exec
	s_and_b64 s[4:5], s[50:51], exec
.LBB56_122:
	s_or_b64 exec, exec, s[46:47]
	s_and_b64 s[48:49], s[48:49], exec
	s_and_b64 s[46:47], s[4:5], exec
.LBB56_123:
	s_or_b64 exec, exec, s[44:45]
	s_and_b64 s[44:45], s[48:49], exec
	s_and_b64 s[4:5], s[46:47], exec
.LBB56_124:
	s_or_b64 exec, exec, s[42:43]
	s_and_b64 s[44:45], s[44:45], exec
	s_and_b64 s[42:43], s[4:5], exec
.LBB56_125:
	s_or_b64 exec, exec, s[40:41]
	s_and_b64 s[40:41], s[44:45], exec
	s_and_b64 s[4:5], s[42:43], exec
.LBB56_126:
	s_or_b64 exec, exec, s[38:39]
	s_and_b64 s[40:41], s[40:41], exec
	s_and_b64 s[38:39], s[4:5], exec
.LBB56_127:
	s_or_b64 exec, exec, s[36:37]
	s_and_b64 s[36:37], s[40:41], exec
	s_and_b64 s[4:5], s[38:39], exec
.LBB56_128:
	s_or_b64 exec, exec, s[34:35]
	s_and_b64 s[36:37], s[36:37], exec
	s_and_b64 s[34:35], s[4:5], exec
.LBB56_129:
	s_or_b64 exec, exec, s[30:31]
	s_and_b64 s[30:31], s[36:37], exec
	s_and_b64 s[4:5], s[34:35], exec
.LBB56_130:
	s_or_b64 exec, exec, s[28:29]
	s_and_b64 s[30:31], s[30:31], exec
	s_and_b64 s[28:29], s[4:5], exec
.LBB56_131:
	s_or_b64 exec, exec, s[26:27]
	s_and_b64 s[26:27], s[30:31], exec
	s_and_b64 s[4:5], s[28:29], exec
.LBB56_132:
	s_or_b64 exec, exec, s[24:25]
	s_and_b64 s[26:27], s[26:27], exec
	s_and_b64 s[24:25], s[4:5], exec
.LBB56_133:
	s_or_b64 exec, exec, s[22:23]
	s_and_b64 s[22:23], s[26:27], exec
	s_and_b64 s[4:5], s[24:25], exec
.LBB56_134:
	s_or_b64 exec, exec, s[20:21]
	s_and_b64 s[22:23], s[22:23], exec
	s_and_b64 s[20:21], s[4:5], exec
.LBB56_135:
	s_or_b64 exec, exec, s[18:19]
	s_and_b64 s[18:19], s[22:23], exec
	s_and_b64 s[4:5], s[20:21], exec
.LBB56_136:
	s_or_b64 exec, exec, s[16:17]
	s_and_b64 s[18:19], s[18:19], exec
	s_and_b64 s[16:17], s[4:5], exec
.LBB56_137:
	s_or_b64 exec, exec, s[14:15]
	s_and_b64 s[14:15], s[18:19], exec
	s_and_b64 s[4:5], s[16:17], exec
.LBB56_138:
	s_or_b64 exec, exec, s[12:13]
	s_and_b64 s[14:15], s[14:15], exec
	s_and_b64 s[12:13], s[4:5], exec
.LBB56_139:
	s_or_b64 exec, exec, s[10:11]
	s_and_b64 s[10:11], s[14:15], exec
	s_and_b64 s[12:13], s[12:13], exec
.LBB56_140:
	s_or_b64 exec, exec, s[8:9]
	s_mov_b64 s[8:9], 0
	s_and_b64 vcc, exec, s[6:7]
	v_cmp_ne_u32_e64 s[4:5], 0, v0
	s_cbranch_vccz .LBB56_144
.LBB56_141:
	v_mov_b32_e32 v3, 0
	v_lshlrev_b32_e32 v2, 2, v0
	v_lshl_add_u64 v[4:5], s[54:55], 0, v[2:3]
	v_add_co_u32_e32 v6, vcc, 0x1000, v4
	s_waitcnt lgkmcnt(0)
	global_load_dword v10, v2, s[54:55]
	global_load_dword v11, v2, s[54:55] offset:1024
	global_load_dword v12, v2, s[54:55] offset:2048
	;; [unrolled: 1-line block ×3, first 2 shown]
	v_addc_co_u32_e32 v7, vcc, 0, v5, vcc
	v_add_co_u32_e32 v8, vcc, 0x2000, v4
	s_movk_i32 s7, 0x58
	s_nop 0
	v_addc_co_u32_e32 v9, vcc, 0, v5, vcc
	global_load_dword v14, v[6:7], off
	global_load_dword v15, v[6:7], off offset:1024
	global_load_dword v16, v[6:7], off offset:2048
	;; [unrolled: 1-line block ×3, first 2 shown]
	global_load_dword v18, v[8:9], off
	global_load_dword v19, v[8:9], off offset:1024
	global_load_dword v20, v[8:9], off offset:2048
	;; [unrolled: 1-line block ×3, first 2 shown]
	v_add_co_u32_e32 v6, vcc, 0x3000, v4
	s_sub_u32 s6, 0, s2
	s_nop 0
	v_addc_co_u32_e32 v7, vcc, 0, v5, vcc
	v_add_co_u32_e32 v8, vcc, 0x4000, v4
	v_mad_u32_u24 v1, v0, s7, v2
	s_nop 0
	v_addc_co_u32_e32 v9, vcc, 0, v5, vcc
	v_add_co_u32_e32 v4, vcc, 0x5000, v4
	global_load_dword v22, v[6:7], off
	global_load_dword v23, v[6:7], off offset:1024
	global_load_dword v24, v[6:7], off offset:2048
	;; [unrolled: 1-line block ×3, first 2 shown]
	global_load_dword v26, v[8:9], off
	global_load_dword v27, v[8:9], off offset:1024
	global_load_dword v28, v[8:9], off offset:2048
	global_load_dword v29, v[8:9], off offset:3072
	v_addc_co_u32_e32 v5, vcc, 0, v5, vcc
	global_load_dword v6, v[4:5], off
	global_load_dword v7, v[4:5], off offset:1024
	global_load_dword v8, v[4:5], off offset:2048
	s_subb_u32 s7, 0, 0
	s_cmp_eq_u64 s[6:7], s[72:73]
	s_cselect_b32 s6, 0, -4
	s_cselect_b32 s7, 0, -1
	s_add_u32 s6, s54, s6
	s_addc_u32 s7, s55, s7
	s_movk_i32 s11, 0x1000
	s_movk_i32 s10, 0x2000
	;; [unrolled: 1-line block ×5, first 2 shown]
	s_waitcnt vmcnt(21)
	ds_write2st64_b32 v2, v10, v11 offset1:4
	s_waitcnt vmcnt(19)
	ds_write2st64_b32 v2, v12, v13 offset0:8 offset1:12
	s_waitcnt vmcnt(17)
	ds_write2st64_b32 v2, v14, v15 offset0:16 offset1:20
	;; [unrolled: 2-line block ×10, first 2 shown]
	s_waitcnt vmcnt(0)
	ds_write_b32 v2, v8 offset:22528
	s_waitcnt lgkmcnt(0)
	s_barrier
	ds_read2_b32 v[14:15], v1 offset1:1
	ds_read2_b32 v[18:19], v1 offset0:2 offset1:3
	ds_read2_b32 v[22:23], v1 offset0:4 offset1:5
	;; [unrolled: 1-line block ×10, first 2 shown]
	ds_read_b32 v10, v1 offset:88
	s_load_dword s6, s[6:7], 0x0
	s_movk_i32 s7, 0xffa8
	v_mad_i32_i24 v11, v0, s7, v1
	s_waitcnt lgkmcnt(0)
	ds_write_b32 v11, v10 offset:23552
	v_mov_b32_e32 v11, s6
	s_waitcnt lgkmcnt(0)
	s_barrier
	s_and_saveexec_b64 s[6:7], s[4:5]
	s_cbranch_execz .LBB56_143
; %bb.142:
	v_mul_i32_i24_e32 v11, 0xffffffa8, v0
	v_add_u32_e32 v11, v1, v11
	ds_read_b32 v11, v11 offset:23548
.LBB56_143:
	s_or_b64 exec, exec, s[6:7]
	v_lshl_add_u64 v[12:13], s[52:53], 0, v[2:3]
	v_add_co_u32_e32 v16, vcc, s11, v12
	s_waitcnt lgkmcnt(0)
	s_nop 0
	v_addc_co_u32_e32 v17, vcc, 0, v13, vcc
	v_add_co_u32_e32 v20, vcc, s10, v12
	s_barrier
	s_nop 0
	v_addc_co_u32_e32 v21, vcc, 0, v13, vcc
	v_add_co_u32_e32 v24, vcc, s9, v12
	s_nop 1
	v_addc_co_u32_e32 v25, vcc, 0, v13, vcc
	v_add_co_u32_e32 v28, vcc, s8, v12
	global_load_dword v3, v2, s[52:53]
	global_load_dword v32, v2, s[52:53] offset:1024
	global_load_dword v33, v2, s[52:53] offset:2048
	;; [unrolled: 1-line block ×3, first 2 shown]
	global_load_dword v37, v[20:21], off offset:-4096
	global_load_dword v40, v[20:21], off
	global_load_dword v41, v[20:21], off offset:1024
	v_addc_co_u32_e32 v29, vcc, 0, v13, vcc
	v_add_co_u32_e32 v12, vcc, s3, v12
	global_load_dword v44, v[16:17], off offset:1024
	global_load_dword v45, v[16:17], off offset:2048
	;; [unrolled: 1-line block ×8, first 2 shown]
	global_load_dword v52, v[28:29], off offset:-4096
	global_load_dword v53, v[28:29], off
	global_load_dword v54, v[28:29], off offset:1024
	global_load_dword v55, v[28:29], off offset:2048
	;; [unrolled: 1-line block ×3, first 2 shown]
	v_addc_co_u32_e32 v13, vcc, 0, v13, vcc
	global_load_dword v16, v[12:13], off
	global_load_dword v20, v[12:13], off offset:1024
	global_load_dword v21, v[12:13], off offset:2048
	v_cmp_ne_u32_e32 vcc, v11, v14
	v_cmp_ne_u32_e64 s[10:11], v5, v10
	s_mov_b64 s[12:13], -1
	v_cndmask_b32_e64 v11, 0, 1, vcc
	v_cmp_ne_u32_e32 vcc, v14, v15
                                        ; implicit-def: $sgpr8_sgpr9
	s_waitcnt vmcnt(21)
	ds_write2st64_b32 v2, v3, v32 offset1:4
	s_waitcnt vmcnt(19)
	ds_write2st64_b32 v2, v33, v36 offset0:8 offset1:12
	s_waitcnt vmcnt(15)
	ds_write2st64_b32 v2, v37, v44 offset0:16 offset1:20
	;; [unrolled: 2-line block ×3, first 2 shown]
	ds_write2st64_b32 v2, v40, v41 offset0:32 offset1:36
	s_waitcnt vmcnt(8)
	ds_write2st64_b32 v2, v50, v51 offset0:40 offset1:44
	s_waitcnt vmcnt(7)
	ds_write2st64_b32 v2, v52, v47 offset0:48 offset1:52
	ds_write2st64_b32 v2, v48, v49 offset0:56 offset1:60
	s_waitcnt vmcnt(5)
	ds_write2st64_b32 v2, v53, v54 offset0:64 offset1:68
	s_waitcnt vmcnt(3)
	;; [unrolled: 2-line block ×4, first 2 shown]
	ds_write_b32 v2, v21 offset:22528
	v_cndmask_b32_e64 v13, 0, 1, vcc
	v_cmp_ne_u32_e32 vcc, v15, v18
	s_waitcnt lgkmcnt(0)
	s_barrier
	v_cndmask_b32_e64 v15, 0, 1, vcc
	v_cmp_ne_u32_e32 vcc, v18, v19
	ds_read2_b32 v[20:21], v1 offset1:1
	ds_read2_b32 v[24:25], v1 offset0:2 offset1:3
	ds_read2_b32 v[28:29], v1 offset0:4 offset1:5
	;; [unrolled: 1-line block ×10, first 2 shown]
	ds_read_b32 v3, v1 offset:88
	v_cndmask_b32_e64 v17, 0, 1, vcc
	v_cmp_ne_u32_e32 vcc, v19, v22
	s_waitcnt lgkmcnt(11)
	v_mov_b32_e32 v12, v21
	s_waitcnt lgkmcnt(10)
	v_mov_b32_e32 v16, v25
	v_cndmask_b32_e64 v19, 0, 1, vcc
	v_cmp_ne_u32_e32 vcc, v22, v23
	v_mov_b32_e32 v10, v20
	s_waitcnt lgkmcnt(9)
	v_mov_b32_e32 v20, v29
	v_cndmask_b32_e64 v21, 0, 1, vcc
	v_cmp_ne_u32_e32 vcc, v23, v26
	;; [unrolled: 5-line block ×8, first 2 shown]
	s_waitcnt lgkmcnt(1)
	v_mov_b32_e32 v52, v55
	v_cndmask_b32_e64 v35, 0, 1, vcc
	v_cmp_ne_u32_e32 vcc, v38, v39
	v_mov_b32_e32 v38, v46
	v_mov_b32_e32 v46, v50
	v_cndmask_b32_e64 v37, 0, 1, vcc
	v_cmp_ne_u32_e32 vcc, v39, v42
	v_mov_b32_e32 v50, v54
	s_nop 0
	v_cndmask_b32_e64 v39, 0, 1, vcc
	v_cmp_ne_u32_e32 vcc, v42, v43
	v_mov_b32_e32 v42, v48
	v_mov_b32_e32 v48, v51
	v_cndmask_b32_e64 v41, 0, 1, vcc
	v_cmp_ne_u32_e32 vcc, v43, v8
	s_nop 1
	v_cndmask_b32_e64 v43, 0, 1, vcc
	v_cmp_ne_u32_e32 vcc, v8, v9
	s_nop 1
	;; [unrolled: 3-line block ×6, first 2 shown]
	v_cndmask_b32_e64 v53, 0, 1, vcc
.LBB56_144:
	v_mov_b64_e32 v[54:55], s[8:9]
	s_and_saveexec_b64 s[4:5], s[12:13]
	s_cbranch_execz .LBB56_146
; %bb.145:
	v_cndmask_b32_e64 v55, 0, 1, s[10:11]
	s_waitcnt lgkmcnt(0)
	v_mov_b32_e32 v54, v3
.LBB56_146:
	s_or_b64 exec, exec, s[4:5]
	s_mov_b32 s48, 0
	s_cmp_lg_u32 s2, 0
	v_or_b32_e32 v72, v55, v53
	v_lshrrev_b32_e32 v1, 5, v0
	v_cmp_gt_u32_e32 vcc, 64, v0
	s_waitcnt lgkmcnt(0)
	s_barrier
	s_cbranch_scc0 .LBB56_181
; %bb.147:
	s_mov_b32 s49, 1
	v_cmp_gt_u64_e64 s[4:5], s[48:49], v[12:13]
	v_cmp_gt_u64_e64 s[6:7], s[48:49], v[14:15]
	v_cmp_gt_u64_e64 s[8:9], s[48:49], v[16:17]
	v_cndmask_b32_e64 v2, 0, v10, s[4:5]
	v_add_u32_e32 v2, v2, v12
	v_cndmask_b32_e64 v2, 0, v2, s[6:7]
	v_add_u32_e32 v2, v2, v14
	v_cndmask_b32_e64 v2, 0, v2, s[8:9]
	v_add_u32_e32 v2, v2, v16
	v_cmp_gt_u64_e64 s[10:11], s[48:49], v[18:19]
	v_cmp_gt_u64_e64 s[12:13], s[48:49], v[20:21]
	v_cmp_gt_u64_e64 s[14:15], s[48:49], v[22:23]
	v_cndmask_b32_e64 v2, 0, v2, s[10:11]
	v_add_u32_e32 v2, v2, v18
	v_cndmask_b32_e64 v2, 0, v2, s[12:13]
	v_add_u32_e32 v2, v2, v20
	v_cndmask_b32_e64 v2, 0, v2, s[14:15]
	v_add_u32_e32 v2, v2, v22
	;; [unrolled: 9-line block ×7, first 2 shown]
	v_cmp_gt_u64_e64 s[48:49], s[48:49], v[54:55]
	s_nop 1
	v_cndmask_b32_e64 v2, 0, v2, s[48:49]
	v_add_u32_e32 v60, v2, v54
	v_or3_b32 v2, v72, v51, v49
	v_or3_b32 v2, v2, v47, v45
	;; [unrolled: 1-line block ×10, first 2 shown]
	v_and_b32_e32 v2, 1, v2
	v_cmp_eq_u32_e64 s[50:51], 1, v2
	v_add_lshl_u32 v2, v1, v0, 3
	s_nop 0
	v_cndmask_b32_e64 v61, v11, 1, s[50:51]
	ds_write_b32 v2, v60
	ds_write_b8 v2, v61 offset:4
	s_waitcnt lgkmcnt(0)
	s_barrier
	s_and_saveexec_b64 s[72:73], vcc
	s_cbranch_execz .LBB56_159
; %bb.148:
	v_lshlrev_b32_e32 v2, 2, v0
	v_lshrrev_b32_e32 v3, 3, v0
	v_add_lshl_u32 v6, v3, v2, 3
	ds_read2_b32 v[2:3], v6 offset0:2 offset1:4
	ds_read_b64 v[4:5], v6
	ds_read_u8 v9, v6 offset:12
	ds_read_u8 v56, v6 offset:20
	ds_read_b32 v7, v6 offset:24
	ds_read_u8 v57, v6 offset:28
	s_waitcnt lgkmcnt(4)
	v_and_b32_e32 v8, 1, v5
	s_waitcnt lgkmcnt(3)
	v_cmp_eq_u16_e64 s[50:51], 0, v9
	v_and_b32_e32 v9, 1, v9
	s_waitcnt lgkmcnt(2)
	v_cmp_eq_u16_e64 s[52:53], 0, v56
	v_cndmask_b32_e64 v58, 0, v4, s[50:51]
	v_add_u32_e32 v58, v58, v2
	v_cmp_eq_u32_e64 s[56:57], 1, v9
	v_cndmask_b32_e64 v9, 0, v58, s[52:53]
	v_add_u32_e32 v9, v9, v3
	s_waitcnt lgkmcnt(0)
	v_cmp_eq_u16_e64 s[54:55], 0, v57
	v_and_b32_e32 v56, 1, v56
	v_cmp_eq_u32_e64 s[58:59], 1, v56
	v_cndmask_b32_e64 v9, 0, v9, s[54:55]
	v_add_u32_e32 v56, v9, v7
	v_and_b32_e32 v9, 1, v57
	v_cmp_eq_u32_e64 s[60:61], 1, v9
	s_or_b64 s[62:63], s[60:61], s[58:59]
	s_or_b64 s[62:63], s[62:63], s[56:57]
	v_mbcnt_lo_u32_b32 v57, -1, 0
	v_cndmask_b32_e64 v58, v8, 1, s[62:63]
	v_and_b32_e32 v9, 0xffffff00, v5
	v_mbcnt_hi_u32_b32 v57, -1, v57
	v_and_b32_e32 v63, 15, v57
	v_or_b32_sdwa v59, v9, v58 dst_sel:DWORD dst_unused:UNUSED_PAD src0_sel:DWORD src1_sel:WORD_0
	v_mov_b32_dpp v62, v56 row_shr:1 row_mask:0xf bank_mask:0xf
	v_cmp_ne_u32_e64 s[62:63], 0, v63
	v_mov_b32_dpp v64, v59 row_shr:1 row_mask:0xf bank_mask:0xf
	s_and_saveexec_b64 s[74:75], s[62:63]
; %bb.149:
	v_and_b32_e32 v59, 1, v58
	v_and_b32_e32 v64, 1, v64
	v_cmp_eq_u32_e64 s[62:63], 1, v59
	s_nop 1
	v_cndmask_b32_e64 v64, v64, 1, s[62:63]
	v_cmp_eq_u16_e64 s[62:63], 0, v58
	v_or_b32_sdwa v59, v9, v64 dst_sel:DWORD dst_unused:UNUSED_PAD src0_sel:DWORD src1_sel:WORD_0
	s_nop 0
	v_cndmask_b32_e64 v58, 0, v62, s[62:63]
	v_add_u32_e32 v56, v58, v56
	v_mov_b32_e32 v58, v64
; %bb.150:
	s_or_b64 exec, exec, s[74:75]
	v_mov_b32_dpp v64, v56 row_shr:2 row_mask:0xf bank_mask:0xf
	v_mov_b32_dpp v65, v59 row_shr:2 row_mask:0xf bank_mask:0xf
	v_cmp_lt_u32_e64 s[62:63], 1, v63
	v_mov_b32_e32 v62, v59
	s_and_saveexec_b64 s[74:75], s[62:63]
; %bb.151:
	v_and_b32_e32 v58, 1, v59
	v_and_b32_e32 v62, 1, v65
	v_cmp_eq_u32_e64 s[62:63], 1, v58
	s_nop 1
	v_cndmask_b32_e64 v58, v62, 1, s[62:63]
	v_mov_b32_e32 v62, 0
	v_cmp_eq_u16_sdwa s[62:63], v59, v62 src0_sel:BYTE_0 src1_sel:DWORD
	v_mov_b32_e32 v62, v58
	s_nop 0
	v_cndmask_b32_e64 v59, 0, v64, s[62:63]
	v_add_u32_e32 v56, v59, v56
	v_or_b32_sdwa v59, v9, v58 dst_sel:DWORD dst_unused:UNUSED_PAD src0_sel:DWORD src1_sel:WORD_0
; %bb.152:
	s_or_b64 exec, exec, s[74:75]
	v_mov_b32_dpp v64, v56 row_shr:4 row_mask:0xf bank_mask:0xf
	v_mov_b32_dpp v65, v59 row_shr:4 row_mask:0xf bank_mask:0xf
	v_cmp_lt_u32_e64 s[62:63], 3, v63
	s_and_saveexec_b64 s[74:75], s[62:63]
; %bb.153:
	v_and_b32_e32 v58, 1, v62
	v_and_b32_e32 v59, 1, v65
	v_cmp_eq_u32_e64 s[62:63], 1, v58
	s_nop 1
	v_cndmask_b32_e64 v58, v59, 1, s[62:63]
	v_mov_b32_e32 v59, 0
	v_cmp_eq_u16_sdwa s[62:63], v62, v59 src0_sel:BYTE_0 src1_sel:DWORD
	v_mov_b32_e32 v62, v58
	s_nop 0
	v_cndmask_b32_e64 v59, 0, v64, s[62:63]
	v_add_u32_e32 v56, v59, v56
	v_or_b32_sdwa v59, v9, v58 dst_sel:DWORD dst_unused:UNUSED_PAD src0_sel:DWORD src1_sel:WORD_0
; %bb.154:
	s_or_b64 exec, exec, s[74:75]
	v_mov_b32_dpp v64, v56 row_shr:8 row_mask:0xf bank_mask:0xf
	v_mov_b32_dpp v65, v59 row_shr:8 row_mask:0xf bank_mask:0xf
	v_cmp_lt_u32_e64 s[62:63], 7, v63
	s_and_saveexec_b64 s[74:75], s[62:63]
; %bb.155:
	v_and_b32_e32 v58, 1, v62
	v_and_b32_e32 v59, 1, v65
	v_cmp_eq_u32_e64 s[62:63], 1, v58
	s_nop 1
	v_cndmask_b32_e64 v58, v59, 1, s[62:63]
	v_mov_b32_e32 v59, 0
	v_cmp_eq_u16_sdwa s[62:63], v62, v59 src0_sel:BYTE_0 src1_sel:DWORD
	v_mov_b32_e32 v62, v58
	s_nop 0
	v_cndmask_b32_e64 v59, 0, v64, s[62:63]
	v_add_u32_e32 v56, v59, v56
	v_or_b32_sdwa v59, v9, v58 dst_sel:DWORD dst_unused:UNUSED_PAD src0_sel:DWORD src1_sel:WORD_0
; %bb.156:
	s_or_b64 exec, exec, s[74:75]
	v_and_b32_e32 v65, 16, v57
	v_mov_b32_dpp v63, v56 row_bcast:15 row_mask:0xf bank_mask:0xf
	v_mov_b32_dpp v64, v59 row_bcast:15 row_mask:0xf bank_mask:0xf
	v_cmp_ne_u32_e64 s[62:63], 0, v65
	s_and_saveexec_b64 s[74:75], s[62:63]
; %bb.157:
	v_and_b32_e32 v58, 1, v62
	v_and_b32_e32 v59, 1, v64
	v_cmp_eq_u32_e64 s[62:63], 1, v58
	s_nop 1
	v_cndmask_b32_e64 v58, v59, 1, s[62:63]
	v_mov_b32_e32 v59, 0
	v_cmp_eq_u16_sdwa s[62:63], v62, v59 src0_sel:BYTE_0 src1_sel:DWORD
	v_mov_b32_e32 v62, v58
	s_nop 0
	v_cndmask_b32_e64 v59, 0, v63, s[62:63]
	v_add_u32_e32 v56, v59, v56
	v_or_b32_sdwa v59, v9, v58 dst_sel:DWORD dst_unused:UNUSED_PAD src0_sel:DWORD src1_sel:WORD_0
; %bb.158:
	s_or_b64 exec, exec, s[74:75]
	s_nop 0
	v_mov_b32_dpp v59, v59 row_bcast:31 row_mask:0xf bank_mask:0xf
	v_and_b32_e32 v64, 1, v62
	v_and_b32_e32 v59, 1, v59
	v_cmp_eq_u32_e64 s[62:63], 1, v64
	v_mov_b32_e32 v64, 0
	v_cmp_eq_u16_sdwa s[74:75], v62, v64 src0_sel:BYTE_0 src1_sel:DWORD
	v_cndmask_b32_e64 v59, v59, 1, s[62:63]
	v_cmp_lt_u32_e64 s[62:63], 31, v57
	v_mov_b32_dpp v63, v56 row_bcast:31 row_mask:0xf bank_mask:0xf
	v_and_b32_e32 v62, 64, v57
	v_cndmask_b32_e64 v58, v58, v59, s[62:63]
	s_and_b64 s[62:63], s[62:63], s[74:75]
	v_cndmask_b32_e64 v59, 0, v63, s[62:63]
	v_add_u32_e32 v56, v59, v56
	v_add_u32_e32 v59, -1, v57
	v_cmp_lt_i32_e64 s[62:63], v59, v62
	v_or_b32_sdwa v9, v9, v58 dst_sel:DWORD dst_unused:UNUSED_PAD src0_sel:DWORD src1_sel:WORD_0
	s_nop 0
	v_cndmask_b32_e64 v57, v59, v57, s[62:63]
	v_lshlrev_b32_e32 v57, 2, v57
	ds_bpermute_b32 v56, v57, v56
	ds_bpermute_b32 v9, v57, v9
	v_cmp_eq_u16_sdwa s[62:63], v5, v64 src0_sel:BYTE_0 src1_sel:DWORD
	s_waitcnt lgkmcnt(1)
	s_nop 0
	v_cndmask_b32_e64 v5, 0, v56, s[62:63]
	v_add_u32_e32 v4, v5, v4
	s_waitcnt lgkmcnt(0)
	v_and_b32_e32 v5, 1, v9
	v_cmp_eq_u32_e64 s[62:63], 1, v8
	s_nop 1
	v_cndmask_b32_e64 v5, v5, 1, s[62:63]
	v_cmp_eq_u32_e64 s[62:63], 0, v0
	s_nop 1
	v_cndmask_b32_e64 v4, v4, v60, s[62:63]
	v_cndmask_b32_e64 v8, 0, v4, s[50:51]
	;; [unrolled: 1-line block ×3, first 2 shown]
	v_add_u32_e32 v2, v8, v2
	ds_write_b8 v6, v5 offset:4
	v_cndmask_b32_e64 v5, v5, 1, s[56:57]
	ds_write2_b32 v6, v4, v2 offset1:2
	ds_write_b8 v6, v5 offset:12
	v_cndmask_b32_e64 v2, 0, v2, s[52:53]
	v_add_u32_e32 v2, v2, v3
	v_cndmask_b32_e64 v4, 0, v2, s[54:55]
	v_cndmask_b32_e64 v3, v5, 1, s[58:59]
	v_add_u32_e32 v4, v4, v7
	ds_write_b8 v6, v3 offset:20
	v_cndmask_b32_e64 v3, v3, 1, s[60:61]
	ds_write2_b32 v6, v2, v4 offset0:4 offset1:6
	ds_write_b8 v6, v3 offset:28
.LBB56_159:
	s_or_b64 exec, exec, s[72:73]
	v_cmp_eq_u32_e64 s[50:51], 0, v0
	v_cmp_ne_u32_e64 s[52:53], 0, v0
	s_waitcnt lgkmcnt(0)
	s_barrier
	s_and_saveexec_b64 s[54:55], s[52:53]
	s_cbranch_execz .LBB56_161
; %bb.160:
	v_add_u32_e32 v2, -1, v0
	v_lshrrev_b32_e32 v3, 5, v2
	v_add_lshl_u32 v2, v3, v2, 3
	ds_read_b32 v60, v2
	ds_read_u8 v61, v2 offset:4
.LBB56_161:
	s_or_b64 exec, exec, s[54:55]
	s_and_saveexec_b64 s[56:57], vcc
	s_cbranch_execz .LBB56_180
; %bb.162:
	v_mov_b32_e32 v5, 0
	ds_read_b64 v[2:3], v5 offset:2096
	v_mbcnt_lo_u32_b32 v4, -1, 0
	v_mbcnt_hi_u32_b32 v71, -1, v4
	s_mov_b32 s59, 0
	v_cmp_eq_u32_e64 s[52:53], 0, v71
	s_waitcnt lgkmcnt(0)
	v_readfirstlane_b32 s3, v3
	s_and_saveexec_b64 s[54:55], s[52:53]
	s_cbranch_execz .LBB56_164
; %bb.163:
	s_add_i32 s58, s2, 64
	s_lshl_b64 s[60:61], s[58:59], 4
	s_add_u32 s60, s68, s60
	s_addc_u32 s61, s69, s61
	s_and_b32 s63, s3, 0xff000000
	s_mov_b32 s62, s59
	s_and_b32 s73, s3, 0xff0000
	s_mov_b32 s72, s59
	s_or_b64 s[62:63], s[72:73], s[62:63]
	s_and_b32 s73, s3, 0xff00
	s_or_b64 s[62:63], s[62:63], s[72:73]
	s_and_b32 s73, s3, 0xff
	s_or_b64 s[58:59], s[62:63], s[72:73]
	v_mov_b32_e32 v3, s59
	v_mov_b32_e32 v4, 1
	v_mov_b64_e32 v[6:7], s[60:61]
	;;#ASMSTART
	global_store_dwordx4 v[6:7], v[2:5] off sc1	
s_waitcnt vmcnt(0)
	;;#ASMEND
.LBB56_164:
	s_or_b64 exec, exec, s[54:55]
	v_xad_u32 v56, v71, -1, s2
	v_add_u32_e32 v4, 64, v56
	v_lshl_add_u64 v[58:59], v[4:5], 4, s[68:69]
	;;#ASMSTART
	global_load_dwordx4 v[6:9], v[58:59] off sc1	
s_waitcnt vmcnt(0)
	;;#ASMEND
	s_nop 0
	v_cmp_eq_u16_sdwa s[58:59], v8, v5 src0_sel:BYTE_0 src1_sel:DWORD
	s_and_saveexec_b64 s[54:55], s[58:59]
	s_cbranch_execz .LBB56_168
; %bb.165:
	s_mov_b64 s[58:59], 0
	v_mov_b32_e32 v3, 0
.LBB56_166:                             ; =>This Inner Loop Header: Depth=1
	;;#ASMSTART
	global_load_dwordx4 v[6:9], v[58:59] off sc1	
s_waitcnt vmcnt(0)
	;;#ASMEND
	s_nop 0
	v_cmp_ne_u16_sdwa s[60:61], v8, v3 src0_sel:BYTE_0 src1_sel:DWORD
	s_or_b64 s[58:59], s[60:61], s[58:59]
	s_andn2_b64 exec, exec, s[58:59]
	s_cbranch_execnz .LBB56_166
; %bb.167:
	s_or_b64 exec, exec, s[58:59]
.LBB56_168:
	s_or_b64 exec, exec, s[54:55]
	v_mov_b32_e32 v3, 2
	v_cmp_eq_u16_sdwa s[54:55], v8, v3 src0_sel:BYTE_0 src1_sel:DWORD
	v_lshlrev_b64 v[4:5], v71, -1
	v_and_b32_e32 v74, 63, v71
	v_and_b32_e32 v9, s55, v5
	v_or_b32_e32 v9, 0x80000000, v9
	v_and_b32_e32 v57, s54, v4
	v_ffbl_b32_e32 v9, v9
	v_add_u32_e32 v9, 32, v9
	v_ffbl_b32_e32 v57, v57
	v_cmp_ne_u32_e32 vcc, 63, v74
	v_min_u32_e32 v9, v57, v9
	v_and_b32_e32 v59, 0xff, v7
	v_addc_co_u32_e32 v57, vcc, 0, v71, vcc
	v_lshlrev_b32_e32 v62, 2, v57
	ds_bpermute_b32 v57, v62, v59
	ds_bpermute_b32 v64, v62, v6
	s_mov_b32 s58, 0
	v_and_b32_e32 v7, 1, v7
	v_mov_b32_e32 v58, v6
	s_mov_b32 s59, 1
	s_waitcnt lgkmcnt(1)
	v_and_b32_e32 v57, 1, v57
	v_cmp_eq_u32_e32 vcc, 1, v7
	v_add_u32_e32 v63, 1, v71
	v_add_u32_e32 v65, 2, v71
	v_cndmask_b32_e64 v7, v57, 1, vcc
	v_cmp_gt_u64_e32 vcc, s[58:59], v[58:59]
	v_and_b32_e32 v57, 0xffff, v7
	v_add_u32_e32 v67, 4, v71
	s_waitcnt lgkmcnt(0)
	v_cndmask_b32_e32 v58, 0, v64, vcc
	v_cmp_gt_u32_e32 vcc, v63, v9
	v_add_u32_e32 v69, 8, v71
	v_add_u32_e32 v73, 16, v71
	v_cndmask_b32_e32 v7, v7, v59, vcc
	v_cndmask_b32_e64 v58, v58, 0, vcc
	v_cndmask_b32_e32 v57, v57, v59, vcc
	v_cmp_gt_u32_e32 vcc, 62, v74
	v_add_u32_e32 v6, v58, v6
	v_and_b32_e32 v66, 1, v7
	v_cndmask_b32_e64 v59, 0, 1, vcc
	v_lshlrev_b32_e32 v59, 1, v59
	v_add_lshl_u32 v64, v59, v71, 2
	ds_bpermute_b32 v59, v64, v57
	ds_bpermute_b32 v58, v64, v6
	v_cmp_eq_u32_e32 vcc, 1, v66
	v_cmp_gt_u32_e64 s[54:55], 32, v74
	s_waitcnt lgkmcnt(1)
	v_and_b32_e32 v59, 1, v59
	v_cndmask_b32_e64 v59, v59, 1, vcc
	v_cmp_eq_u16_e32 vcc, 0, v7
	v_and_b32_e32 v66, 0xffff, v59
	s_waitcnt lgkmcnt(0)
	v_cndmask_b32_e32 v58, 0, v58, vcc
	v_cmp_gt_u32_e32 vcc, v65, v9
	s_nop 1
	v_cndmask_b32_e32 v7, v59, v7, vcc
	v_cndmask_b32_e64 v58, v58, 0, vcc
	v_cndmask_b32_e32 v57, v66, v57, vcc
	v_cmp_gt_u32_e32 vcc, 60, v74
	v_add_u32_e32 v6, v58, v6
	v_and_b32_e32 v68, 1, v7
	v_cndmask_b32_e64 v59, 0, 1, vcc
	v_lshlrev_b32_e32 v59, 2, v59
	v_add_lshl_u32 v66, v59, v71, 2
	ds_bpermute_b32 v59, v66, v57
	ds_bpermute_b32 v58, v66, v6
	v_cmp_eq_u32_e32 vcc, 1, v68
	s_waitcnt lgkmcnt(1)
	v_and_b32_e32 v59, 1, v59
	v_cndmask_b32_e64 v59, v59, 1, vcc
	v_cmp_eq_u16_e32 vcc, 0, v7
	v_and_b32_e32 v68, 0xffff, v59
	s_waitcnt lgkmcnt(0)
	v_cndmask_b32_e32 v58, 0, v58, vcc
	v_cmp_gt_u32_e32 vcc, v67, v9
	s_nop 1
	v_cndmask_b32_e32 v7, v59, v7, vcc
	v_cndmask_b32_e64 v58, v58, 0, vcc
	v_cndmask_b32_e32 v57, v68, v57, vcc
	v_cmp_gt_u32_e32 vcc, 56, v74
	v_add_u32_e32 v6, v58, v6
	v_and_b32_e32 v70, 1, v7
	v_cndmask_b32_e64 v59, 0, 1, vcc
	v_lshlrev_b32_e32 v59, 3, v59
	v_add_lshl_u32 v68, v59, v71, 2
	ds_bpermute_b32 v59, v68, v57
	ds_bpermute_b32 v58, v68, v6
	v_cmp_eq_u32_e32 vcc, 1, v70
	;; [unrolled: 21-line block ×3, first 2 shown]
	s_waitcnt lgkmcnt(1)
	v_and_b32_e32 v57, 1, v57
	v_cndmask_b32_e64 v75, v57, 1, vcc
	v_mov_b32_e32 v57, 0
	v_cmp_eq_u16_sdwa vcc, v7, v57 src0_sel:BYTE_0 src1_sel:DWORD
	v_and_b32_e32 v76, 0xffff, v75
	s_waitcnt lgkmcnt(0)
	v_cndmask_b32_e32 v58, 0, v58, vcc
	v_cmp_gt_u32_e32 vcc, v73, v9
	s_nop 1
	v_cndmask_b32_e64 v58, v58, 0, vcc
	v_add_u32_e32 v6, v58, v6
	v_cndmask_b32_e64 v58, 0, 1, s[54:55]
	v_lshlrev_b32_e32 v58, 5, v58
	v_cndmask_b32_e32 v7, v75, v7, vcc
	v_add_lshl_u32 v75, v58, v71, 2
	v_cndmask_b32_e32 v59, v76, v59, vcc
	ds_bpermute_b32 v58, v75, v6
	ds_bpermute_b32 v59, v75, v59
	v_add_u32_e32 v76, 32, v71
	v_cmp_eq_u16_sdwa vcc, v7, v57 src0_sel:BYTE_0 src1_sel:DWORD
	v_and_b32_e32 v71, 1, v7
	s_waitcnt lgkmcnt(0)
	v_and_b32_e32 v59, 1, v59
	v_cndmask_b32_e32 v58, 0, v58, vcc
	v_cmp_eq_u32_e32 vcc, 1, v71
	s_nop 1
	v_cndmask_b32_e64 v59, v59, 1, vcc
	v_cmp_gt_u32_e32 vcc, v76, v9
	s_nop 1
	v_cndmask_b32_e64 v9, v58, 0, vcc
	v_cndmask_b32_e32 v7, v59, v7, vcc
	v_add_u32_e32 v6, v9, v6
	s_branch .LBB56_170
.LBB56_169:                             ;   in Loop: Header=BB56_170 Depth=1
	s_or_b64 exec, exec, s[54:55]
	v_cmp_eq_u16_sdwa s[54:55], v8, v3 src0_sel:BYTE_0 src1_sel:DWORD
	v_and_b32_e32 v59, 0xff, v7
	ds_bpermute_b32 v78, v62, v59
	v_and_b32_e32 v9, s55, v5
	v_or_b32_e32 v9, 0x80000000, v9
	v_and_b32_e32 v77, s54, v4
	v_ffbl_b32_e32 v9, v9
	v_add_u32_e32 v9, 32, v9
	v_ffbl_b32_e32 v77, v77
	v_min_u32_e32 v9, v77, v9
	ds_bpermute_b32 v77, v62, v6
	v_and_b32_e32 v7, 1, v7
	v_mov_b32_e32 v58, v6
	s_waitcnt lgkmcnt(1)
	v_and_b32_e32 v78, 1, v78
	v_cmp_eq_u32_e32 vcc, 1, v7
	v_subrev_u32_e32 v56, 64, v56
	s_nop 0
	v_cndmask_b32_e64 v7, v78, 1, vcc
	v_cmp_gt_u64_e32 vcc, s[58:59], v[58:59]
	v_and_b32_e32 v78, 0xffff, v7
	s_waitcnt lgkmcnt(0)
	v_cndmask_b32_e32 v58, 0, v77, vcc
	v_cmp_gt_u32_e32 vcc, v63, v9
	s_nop 1
	v_cndmask_b32_e32 v7, v7, v59, vcc
	v_cndmask_b32_e32 v59, v78, v59, vcc
	ds_bpermute_b32 v77, v64, v59
	v_cndmask_b32_e64 v58, v58, 0, vcc
	v_add_u32_e32 v6, v58, v6
	ds_bpermute_b32 v58, v64, v6
	v_and_b32_e32 v78, 1, v7
	s_waitcnt lgkmcnt(1)
	v_and_b32_e32 v77, 1, v77
	v_cmp_eq_u32_e32 vcc, 1, v78
	s_nop 1
	v_cndmask_b32_e64 v77, v77, 1, vcc
	v_cmp_eq_u16_e32 vcc, 0, v7
	v_and_b32_e32 v78, 0xffff, v77
	s_waitcnt lgkmcnt(0)
	v_cndmask_b32_e32 v58, 0, v58, vcc
	v_cmp_gt_u32_e32 vcc, v65, v9
	s_nop 1
	v_cndmask_b32_e32 v59, v78, v59, vcc
	v_cndmask_b32_e32 v7, v77, v7, vcc
	ds_bpermute_b32 v77, v66, v59
	v_cndmask_b32_e64 v58, v58, 0, vcc
	v_add_u32_e32 v6, v58, v6
	ds_bpermute_b32 v58, v66, v6
	v_and_b32_e32 v78, 1, v7
	s_waitcnt lgkmcnt(1)
	v_and_b32_e32 v77, 1, v77
	v_cmp_eq_u32_e32 vcc, 1, v78
	s_nop 1
	v_cndmask_b32_e64 v77, v77, 1, vcc
	v_cmp_eq_u16_e32 vcc, 0, v7
	;; [unrolled: 18-line block ×3, first 2 shown]
	v_and_b32_e32 v78, 0xffff, v77
	s_waitcnt lgkmcnt(0)
	v_cndmask_b32_e32 v58, 0, v58, vcc
	v_cmp_gt_u32_e32 vcc, v69, v9
	s_nop 1
	v_cndmask_b32_e32 v59, v78, v59, vcc
	v_cndmask_b32_e32 v7, v77, v7, vcc
	ds_bpermute_b32 v77, v70, v59
	v_cndmask_b32_e64 v58, v58, 0, vcc
	v_add_u32_e32 v6, v58, v6
	ds_bpermute_b32 v58, v70, v6
	v_and_b32_e32 v78, 1, v7
	s_waitcnt lgkmcnt(1)
	v_and_b32_e32 v77, 1, v77
	v_cmp_eq_u32_e32 vcc, 1, v78
	s_nop 1
	v_cndmask_b32_e64 v77, v77, 1, vcc
	v_cmp_eq_u16_sdwa vcc, v7, v57 src0_sel:BYTE_0 src1_sel:DWORD
	s_waitcnt lgkmcnt(0)
	s_nop 0
	v_cndmask_b32_e32 v58, 0, v58, vcc
	v_cmp_gt_u32_e32 vcc, v73, v9
	s_nop 1
	v_cndmask_b32_e64 v58, v58, 0, vcc
	v_cndmask_b32_e32 v7, v77, v7, vcc
	v_add_u32_e32 v6, v58, v6
	v_and_b32_e32 v77, 0xffff, v77
	ds_bpermute_b32 v58, v75, v6
	v_cndmask_b32_e32 v59, v77, v59, vcc
	ds_bpermute_b32 v59, v75, v59
	v_cmp_eq_u16_sdwa vcc, v7, v57 src0_sel:BYTE_0 src1_sel:DWORD
	v_and_b32_e32 v77, 1, v7
	s_waitcnt lgkmcnt(1)
	v_cndmask_b32_e32 v58, 0, v58, vcc
	v_cmp_eq_u32_e32 vcc, 1, v77
	s_waitcnt lgkmcnt(0)
	s_nop 0
	v_cndmask_b32_e64 v59, v59, 1, vcc
	v_cmp_gt_u32_e32 vcc, v76, v9
	s_nop 1
	v_cndmask_b32_e64 v9, v58, 0, vcc
	v_cndmask_b32_e32 v7, v59, v7, vcc
	v_add_u32_e32 v6, v9, v6
	v_cmp_eq_u16_sdwa vcc, v71, v57 src0_sel:BYTE_0 src1_sel:DWORD
	v_and_b32_e32 v9, 1, v71
	v_and_b32_e32 v7, 1, v7
	v_cndmask_b32_e32 v6, 0, v6, vcc
	v_cmp_eq_u32_e32 vcc, 1, v9
	v_add_u32_e32 v6, v6, v74
	s_nop 0
	v_cndmask_b32_e64 v7, v7, 1, vcc
.LBB56_170:                             ; =>This Loop Header: Depth=1
                                        ;     Child Loop BB56_173 Depth 2
	v_cmp_ne_u16_sdwa s[54:55], v8, v3 src0_sel:BYTE_0 src1_sel:DWORD
	v_mov_b32_e32 v71, v7
	v_mov_b32_e32 v74, v6
	v_cndmask_b32_e64 v7, 0, 1, s[54:55]
	;;#ASMSTART
	;;#ASMEND
	s_nop 0
	v_cmp_ne_u32_e32 vcc, 0, v7
	s_cmp_lg_u64 vcc, exec
	s_cbranch_scc1 .LBB56_175
; %bb.171:                              ;   in Loop: Header=BB56_170 Depth=1
	v_lshl_add_u64 v[58:59], v[56:57], 4, s[68:69]
	;;#ASMSTART
	global_load_dwordx4 v[6:9], v[58:59] off sc1	
s_waitcnt vmcnt(0)
	;;#ASMEND
	s_nop 0
	v_cmp_eq_u16_sdwa s[60:61], v8, v57 src0_sel:BYTE_0 src1_sel:DWORD
	s_and_saveexec_b64 s[54:55], s[60:61]
	s_cbranch_execz .LBB56_169
; %bb.172:                              ;   in Loop: Header=BB56_170 Depth=1
	s_mov_b64 s[60:61], 0
.LBB56_173:                             ;   Parent Loop BB56_170 Depth=1
                                        ; =>  This Inner Loop Header: Depth=2
	;;#ASMSTART
	global_load_dwordx4 v[6:9], v[58:59] off sc1	
s_waitcnt vmcnt(0)
	;;#ASMEND
	s_nop 0
	v_cmp_ne_u16_sdwa s[62:63], v8, v57 src0_sel:BYTE_0 src1_sel:DWORD
	s_or_b64 s[60:61], s[62:63], s[60:61]
	s_andn2_b64 exec, exec, s[60:61]
	s_cbranch_execnz .LBB56_173
; %bb.174:                              ;   in Loop: Header=BB56_170 Depth=1
	s_or_b64 exec, exec, s[60:61]
	s_branch .LBB56_169
.LBB56_175:                             ;   in Loop: Header=BB56_170 Depth=1
                                        ; implicit-def: $vgpr7
                                        ; implicit-def: $vgpr6
                                        ; implicit-def: $vgpr8
	s_cbranch_execz .LBB56_170
; %bb.176:
	s_and_saveexec_b64 s[54:55], s[52:53]
	s_cbranch_execz .LBB56_178
; %bb.177:
	s_and_b32 s52, s3, 0xff
	s_cmp_eq_u32 s52, 0
	s_cselect_b64 vcc, -1, 0
	s_bitcmp1_b32 s3, 0
	s_mov_b32 s53, 0
	s_cselect_b64 s[58:59], -1, 0
	s_add_i32 s52, s2, 64
	s_lshl_b64 s[2:3], s[52:53], 4
	v_cndmask_b32_e32 v3, 0, v74, vcc
	s_add_u32 s2, s68, s2
	v_add_u32_e32 v2, v3, v2
	v_and_b32_e32 v3, 1, v71
	s_addc_u32 s3, s69, s3
	v_mov_b32_e32 v5, 0
	v_cndmask_b32_e64 v3, v3, 1, s[58:59]
	v_mov_b32_e32 v4, 2
	v_mov_b64_e32 v[6:7], s[2:3]
	;;#ASMSTART
	global_store_dwordx4 v[6:7], v[2:5] off sc1	
s_waitcnt vmcnt(0)
	;;#ASMEND
.LBB56_178:
	s_or_b64 exec, exec, s[54:55]
	s_and_b64 exec, exec, s[50:51]
	s_cbranch_execz .LBB56_180
; %bb.179:
	v_mov_b32_e32 v2, 0
	ds_write_b32 v2, v74
	ds_write_b8 v2, v71 offset:4
.LBB56_180:
	s_or_b64 exec, exec, s[56:57]
	s_mov_b32 s2, 0
	v_mov_b32_e32 v2, 0
	s_mov_b32 s3, 1
	s_waitcnt lgkmcnt(0)
	s_barrier
	ds_read_b32 v3, v2
	v_cmp_gt_u64_e32 vcc, s[2:3], v[10:11]
	v_and_b32_e32 v5, 1, v11
	s_nop 0
	v_cndmask_b32_e32 v4, 0, v60, vcc
	v_cmp_eq_u32_e32 vcc, 1, v5
	v_cndmask_b32_e64 v4, v4, 0, s[50:51]
	s_nop 0
	v_cndmask_b32_e64 v5, v61, 1, vcc
	v_cndmask_b32_e64 v5, v5, v11, s[50:51]
	v_cmp_eq_u16_sdwa vcc, v5, v2 src0_sel:BYTE_0 src1_sel:DWORD
	s_waitcnt lgkmcnt(0)
	s_nop 0
	v_cndmask_b32_e32 v2, 0, v3, vcc
	v_add3_u32 v70, v4, v10, v2
	v_cndmask_b32_e64 v2, 0, v70, s[4:5]
	v_add_u32_e32 v2, v2, v12
	v_cndmask_b32_e64 v3, 0, v2, s[6:7]
	v_add_u32_e32 v3, v3, v14
	;; [unrolled: 2-line block ×22, first 2 shown]
	s_branch .LBB56_201
.LBB56_181:
                                        ; implicit-def: $vgpr70_vgpr71
                                        ; implicit-def: $vgpr68_vgpr69
                                        ; implicit-def: $vgpr66_vgpr67
                                        ; implicit-def: $vgpr64_vgpr65
                                        ; implicit-def: $vgpr62_vgpr63
                                        ; implicit-def: $vgpr60_vgpr61
                                        ; implicit-def: $vgpr58_vgpr59
                                        ; implicit-def: $vgpr56_vgpr57
                                        ; implicit-def: $vgpr8_vgpr9
                                        ; implicit-def: $vgpr6_vgpr7
                                        ; implicit-def: $vgpr4_vgpr5
                                        ; implicit-def: $vgpr2_vgpr3
	s_cbranch_execz .LBB56_201
; %bb.182:
	s_cmp_lg_u64 s[76:77], 0
	s_cselect_b64 s[2:3], -1, 0
	v_cmp_eq_u32_e32 vcc, 0, v0
	s_mov_b32 s50, 0
	v_cmp_ne_u32_e64 s[4:5], 0, v0
	s_and_b64 s[2:3], vcc, s[2:3]
	s_and_saveexec_b64 s[6:7], s[2:3]
	s_cbranch_execz .LBB56_184
; %bb.183:
	v_mov_b32_e32 v2, 0
	global_load_ubyte v4, v2, s[76:77] offset:4
	s_load_dword s2, s[76:77], 0x0
	s_mov_b32 s51, 1
	v_and_b32_e32 v3, 1, v11
	s_waitcnt lgkmcnt(0)
	v_mov_b32_e32 v5, s2
	v_cmp_gt_u64_e64 s[2:3], s[50:51], v[10:11]
	s_waitcnt vmcnt(0)
	v_and_b32_e32 v4, 1, v4
	v_cndmask_b32_e64 v5, 0, v5, s[2:3]
	v_cmp_eq_u64_e64 s[2:3], 0, v[2:3]
	v_add_u32_e32 v10, v5, v10
	s_nop 0
	v_cndmask_b32_e64 v11, 1, v4, s[2:3]
.LBB56_184:
	s_or_b64 exec, exec, s[6:7]
	s_mov_b32 s51, 1
	v_cmp_gt_u64_e64 s[6:7], s[50:51], v[12:13]
	v_cmp_gt_u64_e64 s[8:9], s[50:51], v[14:15]
	v_cmp_gt_u64_e64 s[10:11], s[50:51], v[16:17]
	v_cndmask_b32_e64 v2, 0, v10, s[6:7]
	v_add_u32_e32 v2, v2, v12
	v_cndmask_b32_e64 v3, 0, v2, s[8:9]
	v_add_u32_e32 v3, v3, v14
	v_cndmask_b32_e64 v4, 0, v3, s[10:11]
	v_add_u32_e32 v4, v4, v16
	v_cmp_gt_u64_e64 s[12:13], s[50:51], v[18:19]
	v_cmp_gt_u64_e64 s[14:15], s[50:51], v[20:21]
	v_cmp_gt_u64_e64 s[16:17], s[50:51], v[22:23]
	v_cndmask_b32_e64 v5, 0, v4, s[12:13]
	v_add_u32_e32 v5, v5, v18
	v_cndmask_b32_e64 v6, 0, v5, s[14:15]
	v_add_u32_e32 v6, v6, v20
	v_cndmask_b32_e64 v7, 0, v6, s[16:17]
	v_add_u32_e32 v7, v7, v22
	v_cmp_gt_u64_e64 s[18:19], s[50:51], v[24:25]
	v_cmp_gt_u64_e64 s[20:21], s[50:51], v[26:27]
	v_cmp_gt_u64_e64 s[22:23], s[50:51], v[28:29]
	v_cndmask_b32_e64 v8, 0, v7, s[18:19]
	v_add_u32_e32 v8, v8, v24
	v_cndmask_b32_e64 v9, 0, v8, s[20:21]
	v_add_u32_e32 v9, v9, v26
	v_cndmask_b32_e64 v56, 0, v9, s[22:23]
	v_add_u32_e32 v56, v56, v28
	v_cmp_gt_u64_e64 s[24:25], s[50:51], v[30:31]
	v_cmp_gt_u64_e64 s[26:27], s[50:51], v[32:33]
	v_cmp_gt_u64_e64 s[28:29], s[50:51], v[34:35]
	v_cndmask_b32_e64 v57, 0, v56, s[24:25]
	v_add_u32_e32 v57, v57, v30
	v_cndmask_b32_e64 v58, 0, v57, s[26:27]
	v_add_u32_e32 v58, v58, v32
	v_cndmask_b32_e64 v59, 0, v58, s[28:29]
	v_add_u32_e32 v59, v59, v34
	v_cmp_gt_u64_e64 s[30:31], s[50:51], v[36:37]
	v_cmp_gt_u64_e64 s[34:35], s[50:51], v[38:39]
	v_cmp_gt_u64_e64 s[36:37], s[50:51], v[40:41]
	v_cndmask_b32_e64 v60, 0, v59, s[30:31]
	v_add_u32_e32 v60, v60, v36
	v_cndmask_b32_e64 v61, 0, v60, s[34:35]
	v_add_u32_e32 v61, v61, v38
	v_cndmask_b32_e64 v62, 0, v61, s[36:37]
	v_add_u32_e32 v62, v62, v40
	v_cmp_gt_u64_e64 s[38:39], s[50:51], v[42:43]
	v_cmp_gt_u64_e64 s[40:41], s[50:51], v[44:45]
	;; [unrolled: 1-line block ×3, first 2 shown]
	v_cndmask_b32_e64 v63, 0, v62, s[38:39]
	v_add_u32_e32 v63, v63, v42
	v_or3_b32 v49, v72, v51, v49
	v_cndmask_b32_e64 v64, 0, v63, s[40:41]
	v_or3_b32 v45, v49, v47, v45
	v_add_u32_e32 v64, v64, v44
	v_cmp_gt_u64_e64 s[42:43], s[50:51], v[46:47]
	v_or3_b32 v41, v45, v43, v41
	v_or3_b32 v37, v41, v39, v37
	v_cndmask_b32_e64 v65, 0, v64, s[42:43]
	v_add_u32_e32 v65, v65, v46
	v_or3_b32 v33, v37, v35, v33
	v_cndmask_b32_e64 v66, 0, v65, s[44:45]
	v_or3_b32 v29, v33, v31, v29
	v_add_u32_e32 v66, v66, v48
	v_cmp_gt_u64_e64 s[46:47], s[50:51], v[50:51]
	v_or3_b32 v25, v29, v27, v25
	v_or3_b32 v21, v25, v23, v21
	v_cndmask_b32_e64 v67, 0, v66, s[46:47]
	v_add_u32_e32 v67, v67, v50
	v_cmp_gt_u64_e64 s[48:49], s[50:51], v[52:53]
	v_or3_b32 v17, v21, v19, v17
	v_or3_b32 v13, v17, v15, v13
	v_cndmask_b32_e64 v53, 0, v67, s[48:49]
	v_add_u32_e32 v68, v53, v52
	v_cmp_gt_u64_e64 s[50:51], s[50:51], v[54:55]
	v_and_b32_e32 v13, 1, v13
	v_cmp_eq_u32_e64 s[2:3], 1, v13
	v_cndmask_b32_e64 v53, 0, v68, s[50:51]
	v_add_u32_e32 v69, v53, v54
	v_cndmask_b32_e64 v13, v11, 1, s[2:3]
	v_add_lshl_u32 v1, v1, v0, 3
	v_cmp_gt_u32_e64 s[2:3], 64, v0
	ds_write_b32 v1, v69
	ds_write_b8 v1, v13 offset:4
	s_waitcnt lgkmcnt(0)
	s_barrier
	s_and_saveexec_b64 s[72:73], s[2:3]
	s_cbranch_execz .LBB56_196
; %bb.185:
	v_lshlrev_b32_e32 v1, 2, v0
	v_lshrrev_b32_e32 v15, 3, v0
	v_add_lshl_u32 v1, v15, v1, 3
	ds_read2_b32 v[70:71], v1 offset0:2 offset1:4
	ds_read_b64 v[72:73], v1
	ds_read_u8 v19, v1 offset:12
	ds_read_u8 v21, v1 offset:20
	ds_read_b32 v15, v1 offset:24
	ds_read_u8 v23, v1 offset:28
	s_waitcnt lgkmcnt(4)
	v_and_b32_e32 v17, 1, v73
	s_waitcnt lgkmcnt(3)
	v_cmp_eq_u16_e64 s[52:53], 0, v19
	v_and_b32_e32 v19, 1, v19
	s_waitcnt lgkmcnt(2)
	v_cmp_eq_u16_e64 s[54:55], 0, v21
	v_cndmask_b32_e64 v25, 0, v72, s[52:53]
	v_add_u32_e32 v25, v25, v70
	v_cmp_eq_u32_e64 s[58:59], 1, v19
	v_cndmask_b32_e64 v19, 0, v25, s[54:55]
	v_add_u32_e32 v19, v19, v71
	s_waitcnt lgkmcnt(0)
	v_cmp_eq_u16_e64 s[56:57], 0, v23
	v_and_b32_e32 v21, 1, v21
	v_cmp_eq_u32_e64 s[60:61], 1, v21
	v_cndmask_b32_e64 v19, 0, v19, s[56:57]
	v_add_u32_e32 v21, v19, v15
	v_and_b32_e32 v19, 1, v23
	v_cmp_eq_u32_e64 s[62:63], 1, v19
	s_or_b64 s[2:3], s[62:63], s[60:61]
	s_or_b64 s[2:3], s[2:3], s[58:59]
	v_mbcnt_lo_u32_b32 v23, -1, 0
	v_cndmask_b32_e64 v25, v17, 1, s[2:3]
	v_and_b32_e32 v19, 0xffffff00, v73
	v_mbcnt_hi_u32_b32 v23, -1, v23
	v_and_b32_e32 v31, 15, v23
	v_or_b32_sdwa v27, v19, v25 dst_sel:DWORD dst_unused:UNUSED_PAD src0_sel:DWORD src1_sel:WORD_0
	v_mov_b32_dpp v29, v21 row_shr:1 row_mask:0xf bank_mask:0xf
	v_cmp_ne_u32_e64 s[2:3], 0, v31
	v_mov_b32_dpp v33, v27 row_shr:1 row_mask:0xf bank_mask:0xf
	s_and_saveexec_b64 s[74:75], s[2:3]
; %bb.186:
	v_and_b32_e32 v27, 1, v25
	v_and_b32_e32 v33, 1, v33
	v_cmp_eq_u32_e64 s[2:3], 1, v27
	s_nop 1
	v_cndmask_b32_e64 v33, v33, 1, s[2:3]
	v_cmp_eq_u16_e64 s[2:3], 0, v25
	v_or_b32_sdwa v27, v19, v33 dst_sel:DWORD dst_unused:UNUSED_PAD src0_sel:DWORD src1_sel:WORD_0
	s_nop 0
	v_cndmask_b32_e64 v25, 0, v29, s[2:3]
	v_add_u32_e32 v21, v25, v21
	v_mov_b32_e32 v25, v33
; %bb.187:
	s_or_b64 exec, exec, s[74:75]
	v_mov_b32_dpp v33, v21 row_shr:2 row_mask:0xf bank_mask:0xf
	v_mov_b32_dpp v35, v27 row_shr:2 row_mask:0xf bank_mask:0xf
	v_cmp_lt_u32_e64 s[2:3], 1, v31
	v_mov_b32_e32 v29, v27
	s_and_saveexec_b64 s[74:75], s[2:3]
; %bb.188:
	v_and_b32_e32 v25, 1, v27
	v_and_b32_e32 v29, 1, v35
	v_cmp_eq_u32_e64 s[2:3], 1, v25
	s_nop 1
	v_cndmask_b32_e64 v25, v29, 1, s[2:3]
	v_mov_b32_e32 v29, 0
	v_cmp_eq_u16_sdwa s[2:3], v27, v29 src0_sel:BYTE_0 src1_sel:DWORD
	v_mov_b32_e32 v29, v25
	s_nop 0
	v_cndmask_b32_e64 v27, 0, v33, s[2:3]
	v_add_u32_e32 v21, v27, v21
	v_or_b32_sdwa v27, v19, v25 dst_sel:DWORD dst_unused:UNUSED_PAD src0_sel:DWORD src1_sel:WORD_0
; %bb.189:
	s_or_b64 exec, exec, s[74:75]
	v_mov_b32_dpp v33, v21 row_shr:4 row_mask:0xf bank_mask:0xf
	v_mov_b32_dpp v35, v27 row_shr:4 row_mask:0xf bank_mask:0xf
	v_cmp_lt_u32_e64 s[2:3], 3, v31
	s_and_saveexec_b64 s[74:75], s[2:3]
; %bb.190:
	v_and_b32_e32 v25, 1, v29
	v_and_b32_e32 v27, 1, v35
	v_cmp_eq_u32_e64 s[2:3], 1, v25
	s_nop 1
	v_cndmask_b32_e64 v25, v27, 1, s[2:3]
	v_mov_b32_e32 v27, 0
	v_cmp_eq_u16_sdwa s[2:3], v29, v27 src0_sel:BYTE_0 src1_sel:DWORD
	v_mov_b32_e32 v29, v25
	s_nop 0
	v_cndmask_b32_e64 v27, 0, v33, s[2:3]
	v_add_u32_e32 v21, v27, v21
	v_or_b32_sdwa v27, v19, v25 dst_sel:DWORD dst_unused:UNUSED_PAD src0_sel:DWORD src1_sel:WORD_0
; %bb.191:
	s_or_b64 exec, exec, s[74:75]
	v_mov_b32_dpp v33, v21 row_shr:8 row_mask:0xf bank_mask:0xf
	v_mov_b32_dpp v35, v27 row_shr:8 row_mask:0xf bank_mask:0xf
	v_cmp_lt_u32_e64 s[2:3], 7, v31
	s_and_saveexec_b64 s[74:75], s[2:3]
; %bb.192:
	v_and_b32_e32 v25, 1, v29
	v_and_b32_e32 v27, 1, v35
	v_cmp_eq_u32_e64 s[2:3], 1, v25
	s_nop 1
	v_cndmask_b32_e64 v25, v27, 1, s[2:3]
	v_mov_b32_e32 v27, 0
	v_cmp_eq_u16_sdwa s[2:3], v29, v27 src0_sel:BYTE_0 src1_sel:DWORD
	v_mov_b32_e32 v29, v25
	s_nop 0
	v_cndmask_b32_e64 v27, 0, v33, s[2:3]
	v_add_u32_e32 v21, v27, v21
	v_or_b32_sdwa v27, v19, v25 dst_sel:DWORD dst_unused:UNUSED_PAD src0_sel:DWORD src1_sel:WORD_0
; %bb.193:
	s_or_b64 exec, exec, s[74:75]
	v_and_b32_e32 v35, 16, v23
	v_mov_b32_dpp v31, v21 row_bcast:15 row_mask:0xf bank_mask:0xf
	v_mov_b32_dpp v33, v27 row_bcast:15 row_mask:0xf bank_mask:0xf
	v_cmp_ne_u32_e64 s[2:3], 0, v35
	s_and_saveexec_b64 s[74:75], s[2:3]
; %bb.194:
	v_and_b32_e32 v25, 1, v29
	v_and_b32_e32 v27, 1, v33
	v_cmp_eq_u32_e64 s[2:3], 1, v25
	s_nop 1
	v_cndmask_b32_e64 v25, v27, 1, s[2:3]
	v_mov_b32_e32 v27, 0
	v_cmp_eq_u16_sdwa s[2:3], v29, v27 src0_sel:BYTE_0 src1_sel:DWORD
	v_mov_b32_e32 v29, v25
	s_nop 0
	v_cndmask_b32_e64 v27, 0, v31, s[2:3]
	v_add_u32_e32 v21, v27, v21
	v_or_b32_sdwa v27, v19, v25 dst_sel:DWORD dst_unused:UNUSED_PAD src0_sel:DWORD src1_sel:WORD_0
; %bb.195:
	s_or_b64 exec, exec, s[74:75]
	s_nop 0
	v_mov_b32_dpp v27, v27 row_bcast:31 row_mask:0xf bank_mask:0xf
	v_and_b32_e32 v33, 1, v29
	v_and_b32_e32 v27, 1, v27
	v_cmp_eq_u32_e64 s[2:3], 1, v33
	v_mov_b32_e32 v33, 0
	v_cmp_eq_u16_sdwa s[74:75], v29, v33 src0_sel:BYTE_0 src1_sel:DWORD
	v_cndmask_b32_e64 v27, v27, 1, s[2:3]
	v_cmp_lt_u32_e64 s[2:3], 31, v23
	v_mov_b32_dpp v31, v21 row_bcast:31 row_mask:0xf bank_mask:0xf
	v_and_b32_e32 v29, 64, v23
	v_cndmask_b32_e64 v25, v25, v27, s[2:3]
	s_and_b64 s[2:3], s[2:3], s[74:75]
	v_cndmask_b32_e64 v27, 0, v31, s[2:3]
	v_add_u32_e32 v21, v27, v21
	v_add_u32_e32 v27, -1, v23
	v_cmp_lt_i32_e64 s[2:3], v27, v29
	v_or_b32_sdwa v19, v19, v25 dst_sel:DWORD dst_unused:UNUSED_PAD src0_sel:DWORD src1_sel:WORD_0
	s_nop 0
	v_cndmask_b32_e64 v23, v27, v23, s[2:3]
	v_lshlrev_b32_e32 v23, 2, v23
	ds_bpermute_b32 v21, v23, v21
	ds_bpermute_b32 v19, v23, v19
	v_cmp_eq_u16_sdwa s[2:3], v73, v33 src0_sel:BYTE_0 src1_sel:DWORD
	s_waitcnt lgkmcnt(0)
	v_and_b32_e32 v19, 1, v19
	v_cndmask_b32_e64 v21, 0, v21, s[2:3]
	v_add_u32_e32 v21, v21, v72
	v_cmp_eq_u32_e64 s[2:3], 1, v17
	s_nop 1
	v_cndmask_b32_e64 v17, v19, 1, s[2:3]
	v_cndmask_b32_e32 v19, v21, v69, vcc
	v_cndmask_b32_e32 v13, v17, v13, vcc
	v_cndmask_b32_e64 v17, 0, v19, s[52:53]
	v_add_u32_e32 v17, v17, v70
	ds_write_b8 v1, v13 offset:4
	v_cndmask_b32_e64 v13, v13, 1, s[58:59]
	ds_write2_b32 v1, v19, v17 offset1:2
	ds_write_b8 v1, v13 offset:12
	v_cndmask_b32_e64 v17, 0, v17, s[54:55]
	v_add_u32_e32 v17, v17, v71
	v_cndmask_b32_e64 v19, 0, v17, s[56:57]
	v_cndmask_b32_e64 v13, v13, 1, s[60:61]
	v_add_u32_e32 v15, v19, v15
	ds_write_b8 v1, v13 offset:20
	v_cndmask_b32_e64 v13, v13, 1, s[62:63]
	ds_write2_b32 v1, v17, v15 offset0:4 offset1:6
	ds_write_b8 v1, v13 offset:28
.LBB56_196:
	s_or_b64 exec, exec, s[72:73]
	v_mov_b32_e32 v1, v69
	s_waitcnt lgkmcnt(0)
	s_barrier
	s_and_saveexec_b64 s[2:3], s[4:5]
	s_cbranch_execz .LBB56_247
; %bb.197:
	v_add_u32_e32 v1, -1, v0
	v_lshrrev_b32_e32 v13, 5, v1
	v_add_lshl_u32 v1, v13, v1, 3
	ds_read_b32 v1, v1
	s_or_b64 exec, exec, s[2:3]
	s_and_saveexec_b64 s[52:53], s[4:5]
	s_cbranch_execnz .LBB56_248
.LBB56_198:
	s_or_b64 exec, exec, s[52:53]
	s_and_saveexec_b64 s[2:3], vcc
	s_cbranch_execz .LBB56_200
.LBB56_199:
	v_mov_b32_e32 v15, 0
	ds_read_b32 v12, v15 offset:2096
	ds_read_u8 v13, v15 offset:2100
	s_add_u32 s4, s68, 0x400
	s_addc_u32 s5, s69, 0
	v_mov_b32_e32 v14, 2
	v_mov_b64_e32 v[16:17], s[4:5]
	s_waitcnt lgkmcnt(0)
	;;#ASMSTART
	global_store_dwordx4 v[16:17], v[12:15] off sc1	
s_waitcnt vmcnt(0)
	;;#ASMEND
.LBB56_200:
	s_or_b64 exec, exec, s[2:3]
	v_mov_b64_e32 v[70:71], v[10:11]
.LBB56_201:
	s_load_dwordx2 s[0:1], s[0:1], 0x18
	s_lshl_b64 s[2:3], s[66:67], 3
	v_lshlrev_b32_e32 v12, 3, v0
	s_waitcnt lgkmcnt(0)
	s_add_u32 s0, s0, s2
	s_addc_u32 s1, s1, s3
	s_and_b64 vcc, exec, s[64:65]
	s_cbranch_vccz .LBB56_249
; %bb.202:
	v_mul_u32_u24_e32 v1, 23, v0
	v_lshlrev_b32_e32 v1, 2, v1
	s_movk_i32 s2, 0xffa8
	v_mad_i32_i24 v10, v0, s2, v1
	s_barrier
	ds_write_b32 v1, v70
	ds_write2_b32 v1, v2, v3 offset0:1 offset1:2
	ds_write2_b32 v1, v4, v5 offset0:3 offset1:4
	;; [unrolled: 1-line block ×11, first 2 shown]
	s_waitcnt lgkmcnt(0)
	s_barrier
	ds_read2st64_b32 v[34:35], v10 offset0:4 offset1:8
	ds_read2st64_b32 v[32:33], v10 offset0:12 offset1:16
	;; [unrolled: 1-line block ×11, first 2 shown]
	s_add_i32 s33, s33, s70
	v_mov_b32_e32 v13, 0
	v_lshl_add_u64 v[14:15], s[0:1], 0, v[12:13]
	v_cmp_gt_u32_e32 vcc, s33, v0
	s_and_saveexec_b64 s[2:3], vcc
	s_cbranch_execz .LBB56_204
; %bb.203:
	v_mul_i32_i24_e32 v36, 0xffffffa8, v0
	v_add_u32_e32 v1, v1, v36
	ds_read_b32 v1, v1
	s_waitcnt lgkmcnt(0)
	v_cvt_f64_i32_e32 v[36:37], v1
	global_store_dwordx2 v[14:15], v[36:37], off
.LBB56_204:
	s_or_b64 exec, exec, s[2:3]
	v_or_b32_e32 v1, 0x100, v0
	v_cmp_gt_u32_e32 vcc, s33, v1
	s_and_saveexec_b64 s[2:3], vcc
	s_cbranch_execz .LBB56_206
; %bb.205:
	s_waitcnt lgkmcnt(10)
	v_cvt_f64_i32_e32 v[36:37], v34
	global_store_dwordx2 v[14:15], v[36:37], off offset:2048
.LBB56_206:
	s_or_b64 exec, exec, s[2:3]
	v_or_b32_e32 v1, 0x200, v0
	v_cmp_gt_u32_e32 vcc, s33, v1
	s_and_saveexec_b64 s[2:3], vcc
	s_cbranch_execz .LBB56_208
; %bb.207:
	v_add_co_u32_e32 v36, vcc, 0x1000, v14
	s_waitcnt lgkmcnt(10)
	v_cvt_f64_i32_e32 v[34:35], v35
	v_addc_co_u32_e32 v37, vcc, 0, v15, vcc
	global_store_dwordx2 v[36:37], v[34:35], off
.LBB56_208:
	s_or_b64 exec, exec, s[2:3]
	v_or_b32_e32 v1, 0x300, v0
	v_cmp_gt_u32_e32 vcc, s33, v1
	s_and_saveexec_b64 s[2:3], vcc
	s_cbranch_execz .LBB56_210
; %bb.209:
	v_add_co_u32_e32 v36, vcc, 0x1000, v14
	s_waitcnt lgkmcnt(9)
	v_cvt_f64_i32_e32 v[34:35], v32
	v_addc_co_u32_e32 v37, vcc, 0, v15, vcc
	global_store_dwordx2 v[36:37], v[34:35], off offset:2048
.LBB56_210:
	s_or_b64 exec, exec, s[2:3]
	v_or_b32_e32 v1, 0x400, v0
	v_cmp_gt_u32_e32 vcc, s33, v1
	s_and_saveexec_b64 s[2:3], vcc
	s_cbranch_execz .LBB56_212
; %bb.211:
	s_waitcnt lgkmcnt(10)
	v_add_co_u32_e32 v34, vcc, 0x2000, v14
	s_waitcnt lgkmcnt(9)
	v_cvt_f64_i32_e32 v[32:33], v33
	v_addc_co_u32_e32 v35, vcc, 0, v15, vcc
	global_store_dwordx2 v[34:35], v[32:33], off
.LBB56_212:
	s_or_b64 exec, exec, s[2:3]
	v_or_b32_e32 v1, 0x500, v0
	v_cmp_gt_u32_e32 vcc, s33, v1
	s_and_saveexec_b64 s[2:3], vcc
	s_cbranch_execz .LBB56_214
; %bb.213:
	s_waitcnt lgkmcnt(10)
	v_add_co_u32_e32 v34, vcc, 0x2000, v14
	s_waitcnt lgkmcnt(8)
	v_cvt_f64_i32_e32 v[32:33], v30
	v_addc_co_u32_e32 v35, vcc, 0, v15, vcc
	global_store_dwordx2 v[34:35], v[32:33], off offset:2048
.LBB56_214:
	s_or_b64 exec, exec, s[2:3]
	v_or_b32_e32 v1, 0x600, v0
	v_cmp_gt_u32_e32 vcc, s33, v1
	s_and_saveexec_b64 s[2:3], vcc
	s_cbranch_execz .LBB56_216
; %bb.215:
	s_waitcnt lgkmcnt(9)
	v_add_co_u32_e32 v32, vcc, 0x3000, v14
	s_waitcnt lgkmcnt(8)
	v_cvt_f64_i32_e32 v[30:31], v31
	v_addc_co_u32_e32 v33, vcc, 0, v15, vcc
	global_store_dwordx2 v[32:33], v[30:31], off
.LBB56_216:
	s_or_b64 exec, exec, s[2:3]
	v_or_b32_e32 v1, 0x700, v0
	v_cmp_gt_u32_e32 vcc, s33, v1
	s_and_saveexec_b64 s[2:3], vcc
	s_cbranch_execz .LBB56_218
; %bb.217:
	s_waitcnt lgkmcnt(9)
	v_add_co_u32_e32 v32, vcc, 0x3000, v14
	s_waitcnt lgkmcnt(7)
	v_cvt_f64_i32_e32 v[30:31], v28
	v_addc_co_u32_e32 v33, vcc, 0, v15, vcc
	global_store_dwordx2 v[32:33], v[30:31], off offset:2048
.LBB56_218:
	;; [unrolled: 26-line block ×8, first 2 shown]
	s_or_b64 exec, exec, s[2:3]
	v_or_b32_e32 v1, 0x1400, v0
	v_cmp_gt_u32_e32 vcc, s33, v1
	s_and_saveexec_b64 s[2:3], vcc
	s_cbranch_execz .LBB56_244
; %bb.243:
	s_waitcnt lgkmcnt(2)
	v_add_co_u32_e32 v18, vcc, 0xa000, v14
	s_waitcnt lgkmcnt(1)
	v_cvt_f64_i32_e32 v[16:17], v17
	v_addc_co_u32_e32 v19, vcc, 0, v15, vcc
	global_store_dwordx2 v[18:19], v[16:17], off
.LBB56_244:
	s_or_b64 exec, exec, s[2:3]
	v_or_b32_e32 v1, 0x1500, v0
	v_cmp_gt_u32_e32 vcc, s33, v1
	s_and_saveexec_b64 s[2:3], vcc
	s_cbranch_execz .LBB56_246
; %bb.245:
	v_add_co_u32_e32 v14, vcc, 0xa000, v14
	s_waitcnt lgkmcnt(0)
	v_cvt_f64_i32_e32 v[16:17], v10
	v_addc_co_u32_e32 v15, vcc, 0, v15, vcc
	global_store_dwordx2 v[14:15], v[16:17], off offset:2048
.LBB56_246:
	s_or_b64 exec, exec, s[2:3]
	s_waitcnt lgkmcnt(0)
	v_or_b32_e32 v10, 0x1600, v0
	v_mov_b32_e32 v1, v13
	v_cmp_gt_u32_e64 s[2:3], s33, v10
	s_branch .LBB56_251
.LBB56_247:
	s_or_b64 exec, exec, s[2:3]
	s_and_saveexec_b64 s[52:53], s[4:5]
	s_cbranch_execz .LBB56_198
.LBB56_248:
	s_mov_b32 s2, 0
	s_mov_b32 s3, 1
	v_cmp_gt_u64_e64 s[2:3], s[2:3], v[10:11]
	s_waitcnt lgkmcnt(0)
	s_nop 0
	v_cndmask_b32_e64 v1, 0, v1, s[2:3]
	v_add_u32_e32 v10, v1, v10
	v_cndmask_b32_e64 v1, 0, v10, s[6:7]
	v_add_u32_e32 v2, v1, v12
	v_cndmask_b32_e64 v1, 0, v2, s[8:9]
	v_add_u32_e32 v3, v1, v14
	v_cndmask_b32_e64 v1, 0, v3, s[10:11]
	v_add_u32_e32 v4, v1, v16
	v_cndmask_b32_e64 v1, 0, v4, s[12:13]
	v_add_u32_e32 v5, v1, v18
	v_cndmask_b32_e64 v1, 0, v5, s[14:15]
	v_add_u32_e32 v6, v1, v20
	v_cndmask_b32_e64 v1, 0, v6, s[16:17]
	v_add_u32_e32 v7, v1, v22
	v_cndmask_b32_e64 v1, 0, v7, s[18:19]
	v_add_u32_e32 v8, v1, v24
	v_cndmask_b32_e64 v1, 0, v8, s[20:21]
	v_add_u32_e32 v9, v1, v26
	v_cndmask_b32_e64 v1, 0, v9, s[22:23]
	v_add_u32_e32 v56, v1, v28
	v_cndmask_b32_e64 v1, 0, v56, s[24:25]
	v_add_u32_e32 v57, v1, v30
	v_cndmask_b32_e64 v1, 0, v57, s[26:27]
	v_add_u32_e32 v58, v1, v32
	v_cndmask_b32_e64 v1, 0, v58, s[28:29]
	v_add_u32_e32 v59, v1, v34
	v_cndmask_b32_e64 v1, 0, v59, s[30:31]
	v_add_u32_e32 v60, v1, v36
	v_cndmask_b32_e64 v1, 0, v60, s[34:35]
	v_add_u32_e32 v61, v1, v38
	v_cndmask_b32_e64 v1, 0, v61, s[36:37]
	v_add_u32_e32 v62, v1, v40
	v_cndmask_b32_e64 v1, 0, v62, s[38:39]
	v_add_u32_e32 v63, v1, v42
	v_cndmask_b32_e64 v1, 0, v63, s[40:41]
	v_add_u32_e32 v64, v1, v44
	v_cndmask_b32_e64 v1, 0, v64, s[42:43]
	v_add_u32_e32 v65, v1, v46
	v_cndmask_b32_e64 v1, 0, v65, s[44:45]
	v_add_u32_e32 v66, v1, v48
	v_cndmask_b32_e64 v1, 0, v66, s[46:47]
	v_add_u32_e32 v67, v1, v50
	v_cndmask_b32_e64 v1, 0, v67, s[48:49]
	v_add_u32_e32 v68, v1, v52
	v_cndmask_b32_e64 v1, 0, v68, s[50:51]
	v_add_u32_e32 v69, v1, v54
	s_or_b64 exec, exec, s[52:53]
	s_and_saveexec_b64 s[2:3], vcc
	s_cbranch_execnz .LBB56_199
	s_branch .LBB56_200
.LBB56_249:
	s_mov_b64 s[2:3], 0
                                        ; implicit-def: $vgpr11
	s_cbranch_execz .LBB56_251
; %bb.250:
	v_mul_u32_u24_e32 v1, 0x5c, v0
	s_barrier
	s_movk_i32 s4, 0x5c
	ds_write_b32 v1, v70
	ds_write2_b32 v1, v2, v3 offset0:1 offset1:2
	ds_write2_b32 v1, v4, v5 offset0:3 offset1:4
	;; [unrolled: 1-line block ×11, first 2 shown]
	v_mul_i32_i24_e32 v2, 0xffffffa8, v0
	v_mov_b32_e32 v1, 0
	v_mad_u32_u24 v10, v0, s4, v2
	s_waitcnt lgkmcnt(0)
	s_barrier
	ds_read2st64_b32 v[2:3], v10 offset1:4
	ds_read2st64_b32 v[4:5], v10 offset0:8 offset1:12
	ds_read2st64_b32 v[6:7], v10 offset0:16 offset1:20
	;; [unrolled: 1-line block ×10, first 2 shown]
	ds_read_b32 v11, v10 offset:22528
	v_mov_b32_e32 v13, v1
	v_lshl_add_u64 v[28:29], s[0:1], 0, v[12:13]
	s_waitcnt lgkmcnt(11)
	v_cvt_f64_i32_e32 v[30:31], v2
	v_cvt_f64_i32_e32 v[2:3], v3
	s_movk_i32 s4, 0x1000
	global_store_dwordx2 v12, v[30:31], s[0:1]
	global_store_dwordx2 v12, v[2:3], s[0:1] offset:2048
	v_add_co_u32_e32 v12, vcc, s4, v28
	s_movk_i32 s4, 0x2000
	s_nop 0
	v_addc_co_u32_e32 v13, vcc, 0, v29, vcc
	v_add_co_u32_e32 v30, vcc, s4, v28
	s_waitcnt lgkmcnt(10)
	v_cvt_f64_i32_e32 v[2:3], v4
	v_addc_co_u32_e32 v31, vcc, 0, v29, vcc
	s_movk_i32 s4, 0x3000
	global_store_dwordx2 v[30:31], v[2:3], off offset:-4096
	v_cvt_f64_i32_e32 v[2:3], v5
	v_add_co_u32_e32 v4, vcc, s4, v28
	global_store_dwordx2 v[12:13], v[2:3], off offset:2048
	s_waitcnt lgkmcnt(9)
	v_cvt_f64_i32_e32 v[2:3], v6
	v_addc_co_u32_e32 v5, vcc, 0, v29, vcc
	s_movk_i32 s4, 0x4000
	global_store_dwordx2 v[30:31], v[2:3], off
	v_cvt_f64_i32_e32 v[2:3], v7
	v_add_co_u32_e32 v6, vcc, s4, v28
	global_store_dwordx2 v[30:31], v[2:3], off offset:2048
	s_waitcnt lgkmcnt(8)
	v_cvt_f64_i32_e32 v[2:3], v8
	v_addc_co_u32_e32 v7, vcc, 0, v29, vcc
	global_store_dwordx2 v[6:7], v[2:3], off offset:-4096
	v_cvt_f64_i32_e32 v[2:3], v9
	s_movk_i32 s4, 0x5000
	global_store_dwordx2 v[4:5], v[2:3], off offset:2048
	s_waitcnt lgkmcnt(7)
	v_cvt_f64_i32_e32 v[2:3], v14
	v_add_co_u32_e32 v4, vcc, s4, v28
	global_store_dwordx2 v[6:7], v[2:3], off
	v_cvt_f64_i32_e32 v[2:3], v15
	v_addc_co_u32_e32 v5, vcc, 0, v29, vcc
	s_movk_i32 s4, 0x6000
	global_store_dwordx2 v[6:7], v[2:3], off offset:2048
	v_add_co_u32_e32 v6, vcc, s4, v28
	s_waitcnt lgkmcnt(6)
	v_cvt_f64_i32_e32 v[2:3], v16
	v_addc_co_u32_e32 v7, vcc, 0, v29, vcc
	global_store_dwordx2 v[6:7], v[2:3], off offset:-4096
	v_cvt_f64_i32_e32 v[2:3], v17
	s_movk_i32 s4, 0x7000
	global_store_dwordx2 v[4:5], v[2:3], off offset:2048
	s_waitcnt lgkmcnt(5)
	v_cvt_f64_i32_e32 v[2:3], v18
	v_add_co_u32_e32 v4, vcc, s4, v28
	global_store_dwordx2 v[6:7], v[2:3], off
	v_cvt_f64_i32_e32 v[2:3], v19
	v_addc_co_u32_e32 v5, vcc, 0, v29, vcc
	s_mov_b32 s4, 0x8000
	global_store_dwordx2 v[6:7], v[2:3], off offset:2048
	v_add_co_u32_e32 v6, vcc, s4, v28
	s_waitcnt lgkmcnt(4)
	v_cvt_f64_i32_e32 v[2:3], v20
	v_addc_co_u32_e32 v7, vcc, 0, v29, vcc
	global_store_dwordx2 v[6:7], v[2:3], off offset:-4096
	v_cvt_f64_i32_e32 v[2:3], v21
	global_store_dwordx2 v[4:5], v[2:3], off offset:2048
	s_waitcnt lgkmcnt(3)
	v_cvt_f64_i32_e32 v[2:3], v22
	global_store_dwordx2 v[6:7], v[2:3], off
	v_cvt_f64_i32_e32 v[2:3], v23
	v_add_co_u32_e32 v4, vcc, 0x9000, v28
	global_store_dwordx2 v[6:7], v[2:3], off offset:2048
	s_waitcnt lgkmcnt(2)
	v_cvt_f64_i32_e32 v[2:3], v24
	v_addc_co_u32_e32 v5, vcc, 0, v29, vcc
	global_store_dwordx2 v[4:5], v[2:3], off
	v_cvt_f64_i32_e32 v[2:3], v25
	global_store_dwordx2 v[4:5], v[2:3], off offset:2048
	v_add_co_u32_e32 v4, vcc, 0xa000, v28
	s_waitcnt lgkmcnt(1)
	v_cvt_f64_i32_e32 v[2:3], v26
	v_addc_co_u32_e32 v5, vcc, 0, v29, vcc
	global_store_dwordx2 v[4:5], v[2:3], off
	v_cvt_f64_i32_e32 v[2:3], v27
	s_or_b64 s[2:3], s[2:3], exec
	global_store_dwordx2 v[4:5], v[2:3], off offset:2048
.LBB56_251:
	s_and_saveexec_b64 s[4:5], s[2:3]
	s_cbranch_execz .LBB56_253
; %bb.252:
	v_lshl_add_u64 v[0:1], v[0:1], 3, s[0:1]
	v_add_co_u32_e32 v0, vcc, 0xb000, v0
	s_waitcnt lgkmcnt(0)
	v_cvt_f64_i32_e32 v[2:3], v11
	v_addc_co_u32_e32 v1, vcc, 0, v1, vcc
	global_store_dwordx2 v[0:1], v[2:3], off
	s_endpgm
.LBB56_253:
	s_endpgm
	.section	.rodata,"a",@progbits
	.p2align	6, 0x0
	.amdhsa_kernel _ZN7rocprim6detail25device_scan_by_key_kernelILNS0_25lookback_scan_determinismE0ELb0ENS0_26wrapped_scan_by_key_configINS_14default_configEiiEEPiN6hipcub22TransformInputIteratorIiNS7_6CastOpIiEES6_lEEPdiNS7_8EqualityENS7_3SumENS0_19lookback_scan_stateINS_5tupleIJibEEELb0ELb1EEEiEEvT2_T3_T4_T5_T6_T7_T8_mmmPKNSG_IJT9_bEEE
		.amdhsa_group_segment_fixed_size 25600
		.amdhsa_private_segment_fixed_size 0
		.amdhsa_kernarg_size 80
		.amdhsa_user_sgpr_count 2
		.amdhsa_user_sgpr_dispatch_ptr 0
		.amdhsa_user_sgpr_queue_ptr 0
		.amdhsa_user_sgpr_kernarg_segment_ptr 1
		.amdhsa_user_sgpr_dispatch_id 0
		.amdhsa_user_sgpr_kernarg_preload_length 0
		.amdhsa_user_sgpr_kernarg_preload_offset 0
		.amdhsa_user_sgpr_private_segment_size 0
		.amdhsa_uses_dynamic_stack 0
		.amdhsa_enable_private_segment 0
		.amdhsa_system_sgpr_workgroup_id_x 1
		.amdhsa_system_sgpr_workgroup_id_y 0
		.amdhsa_system_sgpr_workgroup_id_z 0
		.amdhsa_system_sgpr_workgroup_info 0
		.amdhsa_system_vgpr_workitem_id 0
		.amdhsa_next_free_vgpr 79
		.amdhsa_next_free_sgpr 78
		.amdhsa_accum_offset 80
		.amdhsa_reserve_vcc 1
		.amdhsa_float_round_mode_32 0
		.amdhsa_float_round_mode_16_64 0
		.amdhsa_float_denorm_mode_32 3
		.amdhsa_float_denorm_mode_16_64 3
		.amdhsa_dx10_clamp 1
		.amdhsa_ieee_mode 1
		.amdhsa_fp16_overflow 0
		.amdhsa_tg_split 0
		.amdhsa_exception_fp_ieee_invalid_op 0
		.amdhsa_exception_fp_denorm_src 0
		.amdhsa_exception_fp_ieee_div_zero 0
		.amdhsa_exception_fp_ieee_overflow 0
		.amdhsa_exception_fp_ieee_underflow 0
		.amdhsa_exception_fp_ieee_inexact 0
		.amdhsa_exception_int_div_zero 0
	.end_amdhsa_kernel
	.section	.text._ZN7rocprim6detail25device_scan_by_key_kernelILNS0_25lookback_scan_determinismE0ELb0ENS0_26wrapped_scan_by_key_configINS_14default_configEiiEEPiN6hipcub22TransformInputIteratorIiNS7_6CastOpIiEES6_lEEPdiNS7_8EqualityENS7_3SumENS0_19lookback_scan_stateINS_5tupleIJibEEELb0ELb1EEEiEEvT2_T3_T4_T5_T6_T7_T8_mmmPKNSG_IJT9_bEEE,"axG",@progbits,_ZN7rocprim6detail25device_scan_by_key_kernelILNS0_25lookback_scan_determinismE0ELb0ENS0_26wrapped_scan_by_key_configINS_14default_configEiiEEPiN6hipcub22TransformInputIteratorIiNS7_6CastOpIiEES6_lEEPdiNS7_8EqualityENS7_3SumENS0_19lookback_scan_stateINS_5tupleIJibEEELb0ELb1EEEiEEvT2_T3_T4_T5_T6_T7_T8_mmmPKNSG_IJT9_bEEE,comdat
.Lfunc_end56:
	.size	_ZN7rocprim6detail25device_scan_by_key_kernelILNS0_25lookback_scan_determinismE0ELb0ENS0_26wrapped_scan_by_key_configINS_14default_configEiiEEPiN6hipcub22TransformInputIteratorIiNS7_6CastOpIiEES6_lEEPdiNS7_8EqualityENS7_3SumENS0_19lookback_scan_stateINS_5tupleIJibEEELb0ELb1EEEiEEvT2_T3_T4_T5_T6_T7_T8_mmmPKNSG_IJT9_bEEE, .Lfunc_end56-_ZN7rocprim6detail25device_scan_by_key_kernelILNS0_25lookback_scan_determinismE0ELb0ENS0_26wrapped_scan_by_key_configINS_14default_configEiiEEPiN6hipcub22TransformInputIteratorIiNS7_6CastOpIiEES6_lEEPdiNS7_8EqualityENS7_3SumENS0_19lookback_scan_stateINS_5tupleIJibEEELb0ELb1EEEiEEvT2_T3_T4_T5_T6_T7_T8_mmmPKNSG_IJT9_bEEE
                                        ; -- End function
	.section	.AMDGPU.csdata,"",@progbits
; Kernel info:
; codeLenInByte = 15268
; NumSgprs: 84
; NumVgprs: 79
; NumAgprs: 0
; TotalNumVgprs: 79
; ScratchSize: 0
; MemoryBound: 0
; FloatMode: 240
; IeeeMode: 1
; LDSByteSize: 25600 bytes/workgroup (compile time only)
; SGPRBlocks: 10
; VGPRBlocks: 9
; NumSGPRsForWavesPerEU: 84
; NumVGPRsForWavesPerEU: 79
; AccumOffset: 80
; Occupancy: 2
; WaveLimiterHint : 1
; COMPUTE_PGM_RSRC2:SCRATCH_EN: 0
; COMPUTE_PGM_RSRC2:USER_SGPR: 2
; COMPUTE_PGM_RSRC2:TRAP_HANDLER: 0
; COMPUTE_PGM_RSRC2:TGID_X_EN: 1
; COMPUTE_PGM_RSRC2:TGID_Y_EN: 0
; COMPUTE_PGM_RSRC2:TGID_Z_EN: 0
; COMPUTE_PGM_RSRC2:TIDIG_COMP_CNT: 0
; COMPUTE_PGM_RSRC3_GFX90A:ACCUM_OFFSET: 19
; COMPUTE_PGM_RSRC3_GFX90A:TG_SPLIT: 0
	.section	.text._ZN7rocprim6detail25device_scan_by_key_kernelILNS0_25lookback_scan_determinismE0ELb0ENS0_26wrapped_scan_by_key_configINS_14default_configEiiEEPiN6hipcub22TransformInputIteratorIsNS7_6CastOpIsEEPslEEPfsNS7_8EqualityENS7_3SumENS0_19lookback_scan_stateINS_5tupleIJibEEELb1ELb1EEEiEEvT2_T3_T4_T5_T6_T7_T8_mmmPKNSH_IJT9_bEEE,"axG",@progbits,_ZN7rocprim6detail25device_scan_by_key_kernelILNS0_25lookback_scan_determinismE0ELb0ENS0_26wrapped_scan_by_key_configINS_14default_configEiiEEPiN6hipcub22TransformInputIteratorIsNS7_6CastOpIsEEPslEEPfsNS7_8EqualityENS7_3SumENS0_19lookback_scan_stateINS_5tupleIJibEEELb1ELb1EEEiEEvT2_T3_T4_T5_T6_T7_T8_mmmPKNSH_IJT9_bEEE,comdat
	.protected	_ZN7rocprim6detail25device_scan_by_key_kernelILNS0_25lookback_scan_determinismE0ELb0ENS0_26wrapped_scan_by_key_configINS_14default_configEiiEEPiN6hipcub22TransformInputIteratorIsNS7_6CastOpIsEEPslEEPfsNS7_8EqualityENS7_3SumENS0_19lookback_scan_stateINS_5tupleIJibEEELb1ELb1EEEiEEvT2_T3_T4_T5_T6_T7_T8_mmmPKNSH_IJT9_bEEE ; -- Begin function _ZN7rocprim6detail25device_scan_by_key_kernelILNS0_25lookback_scan_determinismE0ELb0ENS0_26wrapped_scan_by_key_configINS_14default_configEiiEEPiN6hipcub22TransformInputIteratorIsNS7_6CastOpIsEEPslEEPfsNS7_8EqualityENS7_3SumENS0_19lookback_scan_stateINS_5tupleIJibEEELb1ELb1EEEiEEvT2_T3_T4_T5_T6_T7_T8_mmmPKNSH_IJT9_bEEE
	.globl	_ZN7rocprim6detail25device_scan_by_key_kernelILNS0_25lookback_scan_determinismE0ELb0ENS0_26wrapped_scan_by_key_configINS_14default_configEiiEEPiN6hipcub22TransformInputIteratorIsNS7_6CastOpIsEEPslEEPfsNS7_8EqualityENS7_3SumENS0_19lookback_scan_stateINS_5tupleIJibEEELb1ELb1EEEiEEvT2_T3_T4_T5_T6_T7_T8_mmmPKNSH_IJT9_bEEE
	.p2align	8
	.type	_ZN7rocprim6detail25device_scan_by_key_kernelILNS0_25lookback_scan_determinismE0ELb0ENS0_26wrapped_scan_by_key_configINS_14default_configEiiEEPiN6hipcub22TransformInputIteratorIsNS7_6CastOpIsEEPslEEPfsNS7_8EqualityENS7_3SumENS0_19lookback_scan_stateINS_5tupleIJibEEELb1ELb1EEEiEEvT2_T3_T4_T5_T6_T7_T8_mmmPKNSH_IJT9_bEEE,@function
_ZN7rocprim6detail25device_scan_by_key_kernelILNS0_25lookback_scan_determinismE0ELb0ENS0_26wrapped_scan_by_key_configINS_14default_configEiiEEPiN6hipcub22TransformInputIteratorIsNS7_6CastOpIsEEPslEEPfsNS7_8EqualityENS7_3SumENS0_19lookback_scan_stateINS_5tupleIJibEEELb1ELb1EEEiEEvT2_T3_T4_T5_T6_T7_T8_mmmPKNSH_IJT9_bEEE: ; @_ZN7rocprim6detail25device_scan_by_key_kernelILNS0_25lookback_scan_determinismE0ELb0ENS0_26wrapped_scan_by_key_configINS_14default_configEiiEEPiN6hipcub22TransformInputIteratorIsNS7_6CastOpIsEEPslEEPfsNS7_8EqualityENS7_3SumENS0_19lookback_scan_stateINS_5tupleIJibEEELb1ELb1EEEiEEvT2_T3_T4_T5_T6_T7_T8_mmmPKNSH_IJT9_bEEE
; %bb.0:
	s_endpgm
	.section	.rodata,"a",@progbits
	.p2align	6, 0x0
	.amdhsa_kernel _ZN7rocprim6detail25device_scan_by_key_kernelILNS0_25lookback_scan_determinismE0ELb0ENS0_26wrapped_scan_by_key_configINS_14default_configEiiEEPiN6hipcub22TransformInputIteratorIsNS7_6CastOpIsEEPslEEPfsNS7_8EqualityENS7_3SumENS0_19lookback_scan_stateINS_5tupleIJibEEELb1ELb1EEEiEEvT2_T3_T4_T5_T6_T7_T8_mmmPKNSH_IJT9_bEEE
		.amdhsa_group_segment_fixed_size 0
		.amdhsa_private_segment_fixed_size 0
		.amdhsa_kernarg_size 80
		.amdhsa_user_sgpr_count 2
		.amdhsa_user_sgpr_dispatch_ptr 0
		.amdhsa_user_sgpr_queue_ptr 0
		.amdhsa_user_sgpr_kernarg_segment_ptr 1
		.amdhsa_user_sgpr_dispatch_id 0
		.amdhsa_user_sgpr_kernarg_preload_length 0
		.amdhsa_user_sgpr_kernarg_preload_offset 0
		.amdhsa_user_sgpr_private_segment_size 0
		.amdhsa_uses_dynamic_stack 0
		.amdhsa_enable_private_segment 0
		.amdhsa_system_sgpr_workgroup_id_x 1
		.amdhsa_system_sgpr_workgroup_id_y 0
		.amdhsa_system_sgpr_workgroup_id_z 0
		.amdhsa_system_sgpr_workgroup_info 0
		.amdhsa_system_vgpr_workitem_id 0
		.amdhsa_next_free_vgpr 1
		.amdhsa_next_free_sgpr 0
		.amdhsa_accum_offset 4
		.amdhsa_reserve_vcc 0
		.amdhsa_float_round_mode_32 0
		.amdhsa_float_round_mode_16_64 0
		.amdhsa_float_denorm_mode_32 3
		.amdhsa_float_denorm_mode_16_64 3
		.amdhsa_dx10_clamp 1
		.amdhsa_ieee_mode 1
		.amdhsa_fp16_overflow 0
		.amdhsa_tg_split 0
		.amdhsa_exception_fp_ieee_invalid_op 0
		.amdhsa_exception_fp_denorm_src 0
		.amdhsa_exception_fp_ieee_div_zero 0
		.amdhsa_exception_fp_ieee_overflow 0
		.amdhsa_exception_fp_ieee_underflow 0
		.amdhsa_exception_fp_ieee_inexact 0
		.amdhsa_exception_int_div_zero 0
	.end_amdhsa_kernel
	.section	.text._ZN7rocprim6detail25device_scan_by_key_kernelILNS0_25lookback_scan_determinismE0ELb0ENS0_26wrapped_scan_by_key_configINS_14default_configEiiEEPiN6hipcub22TransformInputIteratorIsNS7_6CastOpIsEEPslEEPfsNS7_8EqualityENS7_3SumENS0_19lookback_scan_stateINS_5tupleIJibEEELb1ELb1EEEiEEvT2_T3_T4_T5_T6_T7_T8_mmmPKNSH_IJT9_bEEE,"axG",@progbits,_ZN7rocprim6detail25device_scan_by_key_kernelILNS0_25lookback_scan_determinismE0ELb0ENS0_26wrapped_scan_by_key_configINS_14default_configEiiEEPiN6hipcub22TransformInputIteratorIsNS7_6CastOpIsEEPslEEPfsNS7_8EqualityENS7_3SumENS0_19lookback_scan_stateINS_5tupleIJibEEELb1ELb1EEEiEEvT2_T3_T4_T5_T6_T7_T8_mmmPKNSH_IJT9_bEEE,comdat
.Lfunc_end57:
	.size	_ZN7rocprim6detail25device_scan_by_key_kernelILNS0_25lookback_scan_determinismE0ELb0ENS0_26wrapped_scan_by_key_configINS_14default_configEiiEEPiN6hipcub22TransformInputIteratorIsNS7_6CastOpIsEEPslEEPfsNS7_8EqualityENS7_3SumENS0_19lookback_scan_stateINS_5tupleIJibEEELb1ELb1EEEiEEvT2_T3_T4_T5_T6_T7_T8_mmmPKNSH_IJT9_bEEE, .Lfunc_end57-_ZN7rocprim6detail25device_scan_by_key_kernelILNS0_25lookback_scan_determinismE0ELb0ENS0_26wrapped_scan_by_key_configINS_14default_configEiiEEPiN6hipcub22TransformInputIteratorIsNS7_6CastOpIsEEPslEEPfsNS7_8EqualityENS7_3SumENS0_19lookback_scan_stateINS_5tupleIJibEEELb1ELb1EEEiEEvT2_T3_T4_T5_T6_T7_T8_mmmPKNSH_IJT9_bEEE
                                        ; -- End function
	.section	.AMDGPU.csdata,"",@progbits
; Kernel info:
; codeLenInByte = 4
; NumSgprs: 6
; NumVgprs: 0
; NumAgprs: 0
; TotalNumVgprs: 0
; ScratchSize: 0
; MemoryBound: 0
; FloatMode: 240
; IeeeMode: 1
; LDSByteSize: 0 bytes/workgroup (compile time only)
; SGPRBlocks: 0
; VGPRBlocks: 0
; NumSGPRsForWavesPerEU: 6
; NumVGPRsForWavesPerEU: 1
; AccumOffset: 4
; Occupancy: 8
; WaveLimiterHint : 0
; COMPUTE_PGM_RSRC2:SCRATCH_EN: 0
; COMPUTE_PGM_RSRC2:USER_SGPR: 2
; COMPUTE_PGM_RSRC2:TRAP_HANDLER: 0
; COMPUTE_PGM_RSRC2:TGID_X_EN: 1
; COMPUTE_PGM_RSRC2:TGID_Y_EN: 0
; COMPUTE_PGM_RSRC2:TGID_Z_EN: 0
; COMPUTE_PGM_RSRC2:TIDIG_COMP_CNT: 0
; COMPUTE_PGM_RSRC3_GFX90A:ACCUM_OFFSET: 0
; COMPUTE_PGM_RSRC3_GFX90A:TG_SPLIT: 0
	.section	.text._ZN7rocprim6detail25device_scan_by_key_kernelILNS0_25lookback_scan_determinismE0ELb0ENS0_26wrapped_scan_by_key_configINS_14default_configEiiEEPiN6hipcub22TransformInputIteratorIsNS7_6CastOpIsEEPslEEPfsNS7_8EqualityENS7_3SumENS0_19lookback_scan_stateINS_5tupleIJibEEELb0ELb1EEEiEEvT2_T3_T4_T5_T6_T7_T8_mmmPKNSH_IJT9_bEEE,"axG",@progbits,_ZN7rocprim6detail25device_scan_by_key_kernelILNS0_25lookback_scan_determinismE0ELb0ENS0_26wrapped_scan_by_key_configINS_14default_configEiiEEPiN6hipcub22TransformInputIteratorIsNS7_6CastOpIsEEPslEEPfsNS7_8EqualityENS7_3SumENS0_19lookback_scan_stateINS_5tupleIJibEEELb0ELb1EEEiEEvT2_T3_T4_T5_T6_T7_T8_mmmPKNSH_IJT9_bEEE,comdat
	.protected	_ZN7rocprim6detail25device_scan_by_key_kernelILNS0_25lookback_scan_determinismE0ELb0ENS0_26wrapped_scan_by_key_configINS_14default_configEiiEEPiN6hipcub22TransformInputIteratorIsNS7_6CastOpIsEEPslEEPfsNS7_8EqualityENS7_3SumENS0_19lookback_scan_stateINS_5tupleIJibEEELb0ELb1EEEiEEvT2_T3_T4_T5_T6_T7_T8_mmmPKNSH_IJT9_bEEE ; -- Begin function _ZN7rocprim6detail25device_scan_by_key_kernelILNS0_25lookback_scan_determinismE0ELb0ENS0_26wrapped_scan_by_key_configINS_14default_configEiiEEPiN6hipcub22TransformInputIteratorIsNS7_6CastOpIsEEPslEEPfsNS7_8EqualityENS7_3SumENS0_19lookback_scan_stateINS_5tupleIJibEEELb0ELb1EEEiEEvT2_T3_T4_T5_T6_T7_T8_mmmPKNSH_IJT9_bEEE
	.globl	_ZN7rocprim6detail25device_scan_by_key_kernelILNS0_25lookback_scan_determinismE0ELb0ENS0_26wrapped_scan_by_key_configINS_14default_configEiiEEPiN6hipcub22TransformInputIteratorIsNS7_6CastOpIsEEPslEEPfsNS7_8EqualityENS7_3SumENS0_19lookback_scan_stateINS_5tupleIJibEEELb0ELb1EEEiEEvT2_T3_T4_T5_T6_T7_T8_mmmPKNSH_IJT9_bEEE
	.p2align	8
	.type	_ZN7rocprim6detail25device_scan_by_key_kernelILNS0_25lookback_scan_determinismE0ELb0ENS0_26wrapped_scan_by_key_configINS_14default_configEiiEEPiN6hipcub22TransformInputIteratorIsNS7_6CastOpIsEEPslEEPfsNS7_8EqualityENS7_3SumENS0_19lookback_scan_stateINS_5tupleIJibEEELb0ELb1EEEiEEvT2_T3_T4_T5_T6_T7_T8_mmmPKNSH_IJT9_bEEE,@function
_ZN7rocprim6detail25device_scan_by_key_kernelILNS0_25lookback_scan_determinismE0ELb0ENS0_26wrapped_scan_by_key_configINS_14default_configEiiEEPiN6hipcub22TransformInputIteratorIsNS7_6CastOpIsEEPslEEPfsNS7_8EqualityENS7_3SumENS0_19lookback_scan_stateINS_5tupleIJibEEELb0ELb1EEEiEEvT2_T3_T4_T5_T6_T7_T8_mmmPKNSH_IJT9_bEEE: ; @_ZN7rocprim6detail25device_scan_by_key_kernelILNS0_25lookback_scan_determinismE0ELb0ENS0_26wrapped_scan_by_key_configINS_14default_configEiiEEPiN6hipcub22TransformInputIteratorIsNS7_6CastOpIsEEPslEEPfsNS7_8EqualityENS7_3SumENS0_19lookback_scan_stateINS_5tupleIJibEEELb0ELb1EEEiEEvT2_T3_T4_T5_T6_T7_T8_mmmPKNSH_IJT9_bEEE
; %bb.0:
	s_load_dwordx4 s[4:7], s[0:1], 0x0
	s_load_dwordx8 s[68:75], s[0:1], 0x28
	s_load_dwordx2 s[76:77], s[0:1], 0x48
	s_mul_i32 s8, s2, 0x1700
	s_mov_b32 s9, 0
	s_lshl_b64 s[66:67], s[8:9], 2
	s_waitcnt lgkmcnt(0)
	s_add_u32 s54, s4, s66
	s_addc_u32 s55, s5, s67
	s_lshl_b64 s[4:5], s[8:9], 1
	s_add_u32 s52, s6, s4
	s_addc_u32 s53, s7, s5
	s_add_u32 s4, s2, s72
	s_addc_u32 s5, 0, s73
	s_add_u32 s8, s74, -1
	s_addc_u32 s9, s75, -1
	v_mov_b64_e32 v[2:3], s[8:9]
	v_cmp_ge_u64_e64 s[64:65], s[4:5], v[2:3]
	s_mov_b64 s[6:7], -1
	s_and_b64 vcc, exec, s[64:65]
	s_mul_i32 s33, s8, 0xffffe900
	v_lshlrev_b32_e32 v10, 2, v0
	s_cbranch_vccz .LBB58_71
; %bb.1:
	s_load_dword s56, s[54:55], 0x0
	s_add_i32 s3, s33, s70
	v_mov_b32_e32 v11, 0
	v_lshl_add_u64 v[2:3], s[54:55], 0, v[10:11]
	v_cmp_gt_u32_e64 s[4:5], s3, v0
	s_waitcnt lgkmcnt(0)
	v_mov_b32_e32 v1, s56
	s_and_saveexec_b64 s[6:7], s[4:5]
	s_cbranch_execz .LBB58_3
; %bb.2:
	global_load_dword v1, v[2:3], off
.LBB58_3:
	s_or_b64 exec, exec, s[6:7]
	v_or_b32_e32 v4, 0x100, v0
	v_cmp_gt_u32_e64 s[6:7], s3, v4
	v_mov_b32_e32 v4, s56
	s_and_saveexec_b64 s[8:9], s[6:7]
	s_cbranch_execz .LBB58_5
; %bb.4:
	global_load_dword v4, v[2:3], off offset:1024
.LBB58_5:
	s_or_b64 exec, exec, s[8:9]
	v_or_b32_e32 v5, 0x200, v0
	v_cmp_gt_u32_e64 s[8:9], s3, v5
	v_mov_b32_e32 v5, s56
	s_and_saveexec_b64 s[10:11], s[8:9]
	s_cbranch_execz .LBB58_7
; %bb.6:
	global_load_dword v5, v[2:3], off offset:2048
.LBB58_7:
	;; [unrolled: 9-line block ×3, first 2 shown]
	s_or_b64 exec, exec, s[12:13]
	v_or_b32_e32 v7, 0x400, v0
	v_cmp_gt_u32_e64 s[12:13], s3, v7
	v_mov_b32_e32 v7, s56
	s_and_saveexec_b64 s[14:15], s[12:13]
	s_cbranch_execz .LBB58_11
; %bb.10:
	v_add_co_u32_e32 v8, vcc, 0x1000, v2
	s_nop 1
	v_addc_co_u32_e32 v9, vcc, 0, v3, vcc
	global_load_dword v7, v[8:9], off
.LBB58_11:
	s_or_b64 exec, exec, s[14:15]
	v_or_b32_e32 v8, 0x500, v0
	v_cmp_gt_u32_e64 s[14:15], s3, v8
	v_mov_b32_e32 v8, s56
	s_and_saveexec_b64 s[16:17], s[14:15]
	s_cbranch_execz .LBB58_13
; %bb.12:
	v_add_co_u32_e32 v8, vcc, 0x1000, v2
	s_nop 1
	v_addc_co_u32_e32 v9, vcc, 0, v3, vcc
	global_load_dword v8, v[8:9], off offset:1024
.LBB58_13:
	s_or_b64 exec, exec, s[16:17]
	v_or_b32_e32 v9, 0x600, v0
	v_cmp_gt_u32_e64 s[16:17], s3, v9
	v_mov_b32_e32 v9, s56
	s_and_saveexec_b64 s[18:19], s[16:17]
	s_cbranch_execz .LBB58_15
; %bb.14:
	v_add_co_u32_e32 v12, vcc, 0x1000, v2
	s_nop 1
	v_addc_co_u32_e32 v13, vcc, 0, v3, vcc
	global_load_dword v9, v[12:13], off offset:2048
.LBB58_15:
	s_or_b64 exec, exec, s[18:19]
	v_or_b32_e32 v11, 0x700, v0
	v_cmp_gt_u32_e64 s[18:19], s3, v11
	v_mov_b32_e32 v11, s56
	s_and_saveexec_b64 s[20:21], s[18:19]
	s_cbranch_execz .LBB58_17
; %bb.16:
	v_add_co_u32_e32 v12, vcc, 0x1000, v2
	s_nop 1
	v_addc_co_u32_e32 v13, vcc, 0, v3, vcc
	global_load_dword v11, v[12:13], off offset:3072
.LBB58_17:
	s_or_b64 exec, exec, s[20:21]
	v_or_b32_e32 v12, 0x800, v0
	v_cmp_gt_u32_e64 s[20:21], s3, v12
	v_mov_b32_e32 v12, s56
	s_and_saveexec_b64 s[22:23], s[20:21]
	s_cbranch_execz .LBB58_19
; %bb.18:
	v_add_co_u32_e32 v12, vcc, 0x2000, v2
	s_nop 1
	v_addc_co_u32_e32 v13, vcc, 0, v3, vcc
	global_load_dword v12, v[12:13], off
.LBB58_19:
	s_or_b64 exec, exec, s[22:23]
	v_or_b32_e32 v13, 0x900, v0
	v_cmp_gt_u32_e64 s[22:23], s3, v13
	v_mov_b32_e32 v13, s56
	s_and_saveexec_b64 s[24:25], s[22:23]
	s_cbranch_execz .LBB58_21
; %bb.20:
	v_add_co_u32_e32 v14, vcc, 0x2000, v2
	s_nop 1
	v_addc_co_u32_e32 v15, vcc, 0, v3, vcc
	global_load_dword v13, v[14:15], off offset:1024
.LBB58_21:
	s_or_b64 exec, exec, s[24:25]
	v_or_b32_e32 v14, 0xa00, v0
	v_cmp_gt_u32_e64 s[24:25], s3, v14
	v_mov_b32_e32 v14, s56
	s_and_saveexec_b64 s[26:27], s[24:25]
	s_cbranch_execz .LBB58_23
; %bb.22:
	v_add_co_u32_e32 v14, vcc, 0x2000, v2
	s_nop 1
	v_addc_co_u32_e32 v15, vcc, 0, v3, vcc
	global_load_dword v14, v[14:15], off offset:2048
.LBB58_23:
	s_or_b64 exec, exec, s[26:27]
	v_or_b32_e32 v15, 0xb00, v0
	v_cmp_gt_u32_e64 s[26:27], s3, v15
	v_mov_b32_e32 v15, s56
	s_and_saveexec_b64 s[28:29], s[26:27]
	s_cbranch_execz .LBB58_25
; %bb.24:
	v_add_co_u32_e32 v16, vcc, 0x2000, v2
	s_nop 1
	v_addc_co_u32_e32 v17, vcc, 0, v3, vcc
	global_load_dword v15, v[16:17], off offset:3072
.LBB58_25:
	;; [unrolled: 48-line block ×4, first 2 shown]
	s_or_b64 exec, exec, s[46:47]
	v_or_b32_e32 v24, 0x1400, v0
	v_cmp_gt_u32_e64 s[46:47], s3, v24
	v_mov_b32_e32 v24, s56
	s_and_saveexec_b64 s[48:49], s[46:47]
	s_cbranch_execz .LBB58_43
; %bb.42:
	v_add_co_u32_e32 v24, vcc, 0x5000, v2
	s_nop 1
	v_addc_co_u32_e32 v25, vcc, 0, v3, vcc
	global_load_dword v24, v[24:25], off
.LBB58_43:
	s_or_b64 exec, exec, s[48:49]
	v_or_b32_e32 v25, 0x1500, v0
	v_cmp_gt_u32_e64 s[48:49], s3, v25
	v_mov_b32_e32 v25, s56
	s_and_saveexec_b64 s[50:51], s[48:49]
	s_cbranch_execz .LBB58_45
; %bb.44:
	v_add_co_u32_e32 v26, vcc, 0x5000, v2
	s_nop 1
	v_addc_co_u32_e32 v27, vcc, 0, v3, vcc
	global_load_dword v25, v[26:27], off offset:1024
.LBB58_45:
	s_or_b64 exec, exec, s[50:51]
	v_or_b32_e32 v26, 0x1600, v0
	v_cmp_gt_u32_e64 s[50:51], s3, v26
	v_mov_b32_e32 v26, s56
	s_and_saveexec_b64 s[56:57], s[50:51]
	s_cbranch_execz .LBB58_47
; %bb.46:
	v_add_co_u32_e32 v2, vcc, 0x5000, v2
	s_nop 1
	v_addc_co_u32_e32 v3, vcc, 0, v3, vcc
	global_load_dword v26, v[2:3], off offset:2048
.LBB58_47:
	s_or_b64 exec, exec, s[56:57]
	s_movk_i32 s56, 0x58
	s_waitcnt vmcnt(0)
	ds_write2st64_b32 v10, v1, v4 offset1:4
	ds_write2st64_b32 v10, v5, v6 offset0:8 offset1:12
	ds_write2st64_b32 v10, v7, v8 offset0:16 offset1:20
	;; [unrolled: 1-line block ×10, first 2 shown]
	ds_write_b32 v10, v26 offset:22528
	v_mad_u32_u24 v1, v0, s56, v10
	s_sub_u32 s56, 0, s2
	s_subb_u32 s57, 0, 0
	s_cmp_eq_u64 s[56:57], s[72:73]
	s_cselect_b32 s56, 0, -4
	s_cselect_b32 s57, 0, -1
	s_add_u32 s56, s54, s56
	s_addc_u32 s57, s55, s57
	s_waitcnt lgkmcnt(0)
	s_barrier
	ds_read2_b32 v[70:71], v1 offset1:1
	ds_read2_b32 v[68:69], v1 offset0:2 offset1:3
	ds_read2_b32 v[66:67], v1 offset0:4 offset1:5
	;; [unrolled: 1-line block ×10, first 2 shown]
	ds_read_b32 v11, v1 offset:88
	s_load_dword s56, s[56:57], 0x0
	s_movk_i32 s57, 0xffa8
	v_mad_i32_i24 v2, v0, s57, v1
	v_cmp_ne_u32_e32 vcc, 0, v0
	s_waitcnt lgkmcnt(0)
	ds_write_b32 v2, v11 offset:23552
	v_mov_b32_e32 v72, s56
	s_waitcnt lgkmcnt(0)
	s_barrier
	s_and_saveexec_b64 s[56:57], vcc
	s_cbranch_execz .LBB58_49
; %bb.48:
	v_mul_i32_i24_e32 v2, 0xffffffa8, v0
	v_add_u32_e32 v2, v1, v2
	ds_read_b32 v72, v2 offset:23548
.LBB58_49:
	s_or_b64 exec, exec, s[56:57]
	v_lshlrev_b32_e32 v2, 1, v0
	v_mov_b32_e32 v3, 0
	v_lshl_add_u64 v[2:3], s[52:53], 0, v[2:3]
	s_waitcnt lgkmcnt(0)
	s_barrier
	s_waitcnt lgkmcnt(0)
                                        ; implicit-def: $vgpr12
	s_and_saveexec_b64 s[56:57], s[4:5]
	s_cbranch_execz .LBB58_72
; %bb.50:
	global_load_sshort v12, v[2:3], off
	s_or_b64 exec, exec, s[56:57]
                                        ; implicit-def: $vgpr13
	s_and_saveexec_b64 s[4:5], s[6:7]
	s_cbranch_execnz .LBB58_73
.LBB58_51:
	s_or_b64 exec, exec, s[4:5]
                                        ; implicit-def: $vgpr14
	s_and_saveexec_b64 s[4:5], s[8:9]
	s_cbranch_execz .LBB58_74
.LBB58_52:
	global_load_sshort v14, v[2:3], off offset:1024
	s_or_b64 exec, exec, s[4:5]
                                        ; implicit-def: $vgpr15
	s_and_saveexec_b64 s[4:5], s[10:11]
	s_cbranch_execnz .LBB58_75
.LBB58_53:
	s_or_b64 exec, exec, s[4:5]
                                        ; implicit-def: $vgpr16
	s_and_saveexec_b64 s[4:5], s[12:13]
	s_cbranch_execz .LBB58_76
.LBB58_54:
	global_load_sshort v16, v[2:3], off offset:2048
	s_or_b64 exec, exec, s[4:5]
                                        ; implicit-def: $vgpr17
	s_and_saveexec_b64 s[4:5], s[14:15]
	s_cbranch_execnz .LBB58_77
.LBB58_55:
	s_or_b64 exec, exec, s[4:5]
                                        ; implicit-def: $vgpr18
	s_and_saveexec_b64 s[4:5], s[16:17]
	s_cbranch_execz .LBB58_78
.LBB58_56:
	global_load_sshort v18, v[2:3], off offset:3072
	s_or_b64 exec, exec, s[4:5]
                                        ; implicit-def: $vgpr19
	s_and_saveexec_b64 s[4:5], s[18:19]
	s_cbranch_execnz .LBB58_79
.LBB58_57:
	s_or_b64 exec, exec, s[4:5]
                                        ; implicit-def: $vgpr20
	s_and_saveexec_b64 s[4:5], s[20:21]
	s_cbranch_execz .LBB58_80
.LBB58_58:
	v_add_co_u32_e32 v20, vcc, 0x1000, v2
	s_nop 1
	v_addc_co_u32_e32 v21, vcc, 0, v3, vcc
	global_load_sshort v20, v[20:21], off
	s_or_b64 exec, exec, s[4:5]
                                        ; implicit-def: $vgpr21
	s_and_saveexec_b64 s[4:5], s[22:23]
	s_cbranch_execnz .LBB58_81
.LBB58_59:
	s_or_b64 exec, exec, s[4:5]
                                        ; implicit-def: $vgpr22
	s_and_saveexec_b64 s[4:5], s[24:25]
	s_cbranch_execz .LBB58_82
.LBB58_60:
	v_add_co_u32_e32 v22, vcc, 0x1000, v2
	s_nop 1
	v_addc_co_u32_e32 v23, vcc, 0, v3, vcc
	global_load_sshort v22, v[22:23], off offset:1024
	s_or_b64 exec, exec, s[4:5]
                                        ; implicit-def: $vgpr23
	s_and_saveexec_b64 s[4:5], s[26:27]
	s_cbranch_execnz .LBB58_83
.LBB58_61:
	s_or_b64 exec, exec, s[4:5]
                                        ; implicit-def: $vgpr24
	s_and_saveexec_b64 s[4:5], s[28:29]
	s_cbranch_execz .LBB58_84
.LBB58_62:
	v_add_co_u32_e32 v24, vcc, 0x1000, v2
	s_nop 1
	v_addc_co_u32_e32 v25, vcc, 0, v3, vcc
	global_load_sshort v24, v[24:25], off offset:2048
	s_or_b64 exec, exec, s[4:5]
                                        ; implicit-def: $vgpr25
	s_and_saveexec_b64 s[4:5], s[30:31]
	s_cbranch_execnz .LBB58_85
.LBB58_63:
	s_or_b64 exec, exec, s[4:5]
                                        ; implicit-def: $vgpr26
	s_and_saveexec_b64 s[4:5], s[34:35]
	s_cbranch_execz .LBB58_86
.LBB58_64:
	v_add_co_u32_e32 v26, vcc, 0x1000, v2
	s_nop 1
	v_addc_co_u32_e32 v27, vcc, 0, v3, vcc
	global_load_sshort v26, v[26:27], off offset:3072
	s_or_b64 exec, exec, s[4:5]
                                        ; implicit-def: $vgpr27
	s_and_saveexec_b64 s[4:5], s[36:37]
	s_cbranch_execnz .LBB58_87
.LBB58_65:
	s_or_b64 exec, exec, s[4:5]
                                        ; implicit-def: $vgpr28
	s_and_saveexec_b64 s[4:5], s[38:39]
	s_cbranch_execz .LBB58_88
.LBB58_66:
	v_add_co_u32_e32 v28, vcc, 0x2000, v2
	s_nop 1
	v_addc_co_u32_e32 v29, vcc, 0, v3, vcc
	global_load_sshort v28, v[28:29], off
	s_or_b64 exec, exec, s[4:5]
                                        ; implicit-def: $vgpr29
	s_and_saveexec_b64 s[4:5], s[40:41]
	s_cbranch_execnz .LBB58_89
.LBB58_67:
	s_or_b64 exec, exec, s[4:5]
                                        ; implicit-def: $vgpr30
	s_and_saveexec_b64 s[4:5], s[42:43]
	s_cbranch_execz .LBB58_90
.LBB58_68:
	v_add_co_u32_e32 v30, vcc, 0x2000, v2
	s_nop 1
	v_addc_co_u32_e32 v31, vcc, 0, v3, vcc
	global_load_sshort v30, v[30:31], off offset:1024
	s_or_b64 exec, exec, s[4:5]
                                        ; implicit-def: $vgpr31
	s_and_saveexec_b64 s[4:5], s[44:45]
	s_cbranch_execnz .LBB58_91
.LBB58_69:
	s_or_b64 exec, exec, s[4:5]
                                        ; implicit-def: $vgpr32
	s_and_saveexec_b64 s[4:5], s[46:47]
	s_cbranch_execz .LBB58_92
.LBB58_70:
	v_add_co_u32_e32 v32, vcc, 0x2000, v2
	s_nop 1
	v_addc_co_u32_e32 v33, vcc, 0, v3, vcc
	global_load_sshort v32, v[32:33], off offset:2048
	s_or_b64 exec, exec, s[4:5]
                                        ; implicit-def: $vgpr33
	s_and_saveexec_b64 s[4:5], s[48:49]
	s_cbranch_execz .LBB58_94
	s_branch .LBB58_93
.LBB58_71:
	s_mov_b64 s[12:13], 0
                                        ; implicit-def: $sgpr10_sgpr11
                                        ; implicit-def: $vgpr3
                                        ; implicit-def: $vgpr12_vgpr13
                                        ; implicit-def: $vgpr14_vgpr15
                                        ; implicit-def: $vgpr16_vgpr17
                                        ; implicit-def: $vgpr18_vgpr19
                                        ; implicit-def: $vgpr20_vgpr21
                                        ; implicit-def: $vgpr22_vgpr23
                                        ; implicit-def: $vgpr24_vgpr25
                                        ; implicit-def: $vgpr26_vgpr27
                                        ; implicit-def: $vgpr28_vgpr29
                                        ; implicit-def: $vgpr30_vgpr31
                                        ; implicit-def: $vgpr32_vgpr33
                                        ; implicit-def: $vgpr34_vgpr35
                                        ; implicit-def: $vgpr36_vgpr37
                                        ; implicit-def: $vgpr38_vgpr39
                                        ; implicit-def: $vgpr40_vgpr41
                                        ; implicit-def: $vgpr42_vgpr43
                                        ; implicit-def: $vgpr44_vgpr45
                                        ; implicit-def: $vgpr46_vgpr47
                                        ; implicit-def: $vgpr48_vgpr49
                                        ; implicit-def: $vgpr50_vgpr51
                                        ; implicit-def: $vgpr52_vgpr53
                                        ; implicit-def: $vgpr54_vgpr55
                                        ; implicit-def: $sgpr8_sgpr9
	s_and_b64 vcc, exec, s[6:7]
	v_cmp_ne_u32_e64 s[4:5], 0, v0
	s_cbranch_vccz .LBB58_144
	s_branch .LBB58_141
.LBB58_72:
	s_or_b64 exec, exec, s[56:57]
                                        ; implicit-def: $vgpr13
	s_and_saveexec_b64 s[4:5], s[6:7]
	s_cbranch_execz .LBB58_51
.LBB58_73:
	global_load_sshort v13, v[2:3], off offset:512
	s_or_b64 exec, exec, s[4:5]
                                        ; implicit-def: $vgpr14
	s_and_saveexec_b64 s[4:5], s[8:9]
	s_cbranch_execnz .LBB58_52
.LBB58_74:
	s_or_b64 exec, exec, s[4:5]
                                        ; implicit-def: $vgpr15
	s_and_saveexec_b64 s[4:5], s[10:11]
	s_cbranch_execz .LBB58_53
.LBB58_75:
	global_load_sshort v15, v[2:3], off offset:1536
	s_or_b64 exec, exec, s[4:5]
                                        ; implicit-def: $vgpr16
	s_and_saveexec_b64 s[4:5], s[12:13]
	s_cbranch_execnz .LBB58_54
.LBB58_76:
	s_or_b64 exec, exec, s[4:5]
                                        ; implicit-def: $vgpr17
	s_and_saveexec_b64 s[4:5], s[14:15]
	s_cbranch_execz .LBB58_55
.LBB58_77:
	global_load_sshort v17, v[2:3], off offset:2560
	s_or_b64 exec, exec, s[4:5]
                                        ; implicit-def: $vgpr18
	s_and_saveexec_b64 s[4:5], s[16:17]
	s_cbranch_execnz .LBB58_56
.LBB58_78:
	s_or_b64 exec, exec, s[4:5]
                                        ; implicit-def: $vgpr19
	s_and_saveexec_b64 s[4:5], s[18:19]
	s_cbranch_execz .LBB58_57
.LBB58_79:
	global_load_sshort v19, v[2:3], off offset:3584
	s_or_b64 exec, exec, s[4:5]
                                        ; implicit-def: $vgpr20
	s_and_saveexec_b64 s[4:5], s[20:21]
	s_cbranch_execnz .LBB58_58
.LBB58_80:
	s_or_b64 exec, exec, s[4:5]
                                        ; implicit-def: $vgpr21
	s_and_saveexec_b64 s[4:5], s[22:23]
	s_cbranch_execz .LBB58_59
.LBB58_81:
	v_add_co_u32_e32 v22, vcc, 0x1000, v2
	s_nop 1
	v_addc_co_u32_e32 v23, vcc, 0, v3, vcc
	global_load_sshort v21, v[22:23], off offset:512
	s_or_b64 exec, exec, s[4:5]
                                        ; implicit-def: $vgpr22
	s_and_saveexec_b64 s[4:5], s[24:25]
	s_cbranch_execnz .LBB58_60
.LBB58_82:
	s_or_b64 exec, exec, s[4:5]
                                        ; implicit-def: $vgpr23
	s_and_saveexec_b64 s[4:5], s[26:27]
	s_cbranch_execz .LBB58_61
.LBB58_83:
	v_add_co_u32_e32 v24, vcc, 0x1000, v2
	s_nop 1
	v_addc_co_u32_e32 v25, vcc, 0, v3, vcc
	global_load_sshort v23, v[24:25], off offset:1536
	s_or_b64 exec, exec, s[4:5]
                                        ; implicit-def: $vgpr24
	s_and_saveexec_b64 s[4:5], s[28:29]
	s_cbranch_execnz .LBB58_62
.LBB58_84:
	s_or_b64 exec, exec, s[4:5]
                                        ; implicit-def: $vgpr25
	s_and_saveexec_b64 s[4:5], s[30:31]
	s_cbranch_execz .LBB58_63
.LBB58_85:
	v_add_co_u32_e32 v26, vcc, 0x1000, v2
	s_nop 1
	v_addc_co_u32_e32 v27, vcc, 0, v3, vcc
	global_load_sshort v25, v[26:27], off offset:2560
	s_or_b64 exec, exec, s[4:5]
                                        ; implicit-def: $vgpr26
	s_and_saveexec_b64 s[4:5], s[34:35]
	s_cbranch_execnz .LBB58_64
.LBB58_86:
	s_or_b64 exec, exec, s[4:5]
                                        ; implicit-def: $vgpr27
	s_and_saveexec_b64 s[4:5], s[36:37]
	s_cbranch_execz .LBB58_65
.LBB58_87:
	v_add_co_u32_e32 v28, vcc, 0x1000, v2
	s_nop 1
	v_addc_co_u32_e32 v29, vcc, 0, v3, vcc
	global_load_sshort v27, v[28:29], off offset:3584
	s_or_b64 exec, exec, s[4:5]
                                        ; implicit-def: $vgpr28
	s_and_saveexec_b64 s[4:5], s[38:39]
	s_cbranch_execnz .LBB58_66
.LBB58_88:
	s_or_b64 exec, exec, s[4:5]
                                        ; implicit-def: $vgpr29
	s_and_saveexec_b64 s[4:5], s[40:41]
	s_cbranch_execz .LBB58_67
.LBB58_89:
	v_add_co_u32_e32 v30, vcc, 0x2000, v2
	s_nop 1
	v_addc_co_u32_e32 v31, vcc, 0, v3, vcc
	global_load_sshort v29, v[30:31], off offset:512
	s_or_b64 exec, exec, s[4:5]
                                        ; implicit-def: $vgpr30
	s_and_saveexec_b64 s[4:5], s[42:43]
	s_cbranch_execnz .LBB58_68
.LBB58_90:
	s_or_b64 exec, exec, s[4:5]
                                        ; implicit-def: $vgpr31
	s_and_saveexec_b64 s[4:5], s[44:45]
	s_cbranch_execz .LBB58_69
.LBB58_91:
	v_add_co_u32_e32 v32, vcc, 0x2000, v2
	s_nop 1
	v_addc_co_u32_e32 v33, vcc, 0, v3, vcc
	global_load_sshort v31, v[32:33], off offset:1536
	s_or_b64 exec, exec, s[4:5]
                                        ; implicit-def: $vgpr32
	s_and_saveexec_b64 s[4:5], s[46:47]
	s_cbranch_execnz .LBB58_70
.LBB58_92:
	s_or_b64 exec, exec, s[4:5]
                                        ; implicit-def: $vgpr33
	s_and_saveexec_b64 s[4:5], s[48:49]
	s_cbranch_execz .LBB58_94
.LBB58_93:
	v_add_co_u32_e32 v34, vcc, 0x2000, v2
	s_nop 1
	v_addc_co_u32_e32 v35, vcc, 0, v3, vcc
	global_load_sshort v33, v[34:35], off offset:2560
.LBB58_94:
	s_or_b64 exec, exec, s[4:5]
	v_mul_u32_u24_e32 v74, 23, v0
                                        ; implicit-def: $vgpr34
	s_and_saveexec_b64 s[4:5], s[50:51]
	s_cbranch_execz .LBB58_96
; %bb.95:
	v_add_co_u32_e32 v2, vcc, 0x2000, v2
	s_nop 1
	v_addc_co_u32_e32 v3, vcc, 0, v3, vcc
	global_load_sshort v34, v[2:3], off offset:3072
.LBB58_96:
	s_or_b64 exec, exec, s[4:5]
	s_waitcnt vmcnt(0)
	ds_write2st64_b32 v10, v12, v13 offset1:4
	ds_write2st64_b32 v10, v14, v15 offset0:8 offset1:12
	ds_write2st64_b32 v10, v16, v17 offset0:16 offset1:20
	;; [unrolled: 1-line block ×10, first 2 shown]
	ds_write_b32 v10, v34 offset:22528
	v_mov_b64_e32 v[12:13], 0
	v_cmp_gt_u32_e32 vcc, s3, v74
	s_mov_b64 s[12:13], 0
	s_mov_b64 s[6:7], 0
	v_mov_b64_e32 v[14:15], v[12:13]
	v_mov_b64_e32 v[16:17], v[12:13]
	;; [unrolled: 1-line block ×21, first 2 shown]
	s_waitcnt lgkmcnt(0)
	s_barrier
	s_waitcnt lgkmcnt(0)
                                        ; implicit-def: $sgpr10_sgpr11
                                        ; implicit-def: $vgpr3
	s_and_saveexec_b64 s[8:9], vcc
	s_cbranch_execz .LBB58_140
; %bb.97:
	ds_read_b32 v12, v1
	v_add_u32_e32 v2, 1, v74
	v_cmp_ne_u32_e32 vcc, v72, v70
	v_mov_b64_e32 v[14:15], 0
	s_mov_b64 s[4:5], 0
	v_cndmask_b32_e64 v13, 0, 1, vcc
	v_cmp_gt_u32_e32 vcc, s3, v2
	v_mov_b64_e32 v[16:17], v[14:15]
	v_mov_b64_e32 v[18:19], v[14:15]
	;; [unrolled: 1-line block ×20, first 2 shown]
                                        ; implicit-def: $sgpr14_sgpr15
                                        ; implicit-def: $vgpr3
	s_and_saveexec_b64 s[10:11], vcc
	s_cbranch_execz .LBB58_139
; %bb.98:
	ds_read2_b32 v[72:73], v1 offset0:1 offset1:2
	v_add_u32_e32 v2, 2, v74
	v_cmp_ne_u32_e32 vcc, v70, v71
	v_mov_b64_e32 v[16:17], 0
	s_mov_b64 s[16:17], 0
	v_cndmask_b32_e64 v15, 0, 1, vcc
	v_cmp_gt_u32_e32 vcc, s3, v2
	s_waitcnt lgkmcnt(0)
	v_mov_b32_e32 v14, v72
	v_mov_b64_e32 v[18:19], v[16:17]
	v_mov_b64_e32 v[20:21], v[16:17]
	;; [unrolled: 1-line block ×19, first 2 shown]
                                        ; implicit-def: $sgpr14_sgpr15
                                        ; implicit-def: $vgpr3
	s_and_saveexec_b64 s[12:13], vcc
	s_cbranch_execz .LBB58_138
; %bb.99:
	v_add_u32_e32 v2, 3, v74
	v_cmp_ne_u32_e32 vcc, v71, v68
	v_mov_b64_e32 v[18:19], 0
	v_mov_b32_e32 v16, v73
	v_cndmask_b32_e64 v17, 0, 1, vcc
	v_cmp_gt_u32_e32 vcc, s3, v2
	v_mov_b64_e32 v[20:21], v[18:19]
	v_mov_b64_e32 v[22:23], v[18:19]
	;; [unrolled: 1-line block ×18, first 2 shown]
                                        ; implicit-def: $sgpr18_sgpr19
                                        ; implicit-def: $vgpr3
	s_and_saveexec_b64 s[14:15], vcc
	s_cbranch_execz .LBB58_137
; %bb.100:
	ds_read2_b32 v[70:71], v1 offset0:3 offset1:4
	v_add_u32_e32 v2, 4, v74
	v_cmp_ne_u32_e32 vcc, v68, v69
	v_mov_b64_e32 v[20:21], 0
	s_mov_b64 s[20:21], 0
	v_cndmask_b32_e64 v19, 0, 1, vcc
	v_cmp_gt_u32_e32 vcc, s3, v2
	s_waitcnt lgkmcnt(0)
	v_mov_b32_e32 v18, v70
	v_mov_b64_e32 v[22:23], v[20:21]
	v_mov_b64_e32 v[24:25], v[20:21]
	;; [unrolled: 1-line block ×17, first 2 shown]
                                        ; implicit-def: $sgpr18_sgpr19
                                        ; implicit-def: $vgpr3
	s_and_saveexec_b64 s[16:17], vcc
	s_cbranch_execz .LBB58_136
; %bb.101:
	v_add_u32_e32 v2, 5, v74
	v_cmp_ne_u32_e32 vcc, v69, v66
	v_mov_b64_e32 v[22:23], 0
	v_mov_b32_e32 v20, v71
	v_cndmask_b32_e64 v21, 0, 1, vcc
	v_cmp_gt_u32_e32 vcc, s3, v2
	v_mov_b64_e32 v[24:25], v[22:23]
	v_mov_b64_e32 v[26:27], v[22:23]
	;; [unrolled: 1-line block ×16, first 2 shown]
                                        ; implicit-def: $sgpr22_sgpr23
                                        ; implicit-def: $vgpr3
	s_and_saveexec_b64 s[18:19], vcc
	s_cbranch_execz .LBB58_135
; %bb.102:
	ds_read2_b32 v[68:69], v1 offset0:5 offset1:6
	v_add_u32_e32 v2, 6, v74
	v_cmp_ne_u32_e32 vcc, v66, v67
	v_mov_b64_e32 v[24:25], 0
	s_mov_b64 s[24:25], 0
	v_cndmask_b32_e64 v23, 0, 1, vcc
	v_cmp_gt_u32_e32 vcc, s3, v2
	s_waitcnt lgkmcnt(0)
	v_mov_b32_e32 v22, v68
	v_mov_b64_e32 v[26:27], v[24:25]
	v_mov_b64_e32 v[28:29], v[24:25]
	;; [unrolled: 1-line block ×15, first 2 shown]
                                        ; implicit-def: $sgpr22_sgpr23
                                        ; implicit-def: $vgpr3
	s_and_saveexec_b64 s[20:21], vcc
	s_cbranch_execz .LBB58_134
; %bb.103:
	v_add_u32_e32 v2, 7, v74
	v_cmp_ne_u32_e32 vcc, v67, v64
	v_mov_b64_e32 v[26:27], 0
	v_mov_b32_e32 v24, v69
	v_cndmask_b32_e64 v25, 0, 1, vcc
	v_cmp_gt_u32_e32 vcc, s3, v2
	v_mov_b64_e32 v[28:29], v[26:27]
	v_mov_b64_e32 v[30:31], v[26:27]
	;; [unrolled: 1-line block ×14, first 2 shown]
                                        ; implicit-def: $sgpr26_sgpr27
                                        ; implicit-def: $vgpr3
	s_and_saveexec_b64 s[22:23], vcc
	s_cbranch_execz .LBB58_133
; %bb.104:
	ds_read2_b32 v[66:67], v1 offset0:7 offset1:8
	v_add_u32_e32 v2, 8, v74
	v_cmp_ne_u32_e32 vcc, v64, v65
	v_mov_b64_e32 v[28:29], 0
	s_mov_b64 s[28:29], 0
	v_cndmask_b32_e64 v27, 0, 1, vcc
	v_cmp_gt_u32_e32 vcc, s3, v2
	s_waitcnt lgkmcnt(0)
	v_mov_b32_e32 v26, v66
	v_mov_b64_e32 v[30:31], v[28:29]
	v_mov_b64_e32 v[32:33], v[28:29]
	v_mov_b64_e32 v[34:35], v[28:29]
	v_mov_b64_e32 v[36:37], v[28:29]
	v_mov_b64_e32 v[38:39], v[28:29]
	v_mov_b64_e32 v[40:41], v[28:29]
	v_mov_b64_e32 v[42:43], v[28:29]
	v_mov_b64_e32 v[44:45], v[28:29]
	v_mov_b64_e32 v[46:47], v[28:29]
	v_mov_b64_e32 v[48:49], v[28:29]
	v_mov_b64_e32 v[50:51], v[28:29]
	v_mov_b64_e32 v[52:53], v[28:29]
	v_mov_b64_e32 v[54:55], v[28:29]
                                        ; implicit-def: $sgpr26_sgpr27
                                        ; implicit-def: $vgpr3
	s_and_saveexec_b64 s[24:25], vcc
	s_cbranch_execz .LBB58_132
; %bb.105:
	v_add_u32_e32 v2, 9, v74
	v_cmp_ne_u32_e32 vcc, v65, v62
	v_mov_b64_e32 v[30:31], 0
	v_mov_b32_e32 v28, v67
	v_cndmask_b32_e64 v29, 0, 1, vcc
	v_cmp_gt_u32_e32 vcc, s3, v2
	v_mov_b64_e32 v[32:33], v[30:31]
	v_mov_b64_e32 v[34:35], v[30:31]
	;; [unrolled: 1-line block ×12, first 2 shown]
                                        ; implicit-def: $sgpr30_sgpr31
                                        ; implicit-def: $vgpr3
	s_and_saveexec_b64 s[26:27], vcc
	s_cbranch_execz .LBB58_131
; %bb.106:
	ds_read2_b32 v[64:65], v1 offset0:9 offset1:10
	v_add_u32_e32 v2, 10, v74
	v_cmp_ne_u32_e32 vcc, v62, v63
	v_mov_b64_e32 v[32:33], 0
	s_mov_b64 s[34:35], 0
	v_cndmask_b32_e64 v31, 0, 1, vcc
	v_cmp_gt_u32_e32 vcc, s3, v2
	s_waitcnt lgkmcnt(0)
	v_mov_b32_e32 v30, v64
	v_mov_b64_e32 v[34:35], v[32:33]
	v_mov_b64_e32 v[36:37], v[32:33]
	;; [unrolled: 1-line block ×11, first 2 shown]
                                        ; implicit-def: $sgpr30_sgpr31
                                        ; implicit-def: $vgpr3
	s_and_saveexec_b64 s[28:29], vcc
	s_cbranch_execz .LBB58_130
; %bb.107:
	v_add_u32_e32 v2, 11, v74
	v_cmp_ne_u32_e32 vcc, v63, v60
	v_mov_b64_e32 v[34:35], 0
	v_mov_b32_e32 v32, v65
	v_cndmask_b32_e64 v33, 0, 1, vcc
	v_cmp_gt_u32_e32 vcc, s3, v2
	v_mov_b64_e32 v[36:37], v[34:35]
	v_mov_b64_e32 v[38:39], v[34:35]
	;; [unrolled: 1-line block ×10, first 2 shown]
                                        ; implicit-def: $sgpr36_sgpr37
                                        ; implicit-def: $vgpr3
	s_and_saveexec_b64 s[30:31], vcc
	s_cbranch_execz .LBB58_129
; %bb.108:
	ds_read2_b32 v[62:63], v1 offset0:11 offset1:12
	v_add_u32_e32 v2, 12, v74
	v_cmp_ne_u32_e32 vcc, v60, v61
	v_mov_b64_e32 v[36:37], 0
	s_mov_b64 s[38:39], 0
	v_cndmask_b32_e64 v35, 0, 1, vcc
	v_cmp_gt_u32_e32 vcc, s3, v2
	s_waitcnt lgkmcnt(0)
	v_mov_b32_e32 v34, v62
	v_mov_b64_e32 v[38:39], v[36:37]
	v_mov_b64_e32 v[40:41], v[36:37]
	;; [unrolled: 1-line block ×9, first 2 shown]
                                        ; implicit-def: $sgpr36_sgpr37
                                        ; implicit-def: $vgpr3
	s_and_saveexec_b64 s[34:35], vcc
	s_cbranch_execz .LBB58_128
; %bb.109:
	v_add_u32_e32 v2, 13, v74
	v_cmp_ne_u32_e32 vcc, v61, v58
	v_mov_b64_e32 v[38:39], 0
	v_mov_b32_e32 v36, v63
	v_cndmask_b32_e64 v37, 0, 1, vcc
	v_cmp_gt_u32_e32 vcc, s3, v2
	v_mov_b64_e32 v[40:41], v[38:39]
	v_mov_b64_e32 v[42:43], v[38:39]
	;; [unrolled: 1-line block ×8, first 2 shown]
                                        ; implicit-def: $sgpr40_sgpr41
                                        ; implicit-def: $vgpr3
	s_and_saveexec_b64 s[36:37], vcc
	s_cbranch_execz .LBB58_127
; %bb.110:
	ds_read2_b32 v[60:61], v1 offset0:13 offset1:14
	v_add_u32_e32 v2, 14, v74
	v_cmp_ne_u32_e32 vcc, v58, v59
	v_mov_b64_e32 v[40:41], 0
	s_mov_b64 s[42:43], 0
	v_cndmask_b32_e64 v39, 0, 1, vcc
	v_cmp_gt_u32_e32 vcc, s3, v2
	s_waitcnt lgkmcnt(0)
	v_mov_b32_e32 v38, v60
	v_mov_b64_e32 v[42:43], v[40:41]
	v_mov_b64_e32 v[44:45], v[40:41]
	;; [unrolled: 1-line block ×7, first 2 shown]
                                        ; implicit-def: $sgpr40_sgpr41
                                        ; implicit-def: $vgpr3
	s_and_saveexec_b64 s[38:39], vcc
	s_cbranch_execz .LBB58_126
; %bb.111:
	v_add_u32_e32 v2, 15, v74
	v_cmp_ne_u32_e32 vcc, v59, v56
	v_mov_b64_e32 v[42:43], 0
	v_mov_b32_e32 v40, v61
	v_cndmask_b32_e64 v41, 0, 1, vcc
	v_cmp_gt_u32_e32 vcc, s3, v2
	v_mov_b64_e32 v[44:45], v[42:43]
	v_mov_b64_e32 v[46:47], v[42:43]
	;; [unrolled: 1-line block ×6, first 2 shown]
                                        ; implicit-def: $sgpr44_sgpr45
                                        ; implicit-def: $vgpr3
	s_and_saveexec_b64 s[40:41], vcc
	s_cbranch_execz .LBB58_125
; %bb.112:
	ds_read2_b32 v[58:59], v1 offset0:15 offset1:16
	v_add_u32_e32 v2, 16, v74
	v_cmp_ne_u32_e32 vcc, v56, v57
	v_mov_b64_e32 v[44:45], 0
	s_mov_b64 s[46:47], 0
	v_cndmask_b32_e64 v43, 0, 1, vcc
	v_cmp_gt_u32_e32 vcc, s3, v2
	s_waitcnt lgkmcnt(0)
	v_mov_b32_e32 v42, v58
	v_mov_b64_e32 v[46:47], v[44:45]
	v_mov_b64_e32 v[48:49], v[44:45]
	;; [unrolled: 1-line block ×5, first 2 shown]
                                        ; implicit-def: $sgpr44_sgpr45
                                        ; implicit-def: $vgpr3
	s_and_saveexec_b64 s[42:43], vcc
	s_cbranch_execz .LBB58_124
; %bb.113:
	v_add_u32_e32 v2, 17, v74
	v_cmp_ne_u32_e32 vcc, v57, v8
	v_mov_b64_e32 v[46:47], 0
	v_mov_b32_e32 v44, v59
	v_cndmask_b32_e64 v45, 0, 1, vcc
	v_cmp_gt_u32_e32 vcc, s3, v2
	v_mov_b64_e32 v[48:49], v[46:47]
	v_mov_b64_e32 v[50:51], v[46:47]
	;; [unrolled: 1-line block ×4, first 2 shown]
                                        ; implicit-def: $sgpr48_sgpr49
                                        ; implicit-def: $vgpr3
	s_and_saveexec_b64 s[44:45], vcc
	s_cbranch_execz .LBB58_123
; %bb.114:
	ds_read2_b32 v[56:57], v1 offset0:17 offset1:18
	v_add_u32_e32 v2, 18, v74
	v_cmp_ne_u32_e32 vcc, v8, v9
	v_mov_b64_e32 v[48:49], 0
	s_mov_b64 s[50:51], 0
	v_cndmask_b32_e64 v47, 0, 1, vcc
	v_cmp_gt_u32_e32 vcc, s3, v2
	s_waitcnt lgkmcnt(0)
	v_mov_b32_e32 v46, v56
	v_mov_b64_e32 v[50:51], v[48:49]
	v_mov_b64_e32 v[52:53], v[48:49]
	;; [unrolled: 1-line block ×3, first 2 shown]
                                        ; implicit-def: $sgpr48_sgpr49
                                        ; implicit-def: $vgpr3
	s_and_saveexec_b64 s[46:47], vcc
	s_cbranch_execz .LBB58_122
; %bb.115:
	v_add_u32_e32 v2, 19, v74
	v_cmp_ne_u32_e32 vcc, v9, v6
	v_mov_b64_e32 v[50:51], 0
	v_mov_b32_e32 v48, v57
	v_cndmask_b32_e64 v49, 0, 1, vcc
	v_cmp_gt_u32_e32 vcc, s3, v2
	v_mov_b64_e32 v[52:53], v[50:51]
	v_mov_b64_e32 v[54:55], v[50:51]
                                        ; implicit-def: $sgpr56_sgpr57
                                        ; implicit-def: $vgpr3
	s_and_saveexec_b64 s[48:49], vcc
	s_cbranch_execz .LBB58_121
; %bb.116:
	ds_read2_b32 v[8:9], v1 offset0:19 offset1:20
	v_add_u32_e32 v2, 20, v74
	v_cmp_ne_u32_e32 vcc, v6, v7
	v_mov_b64_e32 v[52:53], 0
	s_mov_b64 s[56:57], 0
	v_cndmask_b32_e64 v51, 0, 1, vcc
	v_cmp_gt_u32_e32 vcc, s3, v2
	s_waitcnt lgkmcnt(0)
	v_mov_b32_e32 v50, v8
	v_mov_b64_e32 v[54:55], v[52:53]
                                        ; implicit-def: $sgpr58_sgpr59
                                        ; implicit-def: $vgpr3
	s_and_saveexec_b64 s[50:51], vcc
	s_cbranch_execz .LBB58_120
; %bb.117:
	v_add_u32_e32 v2, 21, v74
	v_cmp_ne_u32_e32 vcc, v7, v4
	v_mov_b32_e32 v52, v9
	v_mov_b64_e32 v[54:55], 0
	v_cndmask_b32_e64 v53, 0, 1, vcc
	v_cmp_gt_u32_e32 vcc, s3, v2
                                        ; implicit-def: $sgpr58_sgpr59
                                        ; implicit-def: $vgpr3
	s_and_saveexec_b64 s[4:5], vcc
	s_xor_b64 s[60:61], exec, s[4:5]
	s_cbranch_execz .LBB58_119
; %bb.118:
	ds_read2_b32 v[2:3], v1 offset0:21 offset1:22
	v_add_u32_e32 v1, 22, v74
	v_cmp_ne_u32_e64 s[4:5], v4, v5
	v_cmp_ne_u32_e32 vcc, v5, v11
	s_and_b64 s[58:59], vcc, exec
	v_cndmask_b32_e64 v55, 0, 1, s[4:5]
	v_cmp_gt_u32_e64 s[4:5], s3, v1
	s_waitcnt lgkmcnt(0)
	v_mov_b32_e32 v54, v2
	s_and_b64 s[56:57], s[4:5], exec
.LBB58_119:
	s_or_b64 exec, exec, s[60:61]
	s_and_b64 s[58:59], s[58:59], exec
	s_and_b64 s[4:5], s[56:57], exec
.LBB58_120:
	s_or_b64 exec, exec, s[50:51]
	s_and_b64 s[56:57], s[58:59], exec
	s_and_b64 s[50:51], s[4:5], exec
.LBB58_121:
	s_or_b64 exec, exec, s[48:49]
	s_and_b64 s[48:49], s[56:57], exec
	s_and_b64 s[4:5], s[50:51], exec
.LBB58_122:
	s_or_b64 exec, exec, s[46:47]
	s_and_b64 s[48:49], s[48:49], exec
	s_and_b64 s[46:47], s[4:5], exec
.LBB58_123:
	s_or_b64 exec, exec, s[44:45]
	s_and_b64 s[44:45], s[48:49], exec
	s_and_b64 s[4:5], s[46:47], exec
.LBB58_124:
	s_or_b64 exec, exec, s[42:43]
	s_and_b64 s[44:45], s[44:45], exec
	s_and_b64 s[42:43], s[4:5], exec
.LBB58_125:
	s_or_b64 exec, exec, s[40:41]
	s_and_b64 s[40:41], s[44:45], exec
	s_and_b64 s[4:5], s[42:43], exec
.LBB58_126:
	s_or_b64 exec, exec, s[38:39]
	s_and_b64 s[40:41], s[40:41], exec
	s_and_b64 s[38:39], s[4:5], exec
.LBB58_127:
	s_or_b64 exec, exec, s[36:37]
	s_and_b64 s[36:37], s[40:41], exec
	s_and_b64 s[4:5], s[38:39], exec
.LBB58_128:
	s_or_b64 exec, exec, s[34:35]
	s_and_b64 s[36:37], s[36:37], exec
	s_and_b64 s[34:35], s[4:5], exec
.LBB58_129:
	s_or_b64 exec, exec, s[30:31]
	s_and_b64 s[30:31], s[36:37], exec
	s_and_b64 s[4:5], s[34:35], exec
.LBB58_130:
	s_or_b64 exec, exec, s[28:29]
	s_and_b64 s[30:31], s[30:31], exec
	s_and_b64 s[28:29], s[4:5], exec
.LBB58_131:
	s_or_b64 exec, exec, s[26:27]
	s_and_b64 s[26:27], s[30:31], exec
	s_and_b64 s[4:5], s[28:29], exec
.LBB58_132:
	s_or_b64 exec, exec, s[24:25]
	s_and_b64 s[26:27], s[26:27], exec
	s_and_b64 s[24:25], s[4:5], exec
.LBB58_133:
	s_or_b64 exec, exec, s[22:23]
	s_and_b64 s[22:23], s[26:27], exec
	s_and_b64 s[4:5], s[24:25], exec
.LBB58_134:
	s_or_b64 exec, exec, s[20:21]
	s_and_b64 s[22:23], s[22:23], exec
	s_and_b64 s[20:21], s[4:5], exec
.LBB58_135:
	s_or_b64 exec, exec, s[18:19]
	s_and_b64 s[18:19], s[22:23], exec
	s_and_b64 s[4:5], s[20:21], exec
.LBB58_136:
	s_or_b64 exec, exec, s[16:17]
	s_and_b64 s[18:19], s[18:19], exec
	s_and_b64 s[16:17], s[4:5], exec
.LBB58_137:
	s_or_b64 exec, exec, s[14:15]
	s_and_b64 s[14:15], s[18:19], exec
	s_and_b64 s[4:5], s[16:17], exec
.LBB58_138:
	s_or_b64 exec, exec, s[12:13]
	s_and_b64 s[14:15], s[14:15], exec
	s_and_b64 s[12:13], s[4:5], exec
.LBB58_139:
	s_or_b64 exec, exec, s[10:11]
	s_and_b64 s[10:11], s[14:15], exec
	s_and_b64 s[12:13], s[12:13], exec
.LBB58_140:
	s_or_b64 exec, exec, s[8:9]
	s_mov_b64 s[8:9], 0
	s_and_b64 vcc, exec, s[6:7]
	v_cmp_ne_u32_e64 s[4:5], 0, v0
	s_cbranch_vccz .LBB58_144
.LBB58_141:
	v_mov_b32_e32 v11, 0
	v_lshl_add_u64 v[2:3], s[54:55], 0, v[10:11]
	v_add_co_u32_e32 v4, vcc, 0x1000, v2
	global_load_dword v8, v10, s[54:55]
	global_load_dword v9, v10, s[54:55] offset:1024
	s_waitcnt lgkmcnt(0)
	global_load_dword v12, v10, s[54:55] offset:2048
	global_load_dword v13, v10, s[54:55] offset:3072
	v_addc_co_u32_e32 v5, vcc, 0, v3, vcc
	v_add_co_u32_e32 v6, vcc, 0x2000, v2
	s_movk_i32 s7, 0x58
	s_nop 0
	v_addc_co_u32_e32 v7, vcc, 0, v3, vcc
	global_load_dword v14, v[4:5], off
	global_load_dword v15, v[4:5], off offset:1024
	global_load_dword v16, v[4:5], off offset:2048
	;; [unrolled: 1-line block ×3, first 2 shown]
	global_load_dword v18, v[6:7], off
	global_load_dword v19, v[6:7], off offset:1024
	global_load_dword v20, v[6:7], off offset:2048
	;; [unrolled: 1-line block ×3, first 2 shown]
	v_add_co_u32_e32 v4, vcc, 0x3000, v2
	s_sub_u32 s6, 0, s2
	s_nop 0
	v_addc_co_u32_e32 v5, vcc, 0, v3, vcc
	v_add_co_u32_e32 v6, vcc, 0x4000, v2
	v_mad_u32_u24 v1, v0, s7, v10
	s_nop 0
	v_addc_co_u32_e32 v7, vcc, 0, v3, vcc
	v_add_co_u32_e32 v2, vcc, 0x5000, v2
	global_load_dword v22, v[4:5], off
	global_load_dword v23, v[4:5], off offset:1024
	global_load_dword v24, v[4:5], off offset:2048
	;; [unrolled: 1-line block ×3, first 2 shown]
	global_load_dword v26, v[6:7], off
	global_load_dword v27, v[6:7], off offset:1024
	global_load_dword v28, v[6:7], off offset:2048
	;; [unrolled: 1-line block ×3, first 2 shown]
	v_addc_co_u32_e32 v3, vcc, 0, v3, vcc
	global_load_dword v4, v[2:3], off
	global_load_dword v5, v[2:3], off offset:1024
	global_load_dword v6, v[2:3], off offset:2048
	s_subb_u32 s7, 0, 0
	s_cmp_eq_u64 s[6:7], s[72:73]
	s_cselect_b32 s6, 0, -4
	s_cselect_b32 s7, 0, -1
	s_add_u32 s6, s54, s6
	s_addc_u32 s7, s55, s7
	s_movk_i32 s9, 0xffa8
	s_movk_i32 s8, 0x1000
	s_movk_i32 s3, 0x2000
	v_mad_i32_i24 v30, v0, s9, v1
	s_waitcnt vmcnt(21)
	ds_write2st64_b32 v10, v8, v9 offset1:4
	s_waitcnt vmcnt(19)
	ds_write2st64_b32 v10, v12, v13 offset0:8 offset1:12
	s_waitcnt vmcnt(17)
	ds_write2st64_b32 v10, v14, v15 offset0:16 offset1:20
	;; [unrolled: 2-line block ×10, first 2 shown]
	s_waitcnt vmcnt(0)
	ds_write_b32 v10, v6 offset:22528
	s_waitcnt lgkmcnt(0)
	s_barrier
	ds_read2_b32 v[16:17], v1 offset1:1
	ds_read2_b32 v[20:21], v1 offset0:2 offset1:3
	ds_read2_b32 v[2:3], v1 offset0:4 offset1:5
	ds_read2_b32 v[28:29], v1 offset0:6 offset1:7
	ds_read2_b32 v[8:9], v1 offset0:16 offset1:17
	ds_read2_b32 v[6:7], v1 offset0:18 offset1:19
	ds_read2_b32 v[4:5], v1 offset0:20 offset1:21
	ds_read_b32 v12, v1 offset:88
	ds_read2_b32 v[32:33], v1 offset0:8 offset1:9
	ds_read2_b32 v[36:37], v1 offset0:10 offset1:11
	;; [unrolled: 1-line block ×4, first 2 shown]
	s_load_dword s6, s[6:7], 0x0
	s_waitcnt lgkmcnt(0)
	ds_write_b32 v30, v12 offset:23552
	s_waitcnt lgkmcnt(0)
	s_barrier
	v_mov_b32_e32 v13, s6
	s_and_saveexec_b64 s[6:7], s[4:5]
	s_cbranch_execz .LBB58_143
; %bb.142:
	v_mul_i32_i24_e32 v13, 0xffffffa8, v0
	v_add_u32_e32 v13, v1, v13
	ds_read_b32 v13, v13 offset:23548
.LBB58_143:
	s_or_b64 exec, exec, s[6:7]
	v_lshlrev_b32_e32 v14, 1, v0
	v_mov_b32_e32 v15, v11
	v_lshl_add_u64 v[18:19], s[52:53], 0, v[14:15]
	v_add_co_u32_e32 v22, vcc, s8, v18
	s_waitcnt lgkmcnt(0)
	s_nop 0
	v_addc_co_u32_e32 v23, vcc, 0, v19, vcc
	v_add_co_u32_e32 v18, vcc, s3, v18
	s_barrier
	global_load_sshort v11, v14, s[52:53]
	v_addc_co_u32_e32 v19, vcc, 0, v19, vcc
	global_load_sshort v24, v14, s[52:53] offset:512
	global_load_sshort v26, v14, s[52:53] offset:1024
	;; [unrolled: 1-line block ×7, first 2 shown]
	global_load_sshort v39, v[18:19], off offset:-4096
	global_load_sshort v42, v[22:23], off offset:512
	global_load_sshort v43, v[22:23], off offset:1024
	;; [unrolled: 1-line block ×7, first 2 shown]
                                        ; kill: killed $vgpr22 killed $vgpr23
                                        ; kill: killed $vgpr14
                                        ; kill: killed $sgpr52 killed $sgpr53
	global_load_sshort v14, v[18:19], off
	s_nop 0
	global_load_sshort v22, v[18:19], off offset:512
	global_load_sshort v51, v[18:19], off offset:1024
	global_load_sshort v52, v[18:19], off offset:1536
	global_load_sshort v53, v[18:19], off offset:2048
	global_load_sshort v54, v[18:19], off offset:2560
	global_load_sshort v55, v[18:19], off offset:3072
	v_cmp_ne_u32_e32 vcc, v13, v16
	v_cmp_ne_u32_e64 s[10:11], v5, v12
	s_mov_b64 s[12:13], -1
	v_cndmask_b32_e64 v13, 0, 1, vcc
	v_cmp_ne_u32_e32 vcc, v16, v17
                                        ; implicit-def: $sgpr8_sgpr9
	s_waitcnt vmcnt(21)
	ds_write2st64_b32 v10, v11, v24 offset1:4
	s_waitcnt vmcnt(19)
	ds_write2st64_b32 v10, v26, v30 offset0:8 offset1:12
	s_waitcnt vmcnt(17)
	ds_write2st64_b32 v10, v31, v34 offset0:16 offset1:20
	s_waitcnt vmcnt(15)
	ds_write2st64_b32 v10, v35, v38 offset0:24 offset1:28
	s_waitcnt vmcnt(13)
	ds_write2st64_b32 v10, v39, v42 offset0:32 offset1:36
	s_waitcnt vmcnt(11)
	ds_write2st64_b32 v10, v43, v46 offset0:40 offset1:44
	s_waitcnt vmcnt(9)
	ds_write2st64_b32 v10, v47, v48 offset0:48 offset1:52
	s_waitcnt vmcnt(7)
	ds_write2st64_b32 v10, v49, v50 offset0:56 offset1:60
	s_waitcnt vmcnt(5)
	ds_write2st64_b32 v10, v14, v22 offset0:64 offset1:68
	s_waitcnt vmcnt(3)
	ds_write2st64_b32 v10, v51, v52 offset0:72 offset1:76
	s_waitcnt vmcnt(1)
	ds_write2st64_b32 v10, v53, v54 offset0:80 offset1:84
	s_waitcnt vmcnt(0)
	ds_write_b32 v10, v55 offset:22528
	v_cndmask_b32_e64 v15, 0, 1, vcc
	v_cmp_ne_u32_e32 vcc, v17, v20
	s_waitcnt lgkmcnt(0)
	s_barrier
	v_cndmask_b32_e64 v17, 0, 1, vcc
	v_cmp_ne_u32_e32 vcc, v20, v21
	s_nop 1
	v_cndmask_b32_e64 v19, 0, 1, vcc
	v_cmp_ne_u32_e32 vcc, v21, v2
	s_nop 1
	;; [unrolled: 3-line block ×3, first 2 shown]
	v_cndmask_b32_e64 v23, 0, 1, vcc
	v_cmp_ne_u32_e32 vcc, v3, v28
	ds_read2_b32 v[30:31], v1 offset1:1
	ds_read2_b32 v[34:35], v1 offset0:2 offset1:3
	ds_read2_b32 v[38:39], v1 offset0:4 offset1:5
	ds_read2_b32 v[42:43], v1 offset0:6 offset1:7
	ds_read2_b32 v[46:47], v1 offset0:8 offset1:9
	ds_read2_b32 v[48:49], v1 offset0:10 offset1:11
	ds_read2_b32 v[50:51], v1 offset0:12 offset1:13
	ds_read2_b32 v[52:53], v1 offset0:14 offset1:15
	ds_read2_b32 v[54:55], v1 offset0:16 offset1:17
	ds_read2_b32 v[56:57], v1 offset0:18 offset1:19
	ds_read2_b32 v[58:59], v1 offset0:20 offset1:21
	ds_read_b32 v3, v1 offset:88
	v_cndmask_b32_e64 v25, 0, 1, vcc
	v_cmp_ne_u32_e32 vcc, v28, v29
	s_waitcnt lgkmcnt(11)
	v_mov_b32_e32 v14, v31
	s_waitcnt lgkmcnt(10)
	v_mov_b32_e32 v18, v35
	v_cndmask_b32_e64 v27, 0, 1, vcc
	v_cmp_ne_u32_e32 vcc, v29, v32
	s_waitcnt lgkmcnt(9)
	v_mov_b32_e32 v22, v39
	s_waitcnt lgkmcnt(8)
	v_mov_b32_e32 v26, v43
	v_cndmask_b32_e64 v29, 0, 1, vcc
	v_cmp_ne_u32_e32 vcc, v32, v33
	v_mov_b32_e32 v12, v30
	s_waitcnt lgkmcnt(7)
	v_mov_b32_e32 v30, v47
	v_cndmask_b32_e64 v31, 0, 1, vcc
	v_cmp_ne_u32_e32 vcc, v33, v36
	;; [unrolled: 5-line block ×5, first 2 shown]
	v_mov_b32_e32 v28, v46
	v_mov_b32_e32 v32, v48
	v_cndmask_b32_e64 v39, 0, 1, vcc
	v_cmp_ne_u32_e32 vcc, v41, v44
	v_mov_b32_e32 v36, v50
	v_mov_b32_e32 v40, v52
	v_cndmask_b32_e64 v41, 0, 1, vcc
	v_cmp_ne_u32_e32 vcc, v44, v45
	s_waitcnt lgkmcnt(3)
	v_mov_b32_e32 v44, v54
	v_mov_b32_e32 v46, v55
	v_cndmask_b32_e64 v43, 0, 1, vcc
	v_cmp_ne_u32_e32 vcc, v45, v8
	s_waitcnt lgkmcnt(2)
	;; [unrolled: 5-line block ×3, first 2 shown]
	v_mov_b32_e32 v52, v58
	v_mov_b32_e32 v54, v59
	v_cndmask_b32_e64 v47, 0, 1, vcc
	v_cmp_ne_u32_e32 vcc, v9, v6
	s_nop 1
	v_cndmask_b32_e64 v49, 0, 1, vcc
	v_cmp_ne_u32_e32 vcc, v6, v7
	s_nop 1
	;; [unrolled: 3-line block ×4, first 2 shown]
	v_cndmask_b32_e64 v55, 0, 1, vcc
.LBB58_144:
	v_mov_b64_e32 v[56:57], s[8:9]
	s_and_saveexec_b64 s[4:5], s[12:13]
	s_cbranch_execz .LBB58_146
; %bb.145:
	v_cndmask_b32_e64 v57, 0, 1, s[10:11]
	s_waitcnt lgkmcnt(0)
	v_mov_b32_e32 v56, v3
.LBB58_146:
	s_or_b64 exec, exec, s[4:5]
	s_mov_b32 s48, 0
	s_cmp_lg_u32 s2, 0
	v_or_b32_e32 v11, v57, v55
	v_lshrrev_b32_e32 v1, 5, v0
	v_cmp_gt_u32_e32 vcc, 64, v0
	s_waitcnt lgkmcnt(0)
	s_barrier
	s_cbranch_scc0 .LBB58_181
; %bb.147:
	s_mov_b32 s49, 1
	v_cmp_gt_u64_e64 s[4:5], s[48:49], v[14:15]
	v_cmp_gt_u64_e64 s[6:7], s[48:49], v[16:17]
	v_cmp_gt_u64_e64 s[8:9], s[48:49], v[18:19]
	v_cndmask_b32_e64 v2, 0, v12, s[4:5]
	v_add_u32_e32 v2, v2, v14
	v_cndmask_b32_e64 v2, 0, v2, s[6:7]
	v_add_u32_e32 v2, v2, v16
	v_cndmask_b32_e64 v2, 0, v2, s[8:9]
	v_add_u32_e32 v2, v2, v18
	v_cmp_gt_u64_e64 s[10:11], s[48:49], v[20:21]
	v_cmp_gt_u64_e64 s[12:13], s[48:49], v[22:23]
	v_cmp_gt_u64_e64 s[14:15], s[48:49], v[24:25]
	v_cndmask_b32_e64 v2, 0, v2, s[10:11]
	v_add_u32_e32 v2, v2, v20
	v_cndmask_b32_e64 v2, 0, v2, s[12:13]
	v_add_u32_e32 v2, v2, v22
	v_cndmask_b32_e64 v2, 0, v2, s[14:15]
	v_add_u32_e32 v2, v2, v24
	;; [unrolled: 9-line block ×7, first 2 shown]
	v_cmp_gt_u64_e64 s[48:49], s[48:49], v[56:57]
	s_nop 1
	v_cndmask_b32_e64 v2, 0, v2, s[48:49]
	v_add_u32_e32 v62, v2, v56
	v_or3_b32 v2, v11, v53, v51
	v_or3_b32 v2, v2, v49, v47
	;; [unrolled: 1-line block ×10, first 2 shown]
	v_and_b32_e32 v2, 1, v2
	v_cmp_eq_u32_e64 s[50:51], 1, v2
	v_add_lshl_u32 v2, v1, v0, 3
	s_nop 0
	v_cndmask_b32_e64 v63, v13, 1, s[50:51]
	ds_write_b32 v2, v62
	ds_write_b8 v2, v63 offset:4
	s_waitcnt lgkmcnt(0)
	s_barrier
	s_and_saveexec_b64 s[72:73], vcc
	s_cbranch_execz .LBB58_159
; %bb.148:
	v_lshrrev_b32_e32 v2, 3, v0
	v_add_lshl_u32 v6, v2, v10, 3
	ds_read2_b32 v[2:3], v6 offset0:2 offset1:4
	ds_read_b64 v[4:5], v6
	ds_read_u8 v9, v6 offset:12
	ds_read_u8 v58, v6 offset:20
	ds_read_b32 v7, v6 offset:24
	ds_read_u8 v59, v6 offset:28
	s_waitcnt lgkmcnt(4)
	v_and_b32_e32 v8, 1, v5
	s_waitcnt lgkmcnt(3)
	v_cmp_eq_u16_e64 s[50:51], 0, v9
	v_and_b32_e32 v9, 1, v9
	s_waitcnt lgkmcnt(2)
	v_cmp_eq_u16_e64 s[52:53], 0, v58
	v_cndmask_b32_e64 v60, 0, v4, s[50:51]
	v_add_u32_e32 v60, v60, v2
	v_cmp_eq_u32_e64 s[56:57], 1, v9
	v_cndmask_b32_e64 v9, 0, v60, s[52:53]
	v_add_u32_e32 v9, v9, v3
	s_waitcnt lgkmcnt(0)
	v_cmp_eq_u16_e64 s[54:55], 0, v59
	v_and_b32_e32 v58, 1, v58
	v_cmp_eq_u32_e64 s[58:59], 1, v58
	v_cndmask_b32_e64 v9, 0, v9, s[54:55]
	v_add_u32_e32 v58, v9, v7
	v_and_b32_e32 v9, 1, v59
	v_cmp_eq_u32_e64 s[60:61], 1, v9
	s_or_b64 s[62:63], s[60:61], s[58:59]
	s_or_b64 s[62:63], s[62:63], s[56:57]
	v_mbcnt_lo_u32_b32 v59, -1, 0
	v_cndmask_b32_e64 v60, v8, 1, s[62:63]
	v_and_b32_e32 v9, 0xffffff00, v5
	v_mbcnt_hi_u32_b32 v59, -1, v59
	v_and_b32_e32 v65, 15, v59
	v_or_b32_sdwa v61, v9, v60 dst_sel:DWORD dst_unused:UNUSED_PAD src0_sel:DWORD src1_sel:WORD_0
	v_mov_b32_dpp v64, v58 row_shr:1 row_mask:0xf bank_mask:0xf
	v_cmp_ne_u32_e64 s[62:63], 0, v65
	v_mov_b32_dpp v66, v61 row_shr:1 row_mask:0xf bank_mask:0xf
	s_and_saveexec_b64 s[74:75], s[62:63]
; %bb.149:
	v_and_b32_e32 v61, 1, v60
	v_and_b32_e32 v66, 1, v66
	v_cmp_eq_u32_e64 s[62:63], 1, v61
	s_nop 1
	v_cndmask_b32_e64 v66, v66, 1, s[62:63]
	v_cmp_eq_u16_e64 s[62:63], 0, v60
	v_or_b32_sdwa v61, v9, v66 dst_sel:DWORD dst_unused:UNUSED_PAD src0_sel:DWORD src1_sel:WORD_0
	s_nop 0
	v_cndmask_b32_e64 v60, 0, v64, s[62:63]
	v_add_u32_e32 v58, v60, v58
	v_mov_b32_e32 v60, v66
; %bb.150:
	s_or_b64 exec, exec, s[74:75]
	v_mov_b32_dpp v66, v58 row_shr:2 row_mask:0xf bank_mask:0xf
	v_mov_b32_dpp v67, v61 row_shr:2 row_mask:0xf bank_mask:0xf
	v_cmp_lt_u32_e64 s[62:63], 1, v65
	v_mov_b32_e32 v64, v61
	s_and_saveexec_b64 s[74:75], s[62:63]
; %bb.151:
	v_and_b32_e32 v60, 1, v61
	v_and_b32_e32 v64, 1, v67
	v_cmp_eq_u32_e64 s[62:63], 1, v60
	s_nop 1
	v_cndmask_b32_e64 v60, v64, 1, s[62:63]
	v_mov_b32_e32 v64, 0
	v_cmp_eq_u16_sdwa s[62:63], v61, v64 src0_sel:BYTE_0 src1_sel:DWORD
	v_mov_b32_e32 v64, v60
	s_nop 0
	v_cndmask_b32_e64 v61, 0, v66, s[62:63]
	v_add_u32_e32 v58, v61, v58
	v_or_b32_sdwa v61, v9, v60 dst_sel:DWORD dst_unused:UNUSED_PAD src0_sel:DWORD src1_sel:WORD_0
; %bb.152:
	s_or_b64 exec, exec, s[74:75]
	v_mov_b32_dpp v66, v58 row_shr:4 row_mask:0xf bank_mask:0xf
	v_mov_b32_dpp v67, v61 row_shr:4 row_mask:0xf bank_mask:0xf
	v_cmp_lt_u32_e64 s[62:63], 3, v65
	s_and_saveexec_b64 s[74:75], s[62:63]
; %bb.153:
	v_and_b32_e32 v60, 1, v64
	v_and_b32_e32 v61, 1, v67
	v_cmp_eq_u32_e64 s[62:63], 1, v60
	s_nop 1
	v_cndmask_b32_e64 v60, v61, 1, s[62:63]
	v_mov_b32_e32 v61, 0
	v_cmp_eq_u16_sdwa s[62:63], v64, v61 src0_sel:BYTE_0 src1_sel:DWORD
	v_mov_b32_e32 v64, v60
	s_nop 0
	v_cndmask_b32_e64 v61, 0, v66, s[62:63]
	v_add_u32_e32 v58, v61, v58
	v_or_b32_sdwa v61, v9, v60 dst_sel:DWORD dst_unused:UNUSED_PAD src0_sel:DWORD src1_sel:WORD_0
; %bb.154:
	s_or_b64 exec, exec, s[74:75]
	v_mov_b32_dpp v66, v58 row_shr:8 row_mask:0xf bank_mask:0xf
	v_mov_b32_dpp v67, v61 row_shr:8 row_mask:0xf bank_mask:0xf
	v_cmp_lt_u32_e64 s[62:63], 7, v65
	s_and_saveexec_b64 s[74:75], s[62:63]
; %bb.155:
	v_and_b32_e32 v60, 1, v64
	v_and_b32_e32 v61, 1, v67
	v_cmp_eq_u32_e64 s[62:63], 1, v60
	s_nop 1
	v_cndmask_b32_e64 v60, v61, 1, s[62:63]
	v_mov_b32_e32 v61, 0
	v_cmp_eq_u16_sdwa s[62:63], v64, v61 src0_sel:BYTE_0 src1_sel:DWORD
	v_mov_b32_e32 v64, v60
	s_nop 0
	v_cndmask_b32_e64 v61, 0, v66, s[62:63]
	v_add_u32_e32 v58, v61, v58
	v_or_b32_sdwa v61, v9, v60 dst_sel:DWORD dst_unused:UNUSED_PAD src0_sel:DWORD src1_sel:WORD_0
; %bb.156:
	s_or_b64 exec, exec, s[74:75]
	v_and_b32_e32 v67, 16, v59
	v_mov_b32_dpp v65, v58 row_bcast:15 row_mask:0xf bank_mask:0xf
	v_mov_b32_dpp v66, v61 row_bcast:15 row_mask:0xf bank_mask:0xf
	v_cmp_ne_u32_e64 s[62:63], 0, v67
	s_and_saveexec_b64 s[74:75], s[62:63]
; %bb.157:
	v_and_b32_e32 v60, 1, v64
	v_and_b32_e32 v61, 1, v66
	v_cmp_eq_u32_e64 s[62:63], 1, v60
	s_nop 1
	v_cndmask_b32_e64 v60, v61, 1, s[62:63]
	v_mov_b32_e32 v61, 0
	v_cmp_eq_u16_sdwa s[62:63], v64, v61 src0_sel:BYTE_0 src1_sel:DWORD
	v_mov_b32_e32 v64, v60
	s_nop 0
	v_cndmask_b32_e64 v61, 0, v65, s[62:63]
	v_add_u32_e32 v58, v61, v58
	v_or_b32_sdwa v61, v9, v60 dst_sel:DWORD dst_unused:UNUSED_PAD src0_sel:DWORD src1_sel:WORD_0
; %bb.158:
	s_or_b64 exec, exec, s[74:75]
	s_nop 0
	v_mov_b32_dpp v61, v61 row_bcast:31 row_mask:0xf bank_mask:0xf
	v_and_b32_e32 v66, 1, v64
	v_and_b32_e32 v61, 1, v61
	v_cmp_eq_u32_e64 s[62:63], 1, v66
	v_mov_b32_e32 v66, 0
	v_cmp_eq_u16_sdwa s[74:75], v64, v66 src0_sel:BYTE_0 src1_sel:DWORD
	v_cndmask_b32_e64 v61, v61, 1, s[62:63]
	v_cmp_lt_u32_e64 s[62:63], 31, v59
	v_mov_b32_dpp v65, v58 row_bcast:31 row_mask:0xf bank_mask:0xf
	v_and_b32_e32 v64, 64, v59
	v_cndmask_b32_e64 v60, v60, v61, s[62:63]
	s_and_b64 s[62:63], s[62:63], s[74:75]
	v_cndmask_b32_e64 v61, 0, v65, s[62:63]
	v_add_u32_e32 v58, v61, v58
	v_add_u32_e32 v61, -1, v59
	v_cmp_lt_i32_e64 s[62:63], v61, v64
	v_or_b32_sdwa v9, v9, v60 dst_sel:DWORD dst_unused:UNUSED_PAD src0_sel:DWORD src1_sel:WORD_0
	s_nop 0
	v_cndmask_b32_e64 v59, v61, v59, s[62:63]
	v_lshlrev_b32_e32 v59, 2, v59
	ds_bpermute_b32 v58, v59, v58
	ds_bpermute_b32 v9, v59, v9
	v_cmp_eq_u16_sdwa s[62:63], v5, v66 src0_sel:BYTE_0 src1_sel:DWORD
	s_waitcnt lgkmcnt(1)
	s_nop 0
	v_cndmask_b32_e64 v5, 0, v58, s[62:63]
	v_add_u32_e32 v4, v5, v4
	s_waitcnt lgkmcnt(0)
	v_and_b32_e32 v5, 1, v9
	v_cmp_eq_u32_e64 s[62:63], 1, v8
	s_nop 1
	v_cndmask_b32_e64 v5, v5, 1, s[62:63]
	v_cmp_eq_u32_e64 s[62:63], 0, v0
	s_nop 1
	v_cndmask_b32_e64 v4, v4, v62, s[62:63]
	v_cndmask_b32_e64 v8, 0, v4, s[50:51]
	;; [unrolled: 1-line block ×3, first 2 shown]
	v_add_u32_e32 v2, v8, v2
	ds_write_b8 v6, v5 offset:4
	v_cndmask_b32_e64 v5, v5, 1, s[56:57]
	ds_write2_b32 v6, v4, v2 offset1:2
	ds_write_b8 v6, v5 offset:12
	v_cndmask_b32_e64 v2, 0, v2, s[52:53]
	v_add_u32_e32 v2, v2, v3
	v_cndmask_b32_e64 v4, 0, v2, s[54:55]
	v_cndmask_b32_e64 v3, v5, 1, s[58:59]
	v_add_u32_e32 v4, v4, v7
	ds_write_b8 v6, v3 offset:20
	v_cndmask_b32_e64 v3, v3, 1, s[60:61]
	ds_write2_b32 v6, v2, v4 offset0:4 offset1:6
	ds_write_b8 v6, v3 offset:28
.LBB58_159:
	s_or_b64 exec, exec, s[72:73]
	v_cmp_eq_u32_e64 s[50:51], 0, v0
	v_cmp_ne_u32_e64 s[52:53], 0, v0
	s_waitcnt lgkmcnt(0)
	s_barrier
	s_and_saveexec_b64 s[54:55], s[52:53]
	s_cbranch_execz .LBB58_161
; %bb.160:
	v_add_u32_e32 v2, -1, v0
	v_lshrrev_b32_e32 v3, 5, v2
	v_add_lshl_u32 v2, v3, v2, 3
	ds_read_b32 v62, v2
	ds_read_u8 v63, v2 offset:4
.LBB58_161:
	s_or_b64 exec, exec, s[54:55]
	s_and_saveexec_b64 s[56:57], vcc
	s_cbranch_execz .LBB58_180
; %bb.162:
	v_mov_b32_e32 v5, 0
	ds_read_b64 v[2:3], v5 offset:2096
	v_mbcnt_lo_u32_b32 v4, -1, 0
	v_mbcnt_hi_u32_b32 v73, -1, v4
	s_mov_b32 s59, 0
	v_cmp_eq_u32_e64 s[52:53], 0, v73
	s_waitcnt lgkmcnt(0)
	v_readfirstlane_b32 s3, v3
	s_and_saveexec_b64 s[54:55], s[52:53]
	s_cbranch_execz .LBB58_164
; %bb.163:
	s_add_i32 s58, s2, 64
	s_lshl_b64 s[60:61], s[58:59], 4
	s_add_u32 s60, s68, s60
	s_addc_u32 s61, s69, s61
	s_and_b32 s63, s3, 0xff000000
	s_mov_b32 s62, s59
	s_and_b32 s73, s3, 0xff0000
	s_mov_b32 s72, s59
	s_or_b64 s[62:63], s[72:73], s[62:63]
	s_and_b32 s73, s3, 0xff00
	s_or_b64 s[62:63], s[62:63], s[72:73]
	s_and_b32 s73, s3, 0xff
	s_or_b64 s[58:59], s[62:63], s[72:73]
	v_mov_b32_e32 v3, s59
	v_mov_b32_e32 v4, 1
	v_mov_b64_e32 v[6:7], s[60:61]
	;;#ASMSTART
	global_store_dwordx4 v[6:7], v[2:5] off sc1	
s_waitcnt vmcnt(0)
	;;#ASMEND
.LBB58_164:
	s_or_b64 exec, exec, s[54:55]
	v_xad_u32 v58, v73, -1, s2
	v_add_u32_e32 v4, 64, v58
	v_lshl_add_u64 v[60:61], v[4:5], 4, s[68:69]
	;;#ASMSTART
	global_load_dwordx4 v[6:9], v[60:61] off sc1	
s_waitcnt vmcnt(0)
	;;#ASMEND
	s_nop 0
	v_cmp_eq_u16_sdwa s[58:59], v8, v5 src0_sel:BYTE_0 src1_sel:DWORD
	s_and_saveexec_b64 s[54:55], s[58:59]
	s_cbranch_execz .LBB58_168
; %bb.165:
	s_mov_b64 s[58:59], 0
	v_mov_b32_e32 v3, 0
.LBB58_166:                             ; =>This Inner Loop Header: Depth=1
	;;#ASMSTART
	global_load_dwordx4 v[6:9], v[60:61] off sc1	
s_waitcnt vmcnt(0)
	;;#ASMEND
	s_nop 0
	v_cmp_ne_u16_sdwa s[60:61], v8, v3 src0_sel:BYTE_0 src1_sel:DWORD
	s_or_b64 s[58:59], s[60:61], s[58:59]
	s_andn2_b64 exec, exec, s[58:59]
	s_cbranch_execnz .LBB58_166
; %bb.167:
	s_or_b64 exec, exec, s[58:59]
.LBB58_168:
	s_or_b64 exec, exec, s[54:55]
	v_mov_b32_e32 v3, 2
	v_cmp_eq_u16_sdwa s[54:55], v8, v3 src0_sel:BYTE_0 src1_sel:DWORD
	v_lshlrev_b64 v[4:5], v73, -1
	v_and_b32_e32 v75, 63, v73
	v_and_b32_e32 v9, s55, v5
	v_or_b32_e32 v9, 0x80000000, v9
	v_and_b32_e32 v59, s54, v4
	v_ffbl_b32_e32 v9, v9
	v_add_u32_e32 v9, 32, v9
	v_ffbl_b32_e32 v59, v59
	v_cmp_ne_u32_e32 vcc, 63, v75
	v_min_u32_e32 v9, v59, v9
	v_and_b32_e32 v61, 0xff, v7
	v_addc_co_u32_e32 v59, vcc, 0, v73, vcc
	v_lshlrev_b32_e32 v64, 2, v59
	ds_bpermute_b32 v59, v64, v61
	ds_bpermute_b32 v66, v64, v6
	s_mov_b32 s58, 0
	v_and_b32_e32 v7, 1, v7
	v_mov_b32_e32 v60, v6
	s_mov_b32 s59, 1
	s_waitcnt lgkmcnt(1)
	v_and_b32_e32 v59, 1, v59
	v_cmp_eq_u32_e32 vcc, 1, v7
	v_add_u32_e32 v65, 1, v73
	v_add_u32_e32 v67, 2, v73
	v_cndmask_b32_e64 v7, v59, 1, vcc
	v_cmp_gt_u64_e32 vcc, s[58:59], v[60:61]
	v_and_b32_e32 v59, 0xffff, v7
	v_add_u32_e32 v69, 4, v73
	s_waitcnt lgkmcnt(0)
	v_cndmask_b32_e32 v60, 0, v66, vcc
	v_cmp_gt_u32_e32 vcc, v65, v9
	v_add_u32_e32 v71, 8, v73
	v_add_u32_e32 v74, 16, v73
	v_cndmask_b32_e32 v7, v7, v61, vcc
	v_cndmask_b32_e64 v60, v60, 0, vcc
	v_cndmask_b32_e32 v59, v59, v61, vcc
	v_cmp_gt_u32_e32 vcc, 62, v75
	v_add_u32_e32 v6, v60, v6
	v_and_b32_e32 v68, 1, v7
	v_cndmask_b32_e64 v61, 0, 1, vcc
	v_lshlrev_b32_e32 v61, 1, v61
	v_add_lshl_u32 v66, v61, v73, 2
	ds_bpermute_b32 v61, v66, v59
	ds_bpermute_b32 v60, v66, v6
	v_cmp_eq_u32_e32 vcc, 1, v68
	v_cmp_gt_u32_e64 s[54:55], 32, v75
	s_waitcnt lgkmcnt(1)
	v_and_b32_e32 v61, 1, v61
	v_cndmask_b32_e64 v61, v61, 1, vcc
	v_cmp_eq_u16_e32 vcc, 0, v7
	v_and_b32_e32 v68, 0xffff, v61
	s_waitcnt lgkmcnt(0)
	v_cndmask_b32_e32 v60, 0, v60, vcc
	v_cmp_gt_u32_e32 vcc, v67, v9
	s_nop 1
	v_cndmask_b32_e32 v7, v61, v7, vcc
	v_cndmask_b32_e64 v60, v60, 0, vcc
	v_cndmask_b32_e32 v59, v68, v59, vcc
	v_cmp_gt_u32_e32 vcc, 60, v75
	v_add_u32_e32 v6, v60, v6
	v_and_b32_e32 v70, 1, v7
	v_cndmask_b32_e64 v61, 0, 1, vcc
	v_lshlrev_b32_e32 v61, 2, v61
	v_add_lshl_u32 v68, v61, v73, 2
	ds_bpermute_b32 v61, v68, v59
	ds_bpermute_b32 v60, v68, v6
	v_cmp_eq_u32_e32 vcc, 1, v70
	s_waitcnt lgkmcnt(1)
	v_and_b32_e32 v61, 1, v61
	v_cndmask_b32_e64 v61, v61, 1, vcc
	v_cmp_eq_u16_e32 vcc, 0, v7
	v_and_b32_e32 v70, 0xffff, v61
	s_waitcnt lgkmcnt(0)
	v_cndmask_b32_e32 v60, 0, v60, vcc
	v_cmp_gt_u32_e32 vcc, v69, v9
	s_nop 1
	v_cndmask_b32_e32 v7, v61, v7, vcc
	v_cndmask_b32_e64 v60, v60, 0, vcc
	v_cndmask_b32_e32 v59, v70, v59, vcc
	v_cmp_gt_u32_e32 vcc, 56, v75
	v_add_u32_e32 v6, v60, v6
	v_and_b32_e32 v72, 1, v7
	v_cndmask_b32_e64 v61, 0, 1, vcc
	v_lshlrev_b32_e32 v61, 3, v61
	v_add_lshl_u32 v70, v61, v73, 2
	ds_bpermute_b32 v61, v70, v59
	ds_bpermute_b32 v60, v70, v6
	v_cmp_eq_u32_e32 vcc, 1, v72
	;; [unrolled: 21-line block ×3, first 2 shown]
	s_waitcnt lgkmcnt(1)
	v_and_b32_e32 v59, 1, v59
	v_cndmask_b32_e64 v76, v59, 1, vcc
	v_mov_b32_e32 v59, 0
	v_cmp_eq_u16_sdwa vcc, v7, v59 src0_sel:BYTE_0 src1_sel:DWORD
	v_and_b32_e32 v77, 0xffff, v76
	s_waitcnt lgkmcnt(0)
	v_cndmask_b32_e32 v60, 0, v60, vcc
	v_cmp_gt_u32_e32 vcc, v74, v9
	s_nop 1
	v_cndmask_b32_e64 v60, v60, 0, vcc
	v_add_u32_e32 v6, v60, v6
	v_cndmask_b32_e64 v60, 0, 1, s[54:55]
	v_lshlrev_b32_e32 v60, 5, v60
	v_cndmask_b32_e32 v7, v76, v7, vcc
	v_add_lshl_u32 v76, v60, v73, 2
	v_cndmask_b32_e32 v61, v77, v61, vcc
	ds_bpermute_b32 v60, v76, v6
	ds_bpermute_b32 v61, v76, v61
	v_add_u32_e32 v77, 32, v73
	v_cmp_eq_u16_sdwa vcc, v7, v59 src0_sel:BYTE_0 src1_sel:DWORD
	v_and_b32_e32 v73, 1, v7
	s_waitcnt lgkmcnt(0)
	v_and_b32_e32 v61, 1, v61
	v_cndmask_b32_e32 v60, 0, v60, vcc
	v_cmp_eq_u32_e32 vcc, 1, v73
	s_nop 1
	v_cndmask_b32_e64 v61, v61, 1, vcc
	v_cmp_gt_u32_e32 vcc, v77, v9
	s_nop 1
	v_cndmask_b32_e64 v9, v60, 0, vcc
	v_cndmask_b32_e32 v7, v61, v7, vcc
	v_add_u32_e32 v6, v9, v6
	s_branch .LBB58_170
.LBB58_169:                             ;   in Loop: Header=BB58_170 Depth=1
	s_or_b64 exec, exec, s[54:55]
	v_cmp_eq_u16_sdwa s[54:55], v8, v3 src0_sel:BYTE_0 src1_sel:DWORD
	v_and_b32_e32 v61, 0xff, v7
	ds_bpermute_b32 v79, v64, v61
	v_and_b32_e32 v9, s55, v5
	v_or_b32_e32 v9, 0x80000000, v9
	v_and_b32_e32 v78, s54, v4
	v_ffbl_b32_e32 v9, v9
	v_add_u32_e32 v9, 32, v9
	v_ffbl_b32_e32 v78, v78
	v_min_u32_e32 v9, v78, v9
	ds_bpermute_b32 v78, v64, v6
	v_and_b32_e32 v7, 1, v7
	v_mov_b32_e32 v60, v6
	s_waitcnt lgkmcnt(1)
	v_and_b32_e32 v79, 1, v79
	v_cmp_eq_u32_e32 vcc, 1, v7
	v_subrev_u32_e32 v58, 64, v58
	s_nop 0
	v_cndmask_b32_e64 v7, v79, 1, vcc
	v_cmp_gt_u64_e32 vcc, s[58:59], v[60:61]
	v_and_b32_e32 v79, 0xffff, v7
	s_waitcnt lgkmcnt(0)
	v_cndmask_b32_e32 v60, 0, v78, vcc
	v_cmp_gt_u32_e32 vcc, v65, v9
	s_nop 1
	v_cndmask_b32_e32 v7, v7, v61, vcc
	v_cndmask_b32_e32 v61, v79, v61, vcc
	ds_bpermute_b32 v78, v66, v61
	v_cndmask_b32_e64 v60, v60, 0, vcc
	v_add_u32_e32 v6, v60, v6
	ds_bpermute_b32 v60, v66, v6
	v_and_b32_e32 v79, 1, v7
	s_waitcnt lgkmcnt(1)
	v_and_b32_e32 v78, 1, v78
	v_cmp_eq_u32_e32 vcc, 1, v79
	s_nop 1
	v_cndmask_b32_e64 v78, v78, 1, vcc
	v_cmp_eq_u16_e32 vcc, 0, v7
	v_and_b32_e32 v79, 0xffff, v78
	s_waitcnt lgkmcnt(0)
	v_cndmask_b32_e32 v60, 0, v60, vcc
	v_cmp_gt_u32_e32 vcc, v67, v9
	s_nop 1
	v_cndmask_b32_e32 v61, v79, v61, vcc
	v_cndmask_b32_e32 v7, v78, v7, vcc
	ds_bpermute_b32 v78, v68, v61
	v_cndmask_b32_e64 v60, v60, 0, vcc
	v_add_u32_e32 v6, v60, v6
	ds_bpermute_b32 v60, v68, v6
	v_and_b32_e32 v79, 1, v7
	s_waitcnt lgkmcnt(1)
	v_and_b32_e32 v78, 1, v78
	v_cmp_eq_u32_e32 vcc, 1, v79
	s_nop 1
	v_cndmask_b32_e64 v78, v78, 1, vcc
	v_cmp_eq_u16_e32 vcc, 0, v7
	;; [unrolled: 18-line block ×3, first 2 shown]
	v_and_b32_e32 v79, 0xffff, v78
	s_waitcnt lgkmcnt(0)
	v_cndmask_b32_e32 v60, 0, v60, vcc
	v_cmp_gt_u32_e32 vcc, v71, v9
	s_nop 1
	v_cndmask_b32_e32 v61, v79, v61, vcc
	v_cndmask_b32_e32 v7, v78, v7, vcc
	ds_bpermute_b32 v78, v72, v61
	v_cndmask_b32_e64 v60, v60, 0, vcc
	v_add_u32_e32 v6, v60, v6
	ds_bpermute_b32 v60, v72, v6
	v_and_b32_e32 v79, 1, v7
	s_waitcnt lgkmcnt(1)
	v_and_b32_e32 v78, 1, v78
	v_cmp_eq_u32_e32 vcc, 1, v79
	s_nop 1
	v_cndmask_b32_e64 v78, v78, 1, vcc
	v_cmp_eq_u16_sdwa vcc, v7, v59 src0_sel:BYTE_0 src1_sel:DWORD
	s_waitcnt lgkmcnt(0)
	s_nop 0
	v_cndmask_b32_e32 v60, 0, v60, vcc
	v_cmp_gt_u32_e32 vcc, v74, v9
	s_nop 1
	v_cndmask_b32_e64 v60, v60, 0, vcc
	v_cndmask_b32_e32 v7, v78, v7, vcc
	v_add_u32_e32 v6, v60, v6
	v_and_b32_e32 v78, 0xffff, v78
	ds_bpermute_b32 v60, v76, v6
	v_cndmask_b32_e32 v61, v78, v61, vcc
	ds_bpermute_b32 v61, v76, v61
	v_cmp_eq_u16_sdwa vcc, v7, v59 src0_sel:BYTE_0 src1_sel:DWORD
	v_and_b32_e32 v78, 1, v7
	s_waitcnt lgkmcnt(1)
	v_cndmask_b32_e32 v60, 0, v60, vcc
	v_cmp_eq_u32_e32 vcc, 1, v78
	s_waitcnt lgkmcnt(0)
	s_nop 0
	v_cndmask_b32_e64 v61, v61, 1, vcc
	v_cmp_gt_u32_e32 vcc, v77, v9
	s_nop 1
	v_cndmask_b32_e64 v9, v60, 0, vcc
	v_cndmask_b32_e32 v7, v61, v7, vcc
	v_add_u32_e32 v6, v9, v6
	v_cmp_eq_u16_sdwa vcc, v73, v59 src0_sel:BYTE_0 src1_sel:DWORD
	v_and_b32_e32 v9, 1, v73
	v_and_b32_e32 v7, 1, v7
	v_cndmask_b32_e32 v6, 0, v6, vcc
	v_cmp_eq_u32_e32 vcc, 1, v9
	v_add_u32_e32 v6, v6, v75
	s_nop 0
	v_cndmask_b32_e64 v7, v7, 1, vcc
.LBB58_170:                             ; =>This Loop Header: Depth=1
                                        ;     Child Loop BB58_173 Depth 2
	v_cmp_ne_u16_sdwa s[54:55], v8, v3 src0_sel:BYTE_0 src1_sel:DWORD
	v_mov_b32_e32 v73, v7
	v_mov_b32_e32 v75, v6
	v_cndmask_b32_e64 v7, 0, 1, s[54:55]
	;;#ASMSTART
	;;#ASMEND
	s_nop 0
	v_cmp_ne_u32_e32 vcc, 0, v7
	s_cmp_lg_u64 vcc, exec
	s_cbranch_scc1 .LBB58_175
; %bb.171:                              ;   in Loop: Header=BB58_170 Depth=1
	v_lshl_add_u64 v[60:61], v[58:59], 4, s[68:69]
	;;#ASMSTART
	global_load_dwordx4 v[6:9], v[60:61] off sc1	
s_waitcnt vmcnt(0)
	;;#ASMEND
	s_nop 0
	v_cmp_eq_u16_sdwa s[60:61], v8, v59 src0_sel:BYTE_0 src1_sel:DWORD
	s_and_saveexec_b64 s[54:55], s[60:61]
	s_cbranch_execz .LBB58_169
; %bb.172:                              ;   in Loop: Header=BB58_170 Depth=1
	s_mov_b64 s[60:61], 0
.LBB58_173:                             ;   Parent Loop BB58_170 Depth=1
                                        ; =>  This Inner Loop Header: Depth=2
	;;#ASMSTART
	global_load_dwordx4 v[6:9], v[60:61] off sc1	
s_waitcnt vmcnt(0)
	;;#ASMEND
	s_nop 0
	v_cmp_ne_u16_sdwa s[62:63], v8, v59 src0_sel:BYTE_0 src1_sel:DWORD
	s_or_b64 s[60:61], s[62:63], s[60:61]
	s_andn2_b64 exec, exec, s[60:61]
	s_cbranch_execnz .LBB58_173
; %bb.174:                              ;   in Loop: Header=BB58_170 Depth=1
	s_or_b64 exec, exec, s[60:61]
	s_branch .LBB58_169
.LBB58_175:                             ;   in Loop: Header=BB58_170 Depth=1
                                        ; implicit-def: $vgpr7
                                        ; implicit-def: $vgpr6
                                        ; implicit-def: $vgpr8
	s_cbranch_execz .LBB58_170
; %bb.176:
	s_and_saveexec_b64 s[54:55], s[52:53]
	s_cbranch_execz .LBB58_178
; %bb.177:
	s_and_b32 s52, s3, 0xff
	s_cmp_eq_u32 s52, 0
	s_cselect_b64 vcc, -1, 0
	s_bitcmp1_b32 s3, 0
	s_mov_b32 s53, 0
	s_cselect_b64 s[58:59], -1, 0
	s_add_i32 s52, s2, 64
	s_lshl_b64 s[2:3], s[52:53], 4
	v_cndmask_b32_e32 v3, 0, v75, vcc
	s_add_u32 s2, s68, s2
	v_add_u32_e32 v2, v3, v2
	v_and_b32_e32 v3, 1, v73
	s_addc_u32 s3, s69, s3
	v_mov_b32_e32 v5, 0
	v_cndmask_b32_e64 v3, v3, 1, s[58:59]
	v_mov_b32_e32 v4, 2
	v_mov_b64_e32 v[6:7], s[2:3]
	;;#ASMSTART
	global_store_dwordx4 v[6:7], v[2:5] off sc1	
s_waitcnt vmcnt(0)
	;;#ASMEND
.LBB58_178:
	s_or_b64 exec, exec, s[54:55]
	s_and_b64 exec, exec, s[50:51]
	s_cbranch_execz .LBB58_180
; %bb.179:
	v_mov_b32_e32 v2, 0
	ds_write_b32 v2, v75
	ds_write_b8 v2, v73 offset:4
.LBB58_180:
	s_or_b64 exec, exec, s[56:57]
	s_mov_b32 s2, 0
	v_mov_b32_e32 v2, 0
	s_mov_b32 s3, 1
	s_waitcnt lgkmcnt(0)
	s_barrier
	ds_read_b32 v3, v2
	v_cmp_gt_u64_e32 vcc, s[2:3], v[12:13]
	v_and_b32_e32 v5, 1, v13
	s_nop 0
	v_cndmask_b32_e32 v4, 0, v62, vcc
	v_cmp_eq_u32_e32 vcc, 1, v5
	v_cndmask_b32_e64 v4, v4, 0, s[50:51]
	s_nop 0
	v_cndmask_b32_e64 v5, v63, 1, vcc
	v_cndmask_b32_e64 v5, v5, v13, s[50:51]
	v_cmp_eq_u16_sdwa vcc, v5, v2 src0_sel:BYTE_0 src1_sel:DWORD
	s_waitcnt lgkmcnt(0)
	s_nop 0
	v_cndmask_b32_e32 v2, 0, v3, vcc
	v_add3_u32 v72, v4, v12, v2
	v_cndmask_b32_e64 v2, 0, v72, s[4:5]
	v_add_u32_e32 v2, v2, v14
	v_cndmask_b32_e64 v3, 0, v2, s[6:7]
	v_add_u32_e32 v3, v3, v16
	;; [unrolled: 2-line block ×22, first 2 shown]
	s_branch .LBB58_201
.LBB58_181:
                                        ; implicit-def: $vgpr72_vgpr73
                                        ; implicit-def: $vgpr70_vgpr71
                                        ; implicit-def: $vgpr68_vgpr69
                                        ; implicit-def: $vgpr66_vgpr67
                                        ; implicit-def: $vgpr64_vgpr65
                                        ; implicit-def: $vgpr62_vgpr63
                                        ; implicit-def: $vgpr60_vgpr61
                                        ; implicit-def: $vgpr58_vgpr59
                                        ; implicit-def: $vgpr8_vgpr9
                                        ; implicit-def: $vgpr6_vgpr7
                                        ; implicit-def: $vgpr4_vgpr5
                                        ; implicit-def: $vgpr2_vgpr3
	s_cbranch_execz .LBB58_201
; %bb.182:
	s_cmp_lg_u64 s[76:77], 0
	s_cselect_b64 s[2:3], -1, 0
	v_cmp_eq_u32_e32 vcc, 0, v0
	s_mov_b32 s50, 0
	v_cmp_ne_u32_e64 s[4:5], 0, v0
	s_and_b64 s[2:3], vcc, s[2:3]
	s_and_saveexec_b64 s[6:7], s[2:3]
	s_cbranch_execz .LBB58_184
; %bb.183:
	v_mov_b32_e32 v2, 0
	global_load_ubyte v4, v2, s[76:77] offset:4
	s_load_dword s2, s[76:77], 0x0
	s_mov_b32 s51, 1
	v_and_b32_e32 v3, 1, v13
	s_waitcnt lgkmcnt(0)
	v_mov_b32_e32 v5, s2
	v_cmp_gt_u64_e64 s[2:3], s[50:51], v[12:13]
	s_waitcnt vmcnt(0)
	v_and_b32_e32 v4, 1, v4
	v_cndmask_b32_e64 v5, 0, v5, s[2:3]
	v_cmp_eq_u64_e64 s[2:3], 0, v[2:3]
	v_add_u32_e32 v12, v5, v12
	s_nop 0
	v_cndmask_b32_e64 v13, 1, v4, s[2:3]
.LBB58_184:
	s_or_b64 exec, exec, s[6:7]
	s_mov_b32 s51, 1
	v_cmp_gt_u64_e64 s[6:7], s[50:51], v[14:15]
	v_cmp_gt_u64_e64 s[8:9], s[50:51], v[16:17]
	v_cmp_gt_u64_e64 s[10:11], s[50:51], v[18:19]
	v_cndmask_b32_e64 v2, 0, v12, s[6:7]
	v_add_u32_e32 v2, v2, v14
	v_cndmask_b32_e64 v3, 0, v2, s[8:9]
	v_add_u32_e32 v3, v3, v16
	v_cndmask_b32_e64 v4, 0, v3, s[10:11]
	v_add_u32_e32 v4, v4, v18
	v_cmp_gt_u64_e64 s[12:13], s[50:51], v[20:21]
	v_cmp_gt_u64_e64 s[14:15], s[50:51], v[22:23]
	v_cmp_gt_u64_e64 s[16:17], s[50:51], v[24:25]
	v_cndmask_b32_e64 v5, 0, v4, s[12:13]
	v_add_u32_e32 v5, v5, v20
	v_cndmask_b32_e64 v6, 0, v5, s[14:15]
	v_add_u32_e32 v6, v6, v22
	v_cndmask_b32_e64 v7, 0, v6, s[16:17]
	v_add_u32_e32 v7, v7, v24
	;; [unrolled: 9-line block ×5, first 2 shown]
	v_cmp_gt_u64_e64 s[38:39], s[50:51], v[44:45]
	v_cmp_gt_u64_e64 s[40:41], s[50:51], v[46:47]
	v_or3_b32 v11, v11, v53, v51
	v_cndmask_b32_e64 v65, 0, v64, s[38:39]
	v_add_u32_e32 v65, v65, v44
	v_cndmask_b32_e64 v66, 0, v65, s[40:41]
	v_or3_b32 v11, v11, v49, v47
	v_add_u32_e32 v66, v66, v46
	v_cmp_gt_u64_e64 s[42:43], s[50:51], v[48:49]
	v_or3_b32 v11, v11, v45, v43
	v_or3_b32 v11, v11, v41, v39
	v_cndmask_b32_e64 v67, 0, v66, s[42:43]
	v_add_u32_e32 v67, v67, v48
	v_cmp_gt_u64_e64 s[44:45], s[50:51], v[50:51]
	v_or3_b32 v11, v11, v37, v35
	v_or3_b32 v11, v11, v33, v31
	v_cndmask_b32_e64 v68, 0, v67, s[44:45]
	;; [unrolled: 5-line block ×4, first 2 shown]
	v_add_u32_e32 v70, v55, v54
	v_cmp_gt_u64_e64 s[50:51], s[50:51], v[56:57]
	v_and_b32_e32 v11, 1, v11
	v_cmp_eq_u32_e64 s[2:3], 1, v11
	v_cndmask_b32_e64 v55, 0, v70, s[50:51]
	v_add_u32_e32 v71, v55, v56
	v_cndmask_b32_e64 v11, v13, 1, s[2:3]
	v_add_lshl_u32 v1, v1, v0, 3
	v_cmp_gt_u32_e64 s[2:3], 64, v0
	ds_write_b32 v1, v71
	ds_write_b8 v1, v11 offset:4
	s_waitcnt lgkmcnt(0)
	s_barrier
	s_and_saveexec_b64 s[72:73], s[2:3]
	s_cbranch_execz .LBB58_196
; %bb.185:
	v_lshrrev_b32_e32 v1, 3, v0
	v_add_lshl_u32 v1, v1, v10, 3
	ds_read2_b32 v[72:73], v1 offset0:2 offset1:4
	ds_read_b64 v[74:75], v1
	ds_read_u8 v19, v1 offset:12
	ds_read_u8 v21, v1 offset:20
	ds_read_b32 v15, v1 offset:24
	ds_read_u8 v23, v1 offset:28
	s_waitcnt lgkmcnt(4)
	v_and_b32_e32 v17, 1, v75
	s_waitcnt lgkmcnt(3)
	v_cmp_eq_u16_e64 s[52:53], 0, v19
	v_and_b32_e32 v19, 1, v19
	s_waitcnt lgkmcnt(2)
	v_cmp_eq_u16_e64 s[54:55], 0, v21
	v_cndmask_b32_e64 v25, 0, v74, s[52:53]
	v_add_u32_e32 v25, v25, v72
	v_cmp_eq_u32_e64 s[58:59], 1, v19
	v_cndmask_b32_e64 v19, 0, v25, s[54:55]
	v_add_u32_e32 v19, v19, v73
	s_waitcnt lgkmcnt(0)
	v_cmp_eq_u16_e64 s[56:57], 0, v23
	v_and_b32_e32 v21, 1, v21
	v_cmp_eq_u32_e64 s[60:61], 1, v21
	v_cndmask_b32_e64 v19, 0, v19, s[56:57]
	v_add_u32_e32 v21, v19, v15
	v_and_b32_e32 v19, 1, v23
	v_cmp_eq_u32_e64 s[62:63], 1, v19
	s_or_b64 s[2:3], s[62:63], s[60:61]
	s_or_b64 s[2:3], s[2:3], s[58:59]
	v_mbcnt_lo_u32_b32 v23, -1, 0
	v_cndmask_b32_e64 v25, v17, 1, s[2:3]
	v_and_b32_e32 v19, 0xffffff00, v75
	v_mbcnt_hi_u32_b32 v23, -1, v23
	v_and_b32_e32 v31, 15, v23
	v_or_b32_sdwa v27, v19, v25 dst_sel:DWORD dst_unused:UNUSED_PAD src0_sel:DWORD src1_sel:WORD_0
	v_mov_b32_dpp v29, v21 row_shr:1 row_mask:0xf bank_mask:0xf
	v_cmp_ne_u32_e64 s[2:3], 0, v31
	v_mov_b32_dpp v33, v27 row_shr:1 row_mask:0xf bank_mask:0xf
	s_and_saveexec_b64 s[74:75], s[2:3]
; %bb.186:
	v_and_b32_e32 v27, 1, v25
	v_and_b32_e32 v33, 1, v33
	v_cmp_eq_u32_e64 s[2:3], 1, v27
	s_nop 1
	v_cndmask_b32_e64 v33, v33, 1, s[2:3]
	v_cmp_eq_u16_e64 s[2:3], 0, v25
	v_or_b32_sdwa v27, v19, v33 dst_sel:DWORD dst_unused:UNUSED_PAD src0_sel:DWORD src1_sel:WORD_0
	s_nop 0
	v_cndmask_b32_e64 v25, 0, v29, s[2:3]
	v_add_u32_e32 v21, v25, v21
	v_mov_b32_e32 v25, v33
; %bb.187:
	s_or_b64 exec, exec, s[74:75]
	v_mov_b32_dpp v33, v21 row_shr:2 row_mask:0xf bank_mask:0xf
	v_mov_b32_dpp v35, v27 row_shr:2 row_mask:0xf bank_mask:0xf
	v_cmp_lt_u32_e64 s[2:3], 1, v31
	v_mov_b32_e32 v29, v27
	s_and_saveexec_b64 s[74:75], s[2:3]
; %bb.188:
	v_and_b32_e32 v25, 1, v27
	v_and_b32_e32 v29, 1, v35
	v_cmp_eq_u32_e64 s[2:3], 1, v25
	s_nop 1
	v_cndmask_b32_e64 v25, v29, 1, s[2:3]
	v_mov_b32_e32 v29, 0
	v_cmp_eq_u16_sdwa s[2:3], v27, v29 src0_sel:BYTE_0 src1_sel:DWORD
	v_mov_b32_e32 v29, v25
	s_nop 0
	v_cndmask_b32_e64 v27, 0, v33, s[2:3]
	v_add_u32_e32 v21, v27, v21
	v_or_b32_sdwa v27, v19, v25 dst_sel:DWORD dst_unused:UNUSED_PAD src0_sel:DWORD src1_sel:WORD_0
; %bb.189:
	s_or_b64 exec, exec, s[74:75]
	v_mov_b32_dpp v33, v21 row_shr:4 row_mask:0xf bank_mask:0xf
	v_mov_b32_dpp v35, v27 row_shr:4 row_mask:0xf bank_mask:0xf
	v_cmp_lt_u32_e64 s[2:3], 3, v31
	s_and_saveexec_b64 s[74:75], s[2:3]
; %bb.190:
	v_and_b32_e32 v25, 1, v29
	v_and_b32_e32 v27, 1, v35
	v_cmp_eq_u32_e64 s[2:3], 1, v25
	s_nop 1
	v_cndmask_b32_e64 v25, v27, 1, s[2:3]
	v_mov_b32_e32 v27, 0
	v_cmp_eq_u16_sdwa s[2:3], v29, v27 src0_sel:BYTE_0 src1_sel:DWORD
	v_mov_b32_e32 v29, v25
	s_nop 0
	v_cndmask_b32_e64 v27, 0, v33, s[2:3]
	v_add_u32_e32 v21, v27, v21
	v_or_b32_sdwa v27, v19, v25 dst_sel:DWORD dst_unused:UNUSED_PAD src0_sel:DWORD src1_sel:WORD_0
; %bb.191:
	s_or_b64 exec, exec, s[74:75]
	v_mov_b32_dpp v33, v21 row_shr:8 row_mask:0xf bank_mask:0xf
	v_mov_b32_dpp v35, v27 row_shr:8 row_mask:0xf bank_mask:0xf
	v_cmp_lt_u32_e64 s[2:3], 7, v31
	s_and_saveexec_b64 s[74:75], s[2:3]
; %bb.192:
	v_and_b32_e32 v25, 1, v29
	v_and_b32_e32 v27, 1, v35
	v_cmp_eq_u32_e64 s[2:3], 1, v25
	s_nop 1
	v_cndmask_b32_e64 v25, v27, 1, s[2:3]
	v_mov_b32_e32 v27, 0
	v_cmp_eq_u16_sdwa s[2:3], v29, v27 src0_sel:BYTE_0 src1_sel:DWORD
	v_mov_b32_e32 v29, v25
	s_nop 0
	v_cndmask_b32_e64 v27, 0, v33, s[2:3]
	v_add_u32_e32 v21, v27, v21
	v_or_b32_sdwa v27, v19, v25 dst_sel:DWORD dst_unused:UNUSED_PAD src0_sel:DWORD src1_sel:WORD_0
; %bb.193:
	s_or_b64 exec, exec, s[74:75]
	v_and_b32_e32 v35, 16, v23
	v_mov_b32_dpp v31, v21 row_bcast:15 row_mask:0xf bank_mask:0xf
	v_mov_b32_dpp v33, v27 row_bcast:15 row_mask:0xf bank_mask:0xf
	v_cmp_ne_u32_e64 s[2:3], 0, v35
	s_and_saveexec_b64 s[74:75], s[2:3]
; %bb.194:
	v_and_b32_e32 v25, 1, v29
	v_and_b32_e32 v27, 1, v33
	v_cmp_eq_u32_e64 s[2:3], 1, v25
	s_nop 1
	v_cndmask_b32_e64 v25, v27, 1, s[2:3]
	v_mov_b32_e32 v27, 0
	v_cmp_eq_u16_sdwa s[2:3], v29, v27 src0_sel:BYTE_0 src1_sel:DWORD
	v_mov_b32_e32 v29, v25
	s_nop 0
	v_cndmask_b32_e64 v27, 0, v31, s[2:3]
	v_add_u32_e32 v21, v27, v21
	v_or_b32_sdwa v27, v19, v25 dst_sel:DWORD dst_unused:UNUSED_PAD src0_sel:DWORD src1_sel:WORD_0
; %bb.195:
	s_or_b64 exec, exec, s[74:75]
	s_nop 0
	v_mov_b32_dpp v27, v27 row_bcast:31 row_mask:0xf bank_mask:0xf
	v_and_b32_e32 v33, 1, v29
	v_and_b32_e32 v27, 1, v27
	v_cmp_eq_u32_e64 s[2:3], 1, v33
	v_mov_b32_e32 v33, 0
	v_cmp_eq_u16_sdwa s[74:75], v29, v33 src0_sel:BYTE_0 src1_sel:DWORD
	v_cndmask_b32_e64 v27, v27, 1, s[2:3]
	v_cmp_lt_u32_e64 s[2:3], 31, v23
	v_mov_b32_dpp v31, v21 row_bcast:31 row_mask:0xf bank_mask:0xf
	v_and_b32_e32 v29, 64, v23
	v_cndmask_b32_e64 v25, v25, v27, s[2:3]
	s_and_b64 s[2:3], s[2:3], s[74:75]
	v_cndmask_b32_e64 v27, 0, v31, s[2:3]
	v_add_u32_e32 v21, v27, v21
	v_add_u32_e32 v27, -1, v23
	v_cmp_lt_i32_e64 s[2:3], v27, v29
	v_or_b32_sdwa v19, v19, v25 dst_sel:DWORD dst_unused:UNUSED_PAD src0_sel:DWORD src1_sel:WORD_0
	s_nop 0
	v_cndmask_b32_e64 v23, v27, v23, s[2:3]
	v_lshlrev_b32_e32 v23, 2, v23
	ds_bpermute_b32 v21, v23, v21
	ds_bpermute_b32 v19, v23, v19
	v_cmp_eq_u16_sdwa s[2:3], v75, v33 src0_sel:BYTE_0 src1_sel:DWORD
	s_waitcnt lgkmcnt(0)
	v_and_b32_e32 v19, 1, v19
	v_cndmask_b32_e64 v21, 0, v21, s[2:3]
	v_add_u32_e32 v21, v21, v74
	v_cmp_eq_u32_e64 s[2:3], 1, v17
	s_nop 1
	v_cndmask_b32_e64 v17, v19, 1, s[2:3]
	v_cndmask_b32_e32 v19, v21, v71, vcc
	v_cndmask_b32_e32 v11, v17, v11, vcc
	v_cndmask_b32_e64 v17, 0, v19, s[52:53]
	v_add_u32_e32 v17, v17, v72
	ds_write_b8 v1, v11 offset:4
	v_cndmask_b32_e64 v11, v11, 1, s[58:59]
	ds_write2_b32 v1, v19, v17 offset1:2
	ds_write_b8 v1, v11 offset:12
	v_cndmask_b32_e64 v17, 0, v17, s[54:55]
	v_add_u32_e32 v17, v17, v73
	v_cndmask_b32_e64 v19, 0, v17, s[56:57]
	v_cndmask_b32_e64 v11, v11, 1, s[60:61]
	v_add_u32_e32 v15, v19, v15
	ds_write_b8 v1, v11 offset:20
	v_cndmask_b32_e64 v11, v11, 1, s[62:63]
	ds_write2_b32 v1, v17, v15 offset0:4 offset1:6
	ds_write_b8 v1, v11 offset:28
.LBB58_196:
	s_or_b64 exec, exec, s[72:73]
	v_mov_b32_e32 v1, v71
	s_waitcnt lgkmcnt(0)
	s_barrier
	s_and_saveexec_b64 s[2:3], s[4:5]
	s_cbranch_execz .LBB58_247
; %bb.197:
	v_add_u32_e32 v1, -1, v0
	v_lshrrev_b32_e32 v11, 5, v1
	v_add_lshl_u32 v1, v11, v1, 3
	ds_read_b32 v1, v1
	s_or_b64 exec, exec, s[2:3]
	s_and_saveexec_b64 s[52:53], s[4:5]
	s_cbranch_execnz .LBB58_248
.LBB58_198:
	s_or_b64 exec, exec, s[52:53]
	s_and_saveexec_b64 s[2:3], vcc
	s_cbranch_execz .LBB58_200
.LBB58_199:
	v_mov_b32_e32 v17, 0
	ds_read_b32 v14, v17 offset:2096
	ds_read_u8 v15, v17 offset:2100
	s_add_u32 s4, s68, 0x400
	s_addc_u32 s5, s69, 0
	v_mov_b32_e32 v16, 2
	v_mov_b64_e32 v[18:19], s[4:5]
	s_waitcnt lgkmcnt(0)
	;;#ASMSTART
	global_store_dwordx4 v[18:19], v[14:17] off sc1	
s_waitcnt vmcnt(0)
	;;#ASMEND
.LBB58_200:
	s_or_b64 exec, exec, s[2:3]
	v_mov_b64_e32 v[72:73], v[12:13]
.LBB58_201:
	s_load_dwordx2 s[0:1], s[0:1], 0x18
	s_waitcnt lgkmcnt(0)
	s_add_u32 s0, s0, s66
	s_addc_u32 s1, s1, s67
	s_and_b64 vcc, exec, s[64:65]
	s_cbranch_vccz .LBB58_249
; %bb.202:
	v_mul_u32_u24_e32 v1, 23, v0
	v_lshlrev_b32_e32 v1, 2, v1
	s_movk_i32 s2, 0xffa8
	v_mad_i32_i24 v11, v0, s2, v1
	s_barrier
	ds_write_b32 v1, v72
	ds_write2_b32 v1, v2, v3 offset0:1 offset1:2
	ds_write2_b32 v1, v4, v5 offset0:3 offset1:4
	;; [unrolled: 1-line block ×11, first 2 shown]
	s_waitcnt lgkmcnt(0)
	s_barrier
	ds_read2st64_b32 v[34:35], v11 offset0:4 offset1:8
	ds_read2st64_b32 v[32:33], v11 offset0:12 offset1:16
	;; [unrolled: 1-line block ×11, first 2 shown]
	s_add_i32 s33, s33, s70
	v_mov_b32_e32 v11, 0
	v_lshl_add_u64 v[14:15], s[0:1], 0, v[10:11]
	v_cmp_gt_u32_e32 vcc, s33, v0
	s_and_saveexec_b64 s[2:3], vcc
	s_cbranch_execz .LBB58_204
; %bb.203:
	v_mul_i32_i24_e32 v36, 0xffffffa8, v0
	v_add_u32_e32 v1, v1, v36
	ds_read_b32 v1, v1
	s_waitcnt lgkmcnt(0)
	v_cvt_f32_i32_e32 v1, v1
	global_store_dword v[14:15], v1, off
.LBB58_204:
	s_or_b64 exec, exec, s[2:3]
	v_or_b32_e32 v1, 0x100, v0
	v_cmp_gt_u32_e32 vcc, s33, v1
	s_and_saveexec_b64 s[2:3], vcc
	s_cbranch_execz .LBB58_206
; %bb.205:
	s_waitcnt lgkmcnt(10)
	v_cvt_f32_i32_e32 v1, v34
	global_store_dword v[14:15], v1, off offset:1024
.LBB58_206:
	s_or_b64 exec, exec, s[2:3]
	v_or_b32_e32 v1, 0x200, v0
	v_cmp_gt_u32_e32 vcc, s33, v1
	s_and_saveexec_b64 s[2:3], vcc
	s_cbranch_execz .LBB58_208
; %bb.207:
	s_waitcnt lgkmcnt(10)
	v_cvt_f32_i32_e32 v1, v35
	global_store_dword v[14:15], v1, off offset:2048
.LBB58_208:
	;; [unrolled: 10-line block ×3, first 2 shown]
	s_or_b64 exec, exec, s[2:3]
	v_or_b32_e32 v1, 0x400, v0
	v_cmp_gt_u32_e32 vcc, s33, v1
	s_and_saveexec_b64 s[2:3], vcc
	s_cbranch_execz .LBB58_212
; %bb.211:
	s_waitcnt lgkmcnt(9)
	v_cvt_f32_i32_e32 v1, v33
	v_add_co_u32_e32 v32, vcc, 0x1000, v14
	s_nop 1
	v_addc_co_u32_e32 v33, vcc, 0, v15, vcc
	global_store_dword v[32:33], v1, off
.LBB58_212:
	s_or_b64 exec, exec, s[2:3]
	v_or_b32_e32 v1, 0x500, v0
	v_cmp_gt_u32_e32 vcc, s33, v1
	s_and_saveexec_b64 s[2:3], vcc
	s_cbranch_execz .LBB58_214
; %bb.213:
	s_waitcnt lgkmcnt(8)
	v_cvt_f32_i32_e32 v1, v30
	v_add_co_u32_e32 v32, vcc, 0x1000, v14
	s_nop 1
	v_addc_co_u32_e32 v33, vcc, 0, v15, vcc
	global_store_dword v[32:33], v1, off offset:1024
.LBB58_214:
	s_or_b64 exec, exec, s[2:3]
	v_or_b32_e32 v1, 0x600, v0
	v_cmp_gt_u32_e32 vcc, s33, v1
	s_and_saveexec_b64 s[2:3], vcc
	s_cbranch_execz .LBB58_216
; %bb.215:
	s_waitcnt lgkmcnt(8)
	v_cvt_f32_i32_e32 v1, v31
	v_add_co_u32_e32 v30, vcc, 0x1000, v14
	s_nop 1
	v_addc_co_u32_e32 v31, vcc, 0, v15, vcc
	global_store_dword v[30:31], v1, off offset:2048
.LBB58_216:
	s_or_b64 exec, exec, s[2:3]
	v_or_b32_e32 v1, 0x700, v0
	v_cmp_gt_u32_e32 vcc, s33, v1
	s_and_saveexec_b64 s[2:3], vcc
	s_cbranch_execz .LBB58_218
; %bb.217:
	s_waitcnt lgkmcnt(7)
	v_cvt_f32_i32_e32 v1, v28
	v_add_co_u32_e32 v30, vcc, 0x1000, v14
	s_nop 1
	v_addc_co_u32_e32 v31, vcc, 0, v15, vcc
	global_store_dword v[30:31], v1, off offset:3072
.LBB58_218:
	s_or_b64 exec, exec, s[2:3]
	v_or_b32_e32 v1, 0x800, v0
	v_cmp_gt_u32_e32 vcc, s33, v1
	s_and_saveexec_b64 s[2:3], vcc
	s_cbranch_execz .LBB58_220
; %bb.219:
	s_waitcnt lgkmcnt(7)
	v_cvt_f32_i32_e32 v1, v29
	v_add_co_u32_e32 v28, vcc, 0x2000, v14
	s_nop 1
	v_addc_co_u32_e32 v29, vcc, 0, v15, vcc
	global_store_dword v[28:29], v1, off
.LBB58_220:
	s_or_b64 exec, exec, s[2:3]
	v_or_b32_e32 v1, 0x900, v0
	v_cmp_gt_u32_e32 vcc, s33, v1
	s_and_saveexec_b64 s[2:3], vcc
	s_cbranch_execz .LBB58_222
; %bb.221:
	s_waitcnt lgkmcnt(6)
	v_cvt_f32_i32_e32 v1, v26
	v_add_co_u32_e32 v28, vcc, 0x2000, v14
	s_nop 1
	v_addc_co_u32_e32 v29, vcc, 0, v15, vcc
	global_store_dword v[28:29], v1, off offset:1024
.LBB58_222:
	s_or_b64 exec, exec, s[2:3]
	v_or_b32_e32 v1, 0xa00, v0
	v_cmp_gt_u32_e32 vcc, s33, v1
	s_and_saveexec_b64 s[2:3], vcc
	s_cbranch_execz .LBB58_224
; %bb.223:
	s_waitcnt lgkmcnt(6)
	v_cvt_f32_i32_e32 v1, v27
	v_add_co_u32_e32 v26, vcc, 0x2000, v14
	s_nop 1
	v_addc_co_u32_e32 v27, vcc, 0, v15, vcc
	global_store_dword v[26:27], v1, off offset:2048
.LBB58_224:
	s_or_b64 exec, exec, s[2:3]
	v_or_b32_e32 v1, 0xb00, v0
	v_cmp_gt_u32_e32 vcc, s33, v1
	s_and_saveexec_b64 s[2:3], vcc
	s_cbranch_execz .LBB58_226
; %bb.225:
	s_waitcnt lgkmcnt(5)
	v_cvt_f32_i32_e32 v1, v24
	v_add_co_u32_e32 v26, vcc, 0x2000, v14
	s_nop 1
	v_addc_co_u32_e32 v27, vcc, 0, v15, vcc
	global_store_dword v[26:27], v1, off offset:3072
.LBB58_226:
	s_or_b64 exec, exec, s[2:3]
	v_or_b32_e32 v1, 0xc00, v0
	v_cmp_gt_u32_e32 vcc, s33, v1
	s_and_saveexec_b64 s[2:3], vcc
	s_cbranch_execz .LBB58_228
; %bb.227:
	s_waitcnt lgkmcnt(5)
	v_cvt_f32_i32_e32 v1, v25
	v_add_co_u32_e32 v24, vcc, 0x3000, v14
	s_nop 1
	v_addc_co_u32_e32 v25, vcc, 0, v15, vcc
	global_store_dword v[24:25], v1, off
.LBB58_228:
	s_or_b64 exec, exec, s[2:3]
	v_or_b32_e32 v1, 0xd00, v0
	v_cmp_gt_u32_e32 vcc, s33, v1
	s_and_saveexec_b64 s[2:3], vcc
	s_cbranch_execz .LBB58_230
; %bb.229:
	s_waitcnt lgkmcnt(4)
	v_cvt_f32_i32_e32 v1, v22
	v_add_co_u32_e32 v24, vcc, 0x3000, v14
	s_nop 1
	v_addc_co_u32_e32 v25, vcc, 0, v15, vcc
	global_store_dword v[24:25], v1, off offset:1024
.LBB58_230:
	s_or_b64 exec, exec, s[2:3]
	v_or_b32_e32 v1, 0xe00, v0
	v_cmp_gt_u32_e32 vcc, s33, v1
	s_and_saveexec_b64 s[2:3], vcc
	s_cbranch_execz .LBB58_232
; %bb.231:
	s_waitcnt lgkmcnt(4)
	v_cvt_f32_i32_e32 v1, v23
	v_add_co_u32_e32 v22, vcc, 0x3000, v14
	s_nop 1
	v_addc_co_u32_e32 v23, vcc, 0, v15, vcc
	global_store_dword v[22:23], v1, off offset:2048
.LBB58_232:
	s_or_b64 exec, exec, s[2:3]
	v_or_b32_e32 v1, 0xf00, v0
	v_cmp_gt_u32_e32 vcc, s33, v1
	s_and_saveexec_b64 s[2:3], vcc
	s_cbranch_execz .LBB58_234
; %bb.233:
	s_waitcnt lgkmcnt(3)
	v_cvt_f32_i32_e32 v1, v20
	v_add_co_u32_e32 v22, vcc, 0x3000, v14
	s_nop 1
	v_addc_co_u32_e32 v23, vcc, 0, v15, vcc
	global_store_dword v[22:23], v1, off offset:3072
.LBB58_234:
	s_or_b64 exec, exec, s[2:3]
	v_or_b32_e32 v1, 0x1000, v0
	v_cmp_gt_u32_e32 vcc, s33, v1
	s_and_saveexec_b64 s[2:3], vcc
	s_cbranch_execz .LBB58_236
; %bb.235:
	s_waitcnt lgkmcnt(3)
	v_cvt_f32_i32_e32 v1, v21
	v_add_co_u32_e32 v20, vcc, 0x4000, v14
	s_nop 1
	v_addc_co_u32_e32 v21, vcc, 0, v15, vcc
	global_store_dword v[20:21], v1, off
.LBB58_236:
	s_or_b64 exec, exec, s[2:3]
	v_or_b32_e32 v1, 0x1100, v0
	v_cmp_gt_u32_e32 vcc, s33, v1
	s_and_saveexec_b64 s[2:3], vcc
	s_cbranch_execz .LBB58_238
; %bb.237:
	s_waitcnt lgkmcnt(2)
	v_cvt_f32_i32_e32 v1, v18
	v_add_co_u32_e32 v20, vcc, 0x4000, v14
	s_nop 1
	v_addc_co_u32_e32 v21, vcc, 0, v15, vcc
	global_store_dword v[20:21], v1, off offset:1024
.LBB58_238:
	s_or_b64 exec, exec, s[2:3]
	v_or_b32_e32 v1, 0x1200, v0
	v_cmp_gt_u32_e32 vcc, s33, v1
	s_and_saveexec_b64 s[2:3], vcc
	s_cbranch_execz .LBB58_240
; %bb.239:
	s_waitcnt lgkmcnt(2)
	v_cvt_f32_i32_e32 v1, v19
	v_add_co_u32_e32 v18, vcc, 0x4000, v14
	s_nop 1
	v_addc_co_u32_e32 v19, vcc, 0, v15, vcc
	global_store_dword v[18:19], v1, off offset:2048
.LBB58_240:
	s_or_b64 exec, exec, s[2:3]
	v_or_b32_e32 v1, 0x1300, v0
	v_cmp_gt_u32_e32 vcc, s33, v1
	s_and_saveexec_b64 s[2:3], vcc
	s_cbranch_execz .LBB58_242
; %bb.241:
	s_waitcnt lgkmcnt(1)
	v_cvt_f32_i32_e32 v1, v16
	v_add_co_u32_e32 v18, vcc, 0x4000, v14
	s_nop 1
	v_addc_co_u32_e32 v19, vcc, 0, v15, vcc
	global_store_dword v[18:19], v1, off offset:3072
.LBB58_242:
	s_or_b64 exec, exec, s[2:3]
	v_or_b32_e32 v1, 0x1400, v0
	v_cmp_gt_u32_e32 vcc, s33, v1
	s_and_saveexec_b64 s[2:3], vcc
	s_cbranch_execz .LBB58_244
; %bb.243:
	s_waitcnt lgkmcnt(1)
	v_cvt_f32_i32_e32 v1, v17
	v_add_co_u32_e32 v16, vcc, 0x5000, v14
	s_nop 1
	v_addc_co_u32_e32 v17, vcc, 0, v15, vcc
	global_store_dword v[16:17], v1, off
.LBB58_244:
	s_or_b64 exec, exec, s[2:3]
	v_or_b32_e32 v1, 0x1500, v0
	v_cmp_gt_u32_e32 vcc, s33, v1
	s_and_saveexec_b64 s[2:3], vcc
	s_cbranch_execz .LBB58_246
; %bb.245:
	s_waitcnt lgkmcnt(0)
	v_cvt_f32_i32_e32 v1, v12
	v_add_co_u32_e32 v14, vcc, 0x5000, v14
	s_nop 1
	v_addc_co_u32_e32 v15, vcc, 0, v15, vcc
	global_store_dword v[14:15], v1, off offset:1024
.LBB58_246:
	s_or_b64 exec, exec, s[2:3]
	v_mov_b32_e32 v1, v11
	v_or_b32_e32 v11, 0x1600, v0
	v_cmp_gt_u32_e64 s[2:3], s33, v11
	s_branch .LBB58_251
.LBB58_247:
	s_or_b64 exec, exec, s[2:3]
	s_and_saveexec_b64 s[52:53], s[4:5]
	s_cbranch_execz .LBB58_198
.LBB58_248:
	s_mov_b32 s2, 0
	s_mov_b32 s3, 1
	v_cmp_gt_u64_e64 s[2:3], s[2:3], v[12:13]
	s_waitcnt lgkmcnt(0)
	s_nop 0
	v_cndmask_b32_e64 v1, 0, v1, s[2:3]
	v_add_u32_e32 v12, v1, v12
	v_cndmask_b32_e64 v1, 0, v12, s[6:7]
	v_add_u32_e32 v2, v1, v14
	;; [unrolled: 2-line block ×23, first 2 shown]
	s_or_b64 exec, exec, s[52:53]
	s_and_saveexec_b64 s[2:3], vcc
	s_cbranch_execnz .LBB58_199
	s_branch .LBB58_200
.LBB58_249:
	s_mov_b64 s[2:3], 0
                                        ; implicit-def: $vgpr13
	s_cbranch_execz .LBB58_251
; %bb.250:
	v_mul_u32_u24_e32 v1, 0x5c, v0
	s_waitcnt lgkmcnt(0)
	s_barrier
	s_movk_i32 s4, 0x5c
	ds_write_b32 v1, v72
	ds_write2_b32 v1, v2, v3 offset0:1 offset1:2
	ds_write2_b32 v1, v4, v5 offset0:3 offset1:4
	;; [unrolled: 1-line block ×11, first 2 shown]
	v_mul_i32_i24_e32 v2, 0xffffffa8, v0
	v_mad_u32_u24 v11, v0, s4, v2
	s_waitcnt lgkmcnt(0)
	s_barrier
	ds_read2st64_b32 v[2:3], v11 offset1:4
	ds_read2st64_b32 v[4:5], v11 offset0:8 offset1:12
	ds_read2st64_b32 v[6:7], v11 offset0:16 offset1:20
	;; [unrolled: 1-line block ×10, first 2 shown]
	ds_read_b32 v13, v11 offset:22528
	s_waitcnt lgkmcnt(11)
	v_cvt_f32_i32_e32 v2, v2
	v_mov_b32_e32 v1, 0
	v_cvt_f32_i32_e32 v3, v3
	v_mov_b32_e32 v11, v1
	s_waitcnt lgkmcnt(10)
	v_cvt_f32_i32_e32 v4, v4
	v_lshl_add_u64 v[28:29], s[0:1], 0, v[10:11]
	v_cvt_f32_i32_e32 v5, v5
	s_movk_i32 s4, 0x1000
	global_store_dword v10, v2, s[0:1]
	global_store_dword v10, v3, s[0:1] offset:1024
	global_store_dword v10, v4, s[0:1] offset:2048
	;; [unrolled: 1-line block ×3, first 2 shown]
	s_waitcnt lgkmcnt(9)
	v_cvt_f32_i32_e32 v6, v6
	v_add_co_u32_e32 v2, vcc, s4, v28
	s_movk_i32 s4, 0x2000
	s_nop 0
	v_addc_co_u32_e32 v3, vcc, 0, v29, vcc
	v_cvt_f32_i32_e32 v7, v7
	v_add_co_u32_e32 v4, vcc, s4, v28
	s_waitcnt lgkmcnt(8)
	v_cvt_f32_i32_e32 v8, v8
	v_addc_co_u32_e32 v5, vcc, 0, v29, vcc
	v_cvt_f32_i32_e32 v9, v9
	global_store_dword v[4:5], v6, off offset:-4096
	global_store_dword v[2:3], v7, off offset:1024
	global_store_dword v[2:3], v8, off offset:2048
	;; [unrolled: 1-line block ×3, first 2 shown]
	s_waitcnt lgkmcnt(7)
	v_cvt_f32_i32_e32 v2, v14
	v_cvt_f32_i32_e32 v3, v15
	s_waitcnt lgkmcnt(6)
	v_cvt_f32_i32_e32 v6, v16
	v_cvt_f32_i32_e32 v7, v17
	s_movk_i32 s4, 0x3000
	global_store_dword v[4:5], v2, off
	global_store_dword v[4:5], v3, off offset:1024
	global_store_dword v[4:5], v6, off offset:2048
	;; [unrolled: 1-line block ×3, first 2 shown]
	s_waitcnt lgkmcnt(5)
	v_cvt_f32_i32_e32 v6, v18
	v_add_co_u32_e32 v2, vcc, s4, v28
	s_movk_i32 s4, 0x4000
	s_nop 0
	v_addc_co_u32_e32 v3, vcc, 0, v29, vcc
	v_cvt_f32_i32_e32 v7, v19
	v_add_co_u32_e32 v4, vcc, s4, v28
	s_waitcnt lgkmcnt(4)
	v_cvt_f32_i32_e32 v8, v20
	v_addc_co_u32_e32 v5, vcc, 0, v29, vcc
	v_cvt_f32_i32_e32 v9, v21
	global_store_dword v[4:5], v6, off offset:-4096
	global_store_dword v[2:3], v7, off offset:1024
	global_store_dword v[2:3], v8, off offset:2048
	;; [unrolled: 1-line block ×3, first 2 shown]
	s_waitcnt lgkmcnt(3)
	v_cvt_f32_i32_e32 v2, v22
	v_cvt_f32_i32_e32 v3, v23
	s_waitcnt lgkmcnt(2)
	v_cvt_f32_i32_e32 v6, v24
	v_cvt_f32_i32_e32 v7, v25
	global_store_dword v[4:5], v2, off
	global_store_dword v[4:5], v3, off offset:1024
	global_store_dword v[4:5], v6, off offset:2048
	;; [unrolled: 1-line block ×3, first 2 shown]
	s_waitcnt lgkmcnt(1)
	v_cvt_f32_i32_e32 v4, v26
	v_cvt_f32_i32_e32 v5, v27
	v_add_co_u32_e32 v2, vcc, 0x5000, v28
	s_or_b64 s[2:3], s[2:3], exec
	s_nop 0
	v_addc_co_u32_e32 v3, vcc, 0, v29, vcc
	global_store_dword v[2:3], v4, off
	global_store_dword v[2:3], v5, off offset:1024
.LBB58_251:
	s_and_saveexec_b64 s[4:5], s[2:3]
	s_cbranch_execz .LBB58_253
; %bb.252:
	s_waitcnt lgkmcnt(0)
	v_cvt_f32_i32_e32 v2, v13
	v_lshl_add_u64 v[0:1], v[0:1], 2, s[0:1]
	v_add_co_u32_e32 v0, vcc, 0x5000, v0
	s_nop 1
	v_addc_co_u32_e32 v1, vcc, 0, v1, vcc
	global_store_dword v[0:1], v2, off offset:2048
	s_endpgm
.LBB58_253:
	s_endpgm
	.section	.rodata,"a",@progbits
	.p2align	6, 0x0
	.amdhsa_kernel _ZN7rocprim6detail25device_scan_by_key_kernelILNS0_25lookback_scan_determinismE0ELb0ENS0_26wrapped_scan_by_key_configINS_14default_configEiiEEPiN6hipcub22TransformInputIteratorIsNS7_6CastOpIsEEPslEEPfsNS7_8EqualityENS7_3SumENS0_19lookback_scan_stateINS_5tupleIJibEEELb0ELb1EEEiEEvT2_T3_T4_T5_T6_T7_T8_mmmPKNSH_IJT9_bEEE
		.amdhsa_group_segment_fixed_size 25600
		.amdhsa_private_segment_fixed_size 0
		.amdhsa_kernarg_size 80
		.amdhsa_user_sgpr_count 2
		.amdhsa_user_sgpr_dispatch_ptr 0
		.amdhsa_user_sgpr_queue_ptr 0
		.amdhsa_user_sgpr_kernarg_segment_ptr 1
		.amdhsa_user_sgpr_dispatch_id 0
		.amdhsa_user_sgpr_kernarg_preload_length 0
		.amdhsa_user_sgpr_kernarg_preload_offset 0
		.amdhsa_user_sgpr_private_segment_size 0
		.amdhsa_uses_dynamic_stack 0
		.amdhsa_enable_private_segment 0
		.amdhsa_system_sgpr_workgroup_id_x 1
		.amdhsa_system_sgpr_workgroup_id_y 0
		.amdhsa_system_sgpr_workgroup_id_z 0
		.amdhsa_system_sgpr_workgroup_info 0
		.amdhsa_system_vgpr_workitem_id 0
		.amdhsa_next_free_vgpr 80
		.amdhsa_next_free_sgpr 78
		.amdhsa_accum_offset 80
		.amdhsa_reserve_vcc 1
		.amdhsa_float_round_mode_32 0
		.amdhsa_float_round_mode_16_64 0
		.amdhsa_float_denorm_mode_32 3
		.amdhsa_float_denorm_mode_16_64 3
		.amdhsa_dx10_clamp 1
		.amdhsa_ieee_mode 1
		.amdhsa_fp16_overflow 0
		.amdhsa_tg_split 0
		.amdhsa_exception_fp_ieee_invalid_op 0
		.amdhsa_exception_fp_denorm_src 0
		.amdhsa_exception_fp_ieee_div_zero 0
		.amdhsa_exception_fp_ieee_overflow 0
		.amdhsa_exception_fp_ieee_underflow 0
		.amdhsa_exception_fp_ieee_inexact 0
		.amdhsa_exception_int_div_zero 0
	.end_amdhsa_kernel
	.section	.text._ZN7rocprim6detail25device_scan_by_key_kernelILNS0_25lookback_scan_determinismE0ELb0ENS0_26wrapped_scan_by_key_configINS_14default_configEiiEEPiN6hipcub22TransformInputIteratorIsNS7_6CastOpIsEEPslEEPfsNS7_8EqualityENS7_3SumENS0_19lookback_scan_stateINS_5tupleIJibEEELb0ELb1EEEiEEvT2_T3_T4_T5_T6_T7_T8_mmmPKNSH_IJT9_bEEE,"axG",@progbits,_ZN7rocprim6detail25device_scan_by_key_kernelILNS0_25lookback_scan_determinismE0ELb0ENS0_26wrapped_scan_by_key_configINS_14default_configEiiEEPiN6hipcub22TransformInputIteratorIsNS7_6CastOpIsEEPslEEPfsNS7_8EqualityENS7_3SumENS0_19lookback_scan_stateINS_5tupleIJibEEELb0ELb1EEEiEEvT2_T3_T4_T5_T6_T7_T8_mmmPKNSH_IJT9_bEEE,comdat
.Lfunc_end58:
	.size	_ZN7rocprim6detail25device_scan_by_key_kernelILNS0_25lookback_scan_determinismE0ELb0ENS0_26wrapped_scan_by_key_configINS_14default_configEiiEEPiN6hipcub22TransformInputIteratorIsNS7_6CastOpIsEEPslEEPfsNS7_8EqualityENS7_3SumENS0_19lookback_scan_stateINS_5tupleIJibEEELb0ELb1EEEiEEvT2_T3_T4_T5_T6_T7_T8_mmmPKNSH_IJT9_bEEE, .Lfunc_end58-_ZN7rocprim6detail25device_scan_by_key_kernelILNS0_25lookback_scan_determinismE0ELb0ENS0_26wrapped_scan_by_key_configINS_14default_configEiiEEPiN6hipcub22TransformInputIteratorIsNS7_6CastOpIsEEPslEEPfsNS7_8EqualityENS7_3SumENS0_19lookback_scan_stateINS_5tupleIJibEEELb0ELb1EEEiEEvT2_T3_T4_T5_T6_T7_T8_mmmPKNSH_IJT9_bEEE
                                        ; -- End function
	.section	.AMDGPU.csdata,"",@progbits
; Kernel info:
; codeLenInByte = 15100
; NumSgprs: 84
; NumVgprs: 80
; NumAgprs: 0
; TotalNumVgprs: 80
; ScratchSize: 0
; MemoryBound: 0
; FloatMode: 240
; IeeeMode: 1
; LDSByteSize: 25600 bytes/workgroup (compile time only)
; SGPRBlocks: 10
; VGPRBlocks: 9
; NumSGPRsForWavesPerEU: 84
; NumVGPRsForWavesPerEU: 80
; AccumOffset: 80
; Occupancy: 2
; WaveLimiterHint : 1
; COMPUTE_PGM_RSRC2:SCRATCH_EN: 0
; COMPUTE_PGM_RSRC2:USER_SGPR: 2
; COMPUTE_PGM_RSRC2:TRAP_HANDLER: 0
; COMPUTE_PGM_RSRC2:TGID_X_EN: 1
; COMPUTE_PGM_RSRC2:TGID_Y_EN: 0
; COMPUTE_PGM_RSRC2:TGID_Z_EN: 0
; COMPUTE_PGM_RSRC2:TIDIG_COMP_CNT: 0
; COMPUTE_PGM_RSRC3_GFX90A:ACCUM_OFFSET: 19
; COMPUTE_PGM_RSRC3_GFX90A:TG_SPLIT: 0
	.section	.text._ZN7rocprim6detail31init_lookback_scan_state_kernelINS0_19lookback_scan_stateINS_5tupleIJsbEEELb1ELb1EEEEEvT_jjPNS6_10value_typeE,"axG",@progbits,_ZN7rocprim6detail31init_lookback_scan_state_kernelINS0_19lookback_scan_stateINS_5tupleIJsbEEELb1ELb1EEEEEvT_jjPNS6_10value_typeE,comdat
	.protected	_ZN7rocprim6detail31init_lookback_scan_state_kernelINS0_19lookback_scan_stateINS_5tupleIJsbEEELb1ELb1EEEEEvT_jjPNS6_10value_typeE ; -- Begin function _ZN7rocprim6detail31init_lookback_scan_state_kernelINS0_19lookback_scan_stateINS_5tupleIJsbEEELb1ELb1EEEEEvT_jjPNS6_10value_typeE
	.globl	_ZN7rocprim6detail31init_lookback_scan_state_kernelINS0_19lookback_scan_stateINS_5tupleIJsbEEELb1ELb1EEEEEvT_jjPNS6_10value_typeE
	.p2align	8
	.type	_ZN7rocprim6detail31init_lookback_scan_state_kernelINS0_19lookback_scan_stateINS_5tupleIJsbEEELb1ELb1EEEEEvT_jjPNS6_10value_typeE,@function
_ZN7rocprim6detail31init_lookback_scan_state_kernelINS0_19lookback_scan_stateINS_5tupleIJsbEEELb1ELb1EEEEEvT_jjPNS6_10value_typeE: ; @_ZN7rocprim6detail31init_lookback_scan_state_kernelINS0_19lookback_scan_stateINS_5tupleIJsbEEELb1ELb1EEEEEvT_jjPNS6_10value_typeE
; %bb.0:
	s_load_dword s3, s[0:1], 0x24
	s_load_dwordx2 s[8:9], s[0:1], 0x10
	s_load_dwordx4 s[4:7], s[0:1], 0x0
	s_waitcnt lgkmcnt(0)
	s_and_b32 s0, s3, 0xffff
	s_mul_i32 s2, s2, s0
	s_cmp_eq_u64 s[8:9], 0
	v_add_u32_e32 v0, s2, v0
	s_cbranch_scc1 .LBB59_9
; %bb.1:
	s_cmp_lt_u32 s7, s6
	s_cselect_b32 s0, s7, 0
	s_mov_b32 s3, 0
	v_cmp_eq_u32_e32 vcc, s0, v0
	s_and_saveexec_b64 s[0:1], vcc
	s_cbranch_execz .LBB59_8
; %bb.2:
	s_add_i32 s2, s7, 64
	s_lshl_b64 s[2:3], s[2:3], 3
	s_add_u32 s2, s4, s2
	s_addc_u32 s3, s5, s3
	v_mov_b32_e32 v2, 0
	global_load_dwordx2 v[4:5], v2, s[2:3] sc1
	s_waitcnt vmcnt(0)
	v_and_b32_e32 v3, 0xff, v5
	v_cmp_ne_u64_e32 vcc, 0, v[2:3]
	s_cbranch_vccnz .LBB59_7
; %bb.3:
	s_mov_b32 s7, 1
.LBB59_4:                               ; =>This Loop Header: Depth=1
                                        ;     Child Loop BB59_5 Depth 2
	s_max_u32 s10, s7, 1
.LBB59_5:                               ;   Parent Loop BB59_4 Depth=1
                                        ; =>  This Inner Loop Header: Depth=2
	s_add_i32 s10, s10, -1
	s_cmp_eq_u32 s10, 0
	s_sleep 1
	s_cbranch_scc0 .LBB59_5
; %bb.6:                                ;   in Loop: Header=BB59_4 Depth=1
	global_load_dwordx2 v[4:5], v2, s[2:3] sc1
	s_cmp_lt_u32 s7, 32
	s_cselect_b64 s[10:11], -1, 0
	s_cmp_lg_u64 s[10:11], 0
	s_addc_u32 s7, s7, 0
	s_waitcnt vmcnt(0)
	v_and_b32_e32 v3, 0xff, v5
	v_cmp_ne_u64_e32 vcc, 0, v[2:3]
	s_cbranch_vccz .LBB59_4
.LBB59_7:
	v_mov_b32_e32 v1, 0
	global_store_short v1, v4, s[8:9]
	global_store_byte_d16_hi v1, v4, s[8:9] offset:2
.LBB59_8:
	s_or_b64 exec, exec, s[0:1]
.LBB59_9:
	v_cmp_gt_u32_e32 vcc, s6, v0
	s_and_saveexec_b64 s[0:1], vcc
	s_cbranch_execnz .LBB59_12
; %bb.10:
	s_or_b64 exec, exec, s[0:1]
	v_cmp_gt_u32_e32 vcc, 64, v0
	s_and_saveexec_b64 s[0:1], vcc
	s_cbranch_execnz .LBB59_13
.LBB59_11:
	s_endpgm
.LBB59_12:
	v_add_u32_e32 v2, 64, v0
	v_mov_b32_e32 v3, 0
	v_lshl_add_u64 v[4:5], v[2:3], 3, s[4:5]
	v_mov_b32_e32 v2, v3
	global_store_dwordx2 v[4:5], v[2:3], off
	s_or_b64 exec, exec, s[0:1]
	v_cmp_gt_u32_e32 vcc, 64, v0
	s_and_saveexec_b64 s[0:1], vcc
	s_cbranch_execz .LBB59_11
.LBB59_13:
	v_mov_b32_e32 v1, 0
	v_lshl_add_u64 v[2:3], v[0:1], 3, s[4:5]
	v_mov_b32_e32 v5, 0xff
	v_mov_b32_e32 v4, v1
	global_store_dwordx2 v[2:3], v[4:5], off
	s_endpgm
	.section	.rodata,"a",@progbits
	.p2align	6, 0x0
	.amdhsa_kernel _ZN7rocprim6detail31init_lookback_scan_state_kernelINS0_19lookback_scan_stateINS_5tupleIJsbEEELb1ELb1EEEEEvT_jjPNS6_10value_typeE
		.amdhsa_group_segment_fixed_size 0
		.amdhsa_private_segment_fixed_size 0
		.amdhsa_kernarg_size 280
		.amdhsa_user_sgpr_count 2
		.amdhsa_user_sgpr_dispatch_ptr 0
		.amdhsa_user_sgpr_queue_ptr 0
		.amdhsa_user_sgpr_kernarg_segment_ptr 1
		.amdhsa_user_sgpr_dispatch_id 0
		.amdhsa_user_sgpr_kernarg_preload_length 0
		.amdhsa_user_sgpr_kernarg_preload_offset 0
		.amdhsa_user_sgpr_private_segment_size 0
		.amdhsa_uses_dynamic_stack 0
		.amdhsa_enable_private_segment 0
		.amdhsa_system_sgpr_workgroup_id_x 1
		.amdhsa_system_sgpr_workgroup_id_y 0
		.amdhsa_system_sgpr_workgroup_id_z 0
		.amdhsa_system_sgpr_workgroup_info 0
		.amdhsa_system_vgpr_workitem_id 0
		.amdhsa_next_free_vgpr 6
		.amdhsa_next_free_sgpr 12
		.amdhsa_accum_offset 8
		.amdhsa_reserve_vcc 1
		.amdhsa_float_round_mode_32 0
		.amdhsa_float_round_mode_16_64 0
		.amdhsa_float_denorm_mode_32 3
		.amdhsa_float_denorm_mode_16_64 3
		.amdhsa_dx10_clamp 1
		.amdhsa_ieee_mode 1
		.amdhsa_fp16_overflow 0
		.amdhsa_tg_split 0
		.amdhsa_exception_fp_ieee_invalid_op 0
		.amdhsa_exception_fp_denorm_src 0
		.amdhsa_exception_fp_ieee_div_zero 0
		.amdhsa_exception_fp_ieee_overflow 0
		.amdhsa_exception_fp_ieee_underflow 0
		.amdhsa_exception_fp_ieee_inexact 0
		.amdhsa_exception_int_div_zero 0
	.end_amdhsa_kernel
	.section	.text._ZN7rocprim6detail31init_lookback_scan_state_kernelINS0_19lookback_scan_stateINS_5tupleIJsbEEELb1ELb1EEEEEvT_jjPNS6_10value_typeE,"axG",@progbits,_ZN7rocprim6detail31init_lookback_scan_state_kernelINS0_19lookback_scan_stateINS_5tupleIJsbEEELb1ELb1EEEEEvT_jjPNS6_10value_typeE,comdat
.Lfunc_end59:
	.size	_ZN7rocprim6detail31init_lookback_scan_state_kernelINS0_19lookback_scan_stateINS_5tupleIJsbEEELb1ELb1EEEEEvT_jjPNS6_10value_typeE, .Lfunc_end59-_ZN7rocprim6detail31init_lookback_scan_state_kernelINS0_19lookback_scan_stateINS_5tupleIJsbEEELb1ELb1EEEEEvT_jjPNS6_10value_typeE
                                        ; -- End function
	.section	.AMDGPU.csdata,"",@progbits
; Kernel info:
; codeLenInByte = 328
; NumSgprs: 18
; NumVgprs: 6
; NumAgprs: 0
; TotalNumVgprs: 6
; ScratchSize: 0
; MemoryBound: 0
; FloatMode: 240
; IeeeMode: 1
; LDSByteSize: 0 bytes/workgroup (compile time only)
; SGPRBlocks: 2
; VGPRBlocks: 0
; NumSGPRsForWavesPerEU: 18
; NumVGPRsForWavesPerEU: 6
; AccumOffset: 8
; Occupancy: 8
; WaveLimiterHint : 0
; COMPUTE_PGM_RSRC2:SCRATCH_EN: 0
; COMPUTE_PGM_RSRC2:USER_SGPR: 2
; COMPUTE_PGM_RSRC2:TRAP_HANDLER: 0
; COMPUTE_PGM_RSRC2:TGID_X_EN: 1
; COMPUTE_PGM_RSRC2:TGID_Y_EN: 0
; COMPUTE_PGM_RSRC2:TGID_Z_EN: 0
; COMPUTE_PGM_RSRC2:TIDIG_COMP_CNT: 0
; COMPUTE_PGM_RSRC3_GFX90A:ACCUM_OFFSET: 1
; COMPUTE_PGM_RSRC3_GFX90A:TG_SPLIT: 0
	.section	.text._ZN7rocprim6detail31init_lookback_scan_state_kernelINS0_19lookback_scan_stateINS_5tupleIJsbEEELb0ELb1EEEEEvT_jjPNS6_10value_typeE,"axG",@progbits,_ZN7rocprim6detail31init_lookback_scan_state_kernelINS0_19lookback_scan_stateINS_5tupleIJsbEEELb0ELb1EEEEEvT_jjPNS6_10value_typeE,comdat
	.protected	_ZN7rocprim6detail31init_lookback_scan_state_kernelINS0_19lookback_scan_stateINS_5tupleIJsbEEELb0ELb1EEEEEvT_jjPNS6_10value_typeE ; -- Begin function _ZN7rocprim6detail31init_lookback_scan_state_kernelINS0_19lookback_scan_stateINS_5tupleIJsbEEELb0ELb1EEEEEvT_jjPNS6_10value_typeE
	.globl	_ZN7rocprim6detail31init_lookback_scan_state_kernelINS0_19lookback_scan_stateINS_5tupleIJsbEEELb0ELb1EEEEEvT_jjPNS6_10value_typeE
	.p2align	8
	.type	_ZN7rocprim6detail31init_lookback_scan_state_kernelINS0_19lookback_scan_stateINS_5tupleIJsbEEELb0ELb1EEEEEvT_jjPNS6_10value_typeE,@function
_ZN7rocprim6detail31init_lookback_scan_state_kernelINS0_19lookback_scan_stateINS_5tupleIJsbEEELb0ELb1EEEEEvT_jjPNS6_10value_typeE: ; @_ZN7rocprim6detail31init_lookback_scan_state_kernelINS0_19lookback_scan_stateINS_5tupleIJsbEEELb0ELb1EEEEEvT_jjPNS6_10value_typeE
; %bb.0:
	s_load_dword s3, s[0:1], 0x24
	s_load_dwordx2 s[8:9], s[0:1], 0x10
	s_load_dwordx4 s[4:7], s[0:1], 0x0
	s_waitcnt lgkmcnt(0)
	s_and_b32 s0, s3, 0xffff
	s_mul_i32 s2, s2, s0
	s_cmp_eq_u64 s[8:9], 0
	v_add_u32_e32 v0, s2, v0
	s_cbranch_scc1 .LBB60_6
; %bb.1:
	s_cmp_lt_u32 s7, s6
	s_cselect_b32 s0, s7, 0
	s_mov_b32 s3, 0
	v_cmp_eq_u32_e32 vcc, s0, v0
	s_and_saveexec_b64 s[0:1], vcc
	s_cbranch_execz .LBB60_5
; %bb.2:
	s_add_i32 s2, s7, 64
	s_lshl_b64 s[2:3], s[2:3], 3
	s_add_u32 s2, s4, s2
	s_addc_u32 s3, s5, s3
	v_mov_b32_e32 v4, 0
	global_load_dwordx2 v[2:3], v4, s[2:3] sc1
	s_waitcnt vmcnt(0)
	v_and_b32_e32 v5, 0xff, v3
	v_cmp_ne_u64_e32 vcc, 0, v[4:5]
	s_cbranch_vccnz .LBB60_4
.LBB60_3:                               ; =>This Inner Loop Header: Depth=1
	global_load_dwordx2 v[2:3], v4, s[2:3] sc1
	s_waitcnt vmcnt(0)
	v_and_b32_e32 v5, 0xff, v3
	v_cmp_eq_u64_e32 vcc, 0, v[4:5]
	s_cbranch_vccnz .LBB60_3
.LBB60_4:
	v_mov_b32_e32 v1, 0
	global_store_short v1, v2, s[8:9]
	global_store_byte_d16_hi v1, v2, s[8:9] offset:2
.LBB60_5:
	s_or_b64 exec, exec, s[0:1]
.LBB60_6:
	v_cmp_gt_u32_e32 vcc, s6, v0
	s_and_saveexec_b64 s[0:1], vcc
	s_cbranch_execnz .LBB60_9
; %bb.7:
	s_or_b64 exec, exec, s[0:1]
	v_cmp_gt_u32_e32 vcc, 64, v0
	s_and_saveexec_b64 s[0:1], vcc
	s_cbranch_execnz .LBB60_10
.LBB60_8:
	s_endpgm
.LBB60_9:
	v_add_u32_e32 v2, 64, v0
	v_mov_b32_e32 v3, 0
	v_lshl_add_u64 v[4:5], v[2:3], 3, s[4:5]
	v_mov_b32_e32 v2, v3
	global_store_dwordx2 v[4:5], v[2:3], off
	s_or_b64 exec, exec, s[0:1]
	v_cmp_gt_u32_e32 vcc, 64, v0
	s_and_saveexec_b64 s[0:1], vcc
	s_cbranch_execz .LBB60_8
.LBB60_10:
	v_mov_b32_e32 v1, 0
	v_lshl_add_u64 v[2:3], v[0:1], 3, s[4:5]
	v_mov_b32_e32 v5, 0xff
	v_mov_b32_e32 v4, v1
	global_store_dwordx2 v[2:3], v[4:5], off
	s_endpgm
	.section	.rodata,"a",@progbits
	.p2align	6, 0x0
	.amdhsa_kernel _ZN7rocprim6detail31init_lookback_scan_state_kernelINS0_19lookback_scan_stateINS_5tupleIJsbEEELb0ELb1EEEEEvT_jjPNS6_10value_typeE
		.amdhsa_group_segment_fixed_size 0
		.amdhsa_private_segment_fixed_size 0
		.amdhsa_kernarg_size 280
		.amdhsa_user_sgpr_count 2
		.amdhsa_user_sgpr_dispatch_ptr 0
		.amdhsa_user_sgpr_queue_ptr 0
		.amdhsa_user_sgpr_kernarg_segment_ptr 1
		.amdhsa_user_sgpr_dispatch_id 0
		.amdhsa_user_sgpr_kernarg_preload_length 0
		.amdhsa_user_sgpr_kernarg_preload_offset 0
		.amdhsa_user_sgpr_private_segment_size 0
		.amdhsa_uses_dynamic_stack 0
		.amdhsa_enable_private_segment 0
		.amdhsa_system_sgpr_workgroup_id_x 1
		.amdhsa_system_sgpr_workgroup_id_y 0
		.amdhsa_system_sgpr_workgroup_id_z 0
		.amdhsa_system_sgpr_workgroup_info 0
		.amdhsa_system_vgpr_workitem_id 0
		.amdhsa_next_free_vgpr 6
		.amdhsa_next_free_sgpr 10
		.amdhsa_accum_offset 8
		.amdhsa_reserve_vcc 1
		.amdhsa_float_round_mode_32 0
		.amdhsa_float_round_mode_16_64 0
		.amdhsa_float_denorm_mode_32 3
		.amdhsa_float_denorm_mode_16_64 3
		.amdhsa_dx10_clamp 1
		.amdhsa_ieee_mode 1
		.amdhsa_fp16_overflow 0
		.amdhsa_tg_split 0
		.amdhsa_exception_fp_ieee_invalid_op 0
		.amdhsa_exception_fp_denorm_src 0
		.amdhsa_exception_fp_ieee_div_zero 0
		.amdhsa_exception_fp_ieee_overflow 0
		.amdhsa_exception_fp_ieee_underflow 0
		.amdhsa_exception_fp_ieee_inexact 0
		.amdhsa_exception_int_div_zero 0
	.end_amdhsa_kernel
	.section	.text._ZN7rocprim6detail31init_lookback_scan_state_kernelINS0_19lookback_scan_stateINS_5tupleIJsbEEELb0ELb1EEEEEvT_jjPNS6_10value_typeE,"axG",@progbits,_ZN7rocprim6detail31init_lookback_scan_state_kernelINS0_19lookback_scan_stateINS_5tupleIJsbEEELb0ELb1EEEEEvT_jjPNS6_10value_typeE,comdat
.Lfunc_end60:
	.size	_ZN7rocprim6detail31init_lookback_scan_state_kernelINS0_19lookback_scan_stateINS_5tupleIJsbEEELb0ELb1EEEEEvT_jjPNS6_10value_typeE, .Lfunc_end60-_ZN7rocprim6detail31init_lookback_scan_state_kernelINS0_19lookback_scan_stateINS_5tupleIJsbEEELb0ELb1EEEEEvT_jjPNS6_10value_typeE
                                        ; -- End function
	.section	.AMDGPU.csdata,"",@progbits
; Kernel info:
; codeLenInByte = 288
; NumSgprs: 16
; NumVgprs: 6
; NumAgprs: 0
; TotalNumVgprs: 6
; ScratchSize: 0
; MemoryBound: 0
; FloatMode: 240
; IeeeMode: 1
; LDSByteSize: 0 bytes/workgroup (compile time only)
; SGPRBlocks: 1
; VGPRBlocks: 0
; NumSGPRsForWavesPerEU: 16
; NumVGPRsForWavesPerEU: 6
; AccumOffset: 8
; Occupancy: 8
; WaveLimiterHint : 0
; COMPUTE_PGM_RSRC2:SCRATCH_EN: 0
; COMPUTE_PGM_RSRC2:USER_SGPR: 2
; COMPUTE_PGM_RSRC2:TRAP_HANDLER: 0
; COMPUTE_PGM_RSRC2:TGID_X_EN: 1
; COMPUTE_PGM_RSRC2:TGID_Y_EN: 0
; COMPUTE_PGM_RSRC2:TGID_Z_EN: 0
; COMPUTE_PGM_RSRC2:TIDIG_COMP_CNT: 0
; COMPUTE_PGM_RSRC3_GFX90A:ACCUM_OFFSET: 1
; COMPUTE_PGM_RSRC3_GFX90A:TG_SPLIT: 0
	.section	.text._ZN7rocprim6detail25device_scan_by_key_kernelILNS0_25lookback_scan_determinismE0ELb0ENS0_26wrapped_scan_by_key_configINS_14default_configEisEEPiN6hipcub22TransformInputIteratorIsNS7_6CastOpIsEEPslEEPfsNS7_8EqualityENS7_3MaxENS0_19lookback_scan_stateINS_5tupleIJsbEEELb1ELb1EEEsEEvT2_T3_T4_T5_T6_T7_T8_mmmPKNSH_IJT9_bEEE,"axG",@progbits,_ZN7rocprim6detail25device_scan_by_key_kernelILNS0_25lookback_scan_determinismE0ELb0ENS0_26wrapped_scan_by_key_configINS_14default_configEisEEPiN6hipcub22TransformInputIteratorIsNS7_6CastOpIsEEPslEEPfsNS7_8EqualityENS7_3MaxENS0_19lookback_scan_stateINS_5tupleIJsbEEELb1ELb1EEEsEEvT2_T3_T4_T5_T6_T7_T8_mmmPKNSH_IJT9_bEEE,comdat
	.protected	_ZN7rocprim6detail25device_scan_by_key_kernelILNS0_25lookback_scan_determinismE0ELb0ENS0_26wrapped_scan_by_key_configINS_14default_configEisEEPiN6hipcub22TransformInputIteratorIsNS7_6CastOpIsEEPslEEPfsNS7_8EqualityENS7_3MaxENS0_19lookback_scan_stateINS_5tupleIJsbEEELb1ELb1EEEsEEvT2_T3_T4_T5_T6_T7_T8_mmmPKNSH_IJT9_bEEE ; -- Begin function _ZN7rocprim6detail25device_scan_by_key_kernelILNS0_25lookback_scan_determinismE0ELb0ENS0_26wrapped_scan_by_key_configINS_14default_configEisEEPiN6hipcub22TransformInputIteratorIsNS7_6CastOpIsEEPslEEPfsNS7_8EqualityENS7_3MaxENS0_19lookback_scan_stateINS_5tupleIJsbEEELb1ELb1EEEsEEvT2_T3_T4_T5_T6_T7_T8_mmmPKNSH_IJT9_bEEE
	.globl	_ZN7rocprim6detail25device_scan_by_key_kernelILNS0_25lookback_scan_determinismE0ELb0ENS0_26wrapped_scan_by_key_configINS_14default_configEisEEPiN6hipcub22TransformInputIteratorIsNS7_6CastOpIsEEPslEEPfsNS7_8EqualityENS7_3MaxENS0_19lookback_scan_stateINS_5tupleIJsbEEELb1ELb1EEEsEEvT2_T3_T4_T5_T6_T7_T8_mmmPKNSH_IJT9_bEEE
	.p2align	8
	.type	_ZN7rocprim6detail25device_scan_by_key_kernelILNS0_25lookback_scan_determinismE0ELb0ENS0_26wrapped_scan_by_key_configINS_14default_configEisEEPiN6hipcub22TransformInputIteratorIsNS7_6CastOpIsEEPslEEPfsNS7_8EqualityENS7_3MaxENS0_19lookback_scan_stateINS_5tupleIJsbEEELb1ELb1EEEsEEvT2_T3_T4_T5_T6_T7_T8_mmmPKNSH_IJT9_bEEE,@function
_ZN7rocprim6detail25device_scan_by_key_kernelILNS0_25lookback_scan_determinismE0ELb0ENS0_26wrapped_scan_by_key_configINS_14default_configEisEEPiN6hipcub22TransformInputIteratorIsNS7_6CastOpIsEEPslEEPfsNS7_8EqualityENS7_3MaxENS0_19lookback_scan_stateINS_5tupleIJsbEEELb1ELb1EEEsEEvT2_T3_T4_T5_T6_T7_T8_mmmPKNSH_IJT9_bEEE: ; @_ZN7rocprim6detail25device_scan_by_key_kernelILNS0_25lookback_scan_determinismE0ELb0ENS0_26wrapped_scan_by_key_configINS_14default_configEisEEPiN6hipcub22TransformInputIteratorIsNS7_6CastOpIsEEPslEEPfsNS7_8EqualityENS7_3MaxENS0_19lookback_scan_stateINS_5tupleIJsbEEELb1ELb1EEEsEEvT2_T3_T4_T5_T6_T7_T8_mmmPKNSH_IJT9_bEEE
; %bb.0:
	s_endpgm
	.section	.rodata,"a",@progbits
	.p2align	6, 0x0
	.amdhsa_kernel _ZN7rocprim6detail25device_scan_by_key_kernelILNS0_25lookback_scan_determinismE0ELb0ENS0_26wrapped_scan_by_key_configINS_14default_configEisEEPiN6hipcub22TransformInputIteratorIsNS7_6CastOpIsEEPslEEPfsNS7_8EqualityENS7_3MaxENS0_19lookback_scan_stateINS_5tupleIJsbEEELb1ELb1EEEsEEvT2_T3_T4_T5_T6_T7_T8_mmmPKNSH_IJT9_bEEE
		.amdhsa_group_segment_fixed_size 0
		.amdhsa_private_segment_fixed_size 0
		.amdhsa_kernarg_size 80
		.amdhsa_user_sgpr_count 2
		.amdhsa_user_sgpr_dispatch_ptr 0
		.amdhsa_user_sgpr_queue_ptr 0
		.amdhsa_user_sgpr_kernarg_segment_ptr 1
		.amdhsa_user_sgpr_dispatch_id 0
		.amdhsa_user_sgpr_kernarg_preload_length 0
		.amdhsa_user_sgpr_kernarg_preload_offset 0
		.amdhsa_user_sgpr_private_segment_size 0
		.amdhsa_uses_dynamic_stack 0
		.amdhsa_enable_private_segment 0
		.amdhsa_system_sgpr_workgroup_id_x 1
		.amdhsa_system_sgpr_workgroup_id_y 0
		.amdhsa_system_sgpr_workgroup_id_z 0
		.amdhsa_system_sgpr_workgroup_info 0
		.amdhsa_system_vgpr_workitem_id 0
		.amdhsa_next_free_vgpr 1
		.amdhsa_next_free_sgpr 0
		.amdhsa_accum_offset 4
		.amdhsa_reserve_vcc 0
		.amdhsa_float_round_mode_32 0
		.amdhsa_float_round_mode_16_64 0
		.amdhsa_float_denorm_mode_32 3
		.amdhsa_float_denorm_mode_16_64 3
		.amdhsa_dx10_clamp 1
		.amdhsa_ieee_mode 1
		.amdhsa_fp16_overflow 0
		.amdhsa_tg_split 0
		.amdhsa_exception_fp_ieee_invalid_op 0
		.amdhsa_exception_fp_denorm_src 0
		.amdhsa_exception_fp_ieee_div_zero 0
		.amdhsa_exception_fp_ieee_overflow 0
		.amdhsa_exception_fp_ieee_underflow 0
		.amdhsa_exception_fp_ieee_inexact 0
		.amdhsa_exception_int_div_zero 0
	.end_amdhsa_kernel
	.section	.text._ZN7rocprim6detail25device_scan_by_key_kernelILNS0_25lookback_scan_determinismE0ELb0ENS0_26wrapped_scan_by_key_configINS_14default_configEisEEPiN6hipcub22TransformInputIteratorIsNS7_6CastOpIsEEPslEEPfsNS7_8EqualityENS7_3MaxENS0_19lookback_scan_stateINS_5tupleIJsbEEELb1ELb1EEEsEEvT2_T3_T4_T5_T6_T7_T8_mmmPKNSH_IJT9_bEEE,"axG",@progbits,_ZN7rocprim6detail25device_scan_by_key_kernelILNS0_25lookback_scan_determinismE0ELb0ENS0_26wrapped_scan_by_key_configINS_14default_configEisEEPiN6hipcub22TransformInputIteratorIsNS7_6CastOpIsEEPslEEPfsNS7_8EqualityENS7_3MaxENS0_19lookback_scan_stateINS_5tupleIJsbEEELb1ELb1EEEsEEvT2_T3_T4_T5_T6_T7_T8_mmmPKNSH_IJT9_bEEE,comdat
.Lfunc_end61:
	.size	_ZN7rocprim6detail25device_scan_by_key_kernelILNS0_25lookback_scan_determinismE0ELb0ENS0_26wrapped_scan_by_key_configINS_14default_configEisEEPiN6hipcub22TransformInputIteratorIsNS7_6CastOpIsEEPslEEPfsNS7_8EqualityENS7_3MaxENS0_19lookback_scan_stateINS_5tupleIJsbEEELb1ELb1EEEsEEvT2_T3_T4_T5_T6_T7_T8_mmmPKNSH_IJT9_bEEE, .Lfunc_end61-_ZN7rocprim6detail25device_scan_by_key_kernelILNS0_25lookback_scan_determinismE0ELb0ENS0_26wrapped_scan_by_key_configINS_14default_configEisEEPiN6hipcub22TransformInputIteratorIsNS7_6CastOpIsEEPslEEPfsNS7_8EqualityENS7_3MaxENS0_19lookback_scan_stateINS_5tupleIJsbEEELb1ELb1EEEsEEvT2_T3_T4_T5_T6_T7_T8_mmmPKNSH_IJT9_bEEE
                                        ; -- End function
	.section	.AMDGPU.csdata,"",@progbits
; Kernel info:
; codeLenInByte = 4
; NumSgprs: 6
; NumVgprs: 0
; NumAgprs: 0
; TotalNumVgprs: 0
; ScratchSize: 0
; MemoryBound: 0
; FloatMode: 240
; IeeeMode: 1
; LDSByteSize: 0 bytes/workgroup (compile time only)
; SGPRBlocks: 0
; VGPRBlocks: 0
; NumSGPRsForWavesPerEU: 6
; NumVGPRsForWavesPerEU: 1
; AccumOffset: 4
; Occupancy: 8
; WaveLimiterHint : 0
; COMPUTE_PGM_RSRC2:SCRATCH_EN: 0
; COMPUTE_PGM_RSRC2:USER_SGPR: 2
; COMPUTE_PGM_RSRC2:TRAP_HANDLER: 0
; COMPUTE_PGM_RSRC2:TGID_X_EN: 1
; COMPUTE_PGM_RSRC2:TGID_Y_EN: 0
; COMPUTE_PGM_RSRC2:TGID_Z_EN: 0
; COMPUTE_PGM_RSRC2:TIDIG_COMP_CNT: 0
; COMPUTE_PGM_RSRC3_GFX90A:ACCUM_OFFSET: 0
; COMPUTE_PGM_RSRC3_GFX90A:TG_SPLIT: 0
	.section	.text._ZN7rocprim6detail25device_scan_by_key_kernelILNS0_25lookback_scan_determinismE0ELb0ENS0_26wrapped_scan_by_key_configINS_14default_configEisEEPiN6hipcub22TransformInputIteratorIsNS7_6CastOpIsEEPslEEPfsNS7_8EqualityENS7_3MaxENS0_19lookback_scan_stateINS_5tupleIJsbEEELb0ELb1EEEsEEvT2_T3_T4_T5_T6_T7_T8_mmmPKNSH_IJT9_bEEE,"axG",@progbits,_ZN7rocprim6detail25device_scan_by_key_kernelILNS0_25lookback_scan_determinismE0ELb0ENS0_26wrapped_scan_by_key_configINS_14default_configEisEEPiN6hipcub22TransformInputIteratorIsNS7_6CastOpIsEEPslEEPfsNS7_8EqualityENS7_3MaxENS0_19lookback_scan_stateINS_5tupleIJsbEEELb0ELb1EEEsEEvT2_T3_T4_T5_T6_T7_T8_mmmPKNSH_IJT9_bEEE,comdat
	.protected	_ZN7rocprim6detail25device_scan_by_key_kernelILNS0_25lookback_scan_determinismE0ELb0ENS0_26wrapped_scan_by_key_configINS_14default_configEisEEPiN6hipcub22TransformInputIteratorIsNS7_6CastOpIsEEPslEEPfsNS7_8EqualityENS7_3MaxENS0_19lookback_scan_stateINS_5tupleIJsbEEELb0ELb1EEEsEEvT2_T3_T4_T5_T6_T7_T8_mmmPKNSH_IJT9_bEEE ; -- Begin function _ZN7rocprim6detail25device_scan_by_key_kernelILNS0_25lookback_scan_determinismE0ELb0ENS0_26wrapped_scan_by_key_configINS_14default_configEisEEPiN6hipcub22TransformInputIteratorIsNS7_6CastOpIsEEPslEEPfsNS7_8EqualityENS7_3MaxENS0_19lookback_scan_stateINS_5tupleIJsbEEELb0ELb1EEEsEEvT2_T3_T4_T5_T6_T7_T8_mmmPKNSH_IJT9_bEEE
	.globl	_ZN7rocprim6detail25device_scan_by_key_kernelILNS0_25lookback_scan_determinismE0ELb0ENS0_26wrapped_scan_by_key_configINS_14default_configEisEEPiN6hipcub22TransformInputIteratorIsNS7_6CastOpIsEEPslEEPfsNS7_8EqualityENS7_3MaxENS0_19lookback_scan_stateINS_5tupleIJsbEEELb0ELb1EEEsEEvT2_T3_T4_T5_T6_T7_T8_mmmPKNSH_IJT9_bEEE
	.p2align	8
	.type	_ZN7rocprim6detail25device_scan_by_key_kernelILNS0_25lookback_scan_determinismE0ELb0ENS0_26wrapped_scan_by_key_configINS_14default_configEisEEPiN6hipcub22TransformInputIteratorIsNS7_6CastOpIsEEPslEEPfsNS7_8EqualityENS7_3MaxENS0_19lookback_scan_stateINS_5tupleIJsbEEELb0ELb1EEEsEEvT2_T3_T4_T5_T6_T7_T8_mmmPKNSH_IJT9_bEEE,@function
_ZN7rocprim6detail25device_scan_by_key_kernelILNS0_25lookback_scan_determinismE0ELb0ENS0_26wrapped_scan_by_key_configINS_14default_configEisEEPiN6hipcub22TransformInputIteratorIsNS7_6CastOpIsEEPslEEPfsNS7_8EqualityENS7_3MaxENS0_19lookback_scan_stateINS_5tupleIJsbEEELb0ELb1EEEsEEvT2_T3_T4_T5_T6_T7_T8_mmmPKNSH_IJT9_bEEE: ; @_ZN7rocprim6detail25device_scan_by_key_kernelILNS0_25lookback_scan_determinismE0ELb0ENS0_26wrapped_scan_by_key_configINS_14default_configEisEEPiN6hipcub22TransformInputIteratorIsNS7_6CastOpIsEEPslEEPfsNS7_8EqualityENS7_3MaxENS0_19lookback_scan_stateINS_5tupleIJsbEEELb0ELb1EEEsEEvT2_T3_T4_T5_T6_T7_T8_mmmPKNSH_IJT9_bEEE
; %bb.0:
	s_load_dwordx4 s[4:7], s[0:1], 0x0
	s_load_dwordx8 s[60:67], s[0:1], 0x28
	s_load_dwordx2 s[56:57], s[0:1], 0x48
	s_mul_i32 s8, s2, 0x1800
	s_mov_b32 s9, 0
	s_lshl_b64 s[58:59], s[8:9], 2
	s_waitcnt lgkmcnt(0)
	s_add_u32 s70, s4, s58
	s_addc_u32 s71, s5, s59
	s_lshl_b64 s[4:5], s[8:9], 1
	s_add_u32 s68, s6, s4
	s_addc_u32 s69, s7, s5
	s_add_u32 s4, s2, s64
	s_addc_u32 s5, 0, s65
	s_add_u32 s6, s66, -1
	s_addc_u32 s7, s67, -1
	v_mov_b64_e32 v[2:3], s[6:7]
	v_cmp_ge_u64_e64 s[54:55], s[4:5], v[2:3]
	s_mov_b64 s[28:29], -1
	s_and_b64 vcc, exec, s[54:55]
	s_mul_i32 s33, s6, 0xffffe800
	v_lshlrev_b32_e32 v50, 2, v0
	s_cbranch_vccz .LBB62_124
; %bb.1:
	s_load_dword s63, s[70:71], 0x0
	s_add_i32 s3, s33, s62
	v_mov_b32_e32 v51, 0
	v_lshl_add_u64 v[2:3], s[70:71], 0, v[50:51]
	v_cmp_gt_u32_e64 s[4:5], s3, v0
	s_waitcnt lgkmcnt(0)
	v_mov_b32_e32 v1, s63
	s_and_saveexec_b64 s[6:7], s[4:5]
	s_cbranch_execz .LBB62_3
; %bb.2:
	global_load_dword v1, v[2:3], off
.LBB62_3:
	s_or_b64 exec, exec, s[6:7]
	v_or_b32_e32 v4, 0x100, v0
	v_cmp_gt_u32_e64 s[6:7], s3, v4
	v_mov_b32_e32 v4, s63
	s_and_saveexec_b64 s[8:9], s[6:7]
	s_cbranch_execz .LBB62_5
; %bb.4:
	global_load_dword v4, v[2:3], off offset:1024
.LBB62_5:
	s_or_b64 exec, exec, s[8:9]
	v_or_b32_e32 v5, 0x200, v0
	v_cmp_gt_u32_e64 s[8:9], s3, v5
	v_mov_b32_e32 v5, s63
	s_and_saveexec_b64 s[10:11], s[8:9]
	s_cbranch_execz .LBB62_7
; %bb.6:
	global_load_dword v5, v[2:3], off offset:2048
.LBB62_7:
	;; [unrolled: 9-line block ×3, first 2 shown]
	s_or_b64 exec, exec, s[12:13]
	v_or_b32_e32 v7, 0x400, v0
	v_cmp_gt_u32_e64 s[12:13], s3, v7
	v_mov_b32_e32 v7, s63
	s_and_saveexec_b64 s[14:15], s[12:13]
	s_cbranch_execz .LBB62_11
; %bb.10:
	v_add_co_u32_e32 v8, vcc, 0x1000, v2
	s_nop 1
	v_addc_co_u32_e32 v9, vcc, 0, v3, vcc
	global_load_dword v7, v[8:9], off
.LBB62_11:
	s_or_b64 exec, exec, s[14:15]
	v_or_b32_e32 v8, 0x500, v0
	v_cmp_gt_u32_e64 s[14:15], s3, v8
	v_mov_b32_e32 v8, s63
	s_and_saveexec_b64 s[16:17], s[14:15]
	s_cbranch_execz .LBB62_13
; %bb.12:
	v_add_co_u32_e32 v8, vcc, 0x1000, v2
	s_nop 1
	v_addc_co_u32_e32 v9, vcc, 0, v3, vcc
	global_load_dword v8, v[8:9], off offset:1024
.LBB62_13:
	s_or_b64 exec, exec, s[16:17]
	v_or_b32_e32 v9, 0x600, v0
	v_cmp_gt_u32_e64 s[16:17], s3, v9
	v_mov_b32_e32 v9, s63
	s_and_saveexec_b64 s[18:19], s[16:17]
	s_cbranch_execz .LBB62_15
; %bb.14:
	v_add_co_u32_e32 v10, vcc, 0x1000, v2
	s_nop 1
	v_addc_co_u32_e32 v11, vcc, 0, v3, vcc
	global_load_dword v9, v[10:11], off offset:2048
.LBB62_15:
	s_or_b64 exec, exec, s[18:19]
	v_or_b32_e32 v10, 0x700, v0
	v_cmp_gt_u32_e64 s[18:19], s3, v10
	v_mov_b32_e32 v10, s63
	s_and_saveexec_b64 s[20:21], s[18:19]
	s_cbranch_execz .LBB62_17
; %bb.16:
	v_add_co_u32_e32 v10, vcc, 0x1000, v2
	s_nop 1
	v_addc_co_u32_e32 v11, vcc, 0, v3, vcc
	global_load_dword v10, v[10:11], off offset:3072
.LBB62_17:
	s_or_b64 exec, exec, s[20:21]
	v_or_b32_e32 v11, 0x800, v0
	v_cmp_gt_u32_e64 s[20:21], s3, v11
	v_mov_b32_e32 v11, s63
	s_and_saveexec_b64 s[22:23], s[20:21]
	s_cbranch_execz .LBB62_19
; %bb.18:
	v_add_co_u32_e32 v12, vcc, 0x2000, v2
	s_nop 1
	v_addc_co_u32_e32 v13, vcc, 0, v3, vcc
	global_load_dword v11, v[12:13], off
.LBB62_19:
	s_or_b64 exec, exec, s[22:23]
	v_or_b32_e32 v12, 0x900, v0
	v_cmp_gt_u32_e64 s[22:23], s3, v12
	v_mov_b32_e32 v12, s63
	s_and_saveexec_b64 s[24:25], s[22:23]
	s_cbranch_execz .LBB62_21
; %bb.20:
	v_add_co_u32_e32 v12, vcc, 0x2000, v2
	s_nop 1
	v_addc_co_u32_e32 v13, vcc, 0, v3, vcc
	global_load_dword v12, v[12:13], off offset:1024
.LBB62_21:
	s_or_b64 exec, exec, s[24:25]
	v_or_b32_e32 v13, 0xa00, v0
	v_cmp_gt_u32_e64 s[24:25], s3, v13
	v_mov_b32_e32 v13, s63
	s_and_saveexec_b64 s[26:27], s[24:25]
	s_cbranch_execz .LBB62_23
; %bb.22:
	v_add_co_u32_e32 v14, vcc, 0x2000, v2
	s_nop 1
	v_addc_co_u32_e32 v15, vcc, 0, v3, vcc
	global_load_dword v13, v[14:15], off offset:2048
.LBB62_23:
	s_or_b64 exec, exec, s[26:27]
	v_or_b32_e32 v14, 0xb00, v0
	v_cmp_gt_u32_e64 s[26:27], s3, v14
	v_mov_b32_e32 v14, s63
	s_and_saveexec_b64 s[28:29], s[26:27]
	s_cbranch_execz .LBB62_25
; %bb.24:
	v_add_co_u32_e32 v14, vcc, 0x2000, v2
	s_nop 1
	v_addc_co_u32_e32 v15, vcc, 0, v3, vcc
	global_load_dword v14, v[14:15], off offset:3072
.LBB62_25:
	;; [unrolled: 48-line block ×5, first 2 shown]
	s_or_b64 exec, exec, s[66:67]
	s_sub_u32 s66, 0, s2
	s_subb_u32 s67, 0, 0
	s_cmp_eq_u64 s[66:67], s[64:65]
	s_movk_i32 s63, 0x5c
	s_cselect_b32 s66, 0, -4
	s_waitcnt vmcnt(0)
	ds_write2st64_b32 v50, v1, v4 offset1:4
	ds_write2st64_b32 v50, v5, v6 offset0:8 offset1:12
	ds_write2st64_b32 v50, v7, v8 offset0:16 offset1:20
	;; [unrolled: 1-line block ×11, first 2 shown]
	v_mad_u32_u24 v1, v0, s63, v50
	s_cselect_b32 s63, 0, -1
	s_add_u32 s66, s70, s66
	s_addc_u32 s67, s71, s63
	s_waitcnt lgkmcnt(0)
	s_barrier
	ds_read_b128 v[42:45], v1
	ds_read_b128 v[38:41], v1 offset:16
	ds_read_b128 v[34:37], v1 offset:32
	;; [unrolled: 1-line block ×5, first 2 shown]
	s_load_dword s63, s[66:67], 0x0
	s_movk_i32 s66, 0xffa4
	v_mad_i32_i24 v1, v0, s66, v1
	v_cmp_ne_u32_e32 vcc, 0, v0
	s_waitcnt lgkmcnt(0)
	ds_write_b32 v1, v25 offset:24576
	v_mov_b32_e32 v46, s63
	s_waitcnt lgkmcnt(0)
	s_barrier
	s_and_saveexec_b64 s[66:67], vcc
	s_cbranch_execz .LBB62_51
; %bb.50:
	ds_read_b32 v46, v1 offset:24572
.LBB62_51:
	s_or_b64 exec, exec, s[66:67]
	v_lshlrev_b32_e32 v2, 1, v0
	v_mov_b32_e32 v3, 0
	v_lshl_add_u64 v[4:5], s[68:69], 0, v[2:3]
	s_waitcnt lgkmcnt(0)
	s_barrier
	s_waitcnt lgkmcnt(0)
                                        ; implicit-def: $vgpr3
	s_and_saveexec_b64 s[66:67], s[4:5]
	s_cbranch_execz .LBB62_197
; %bb.52:
	global_load_ushort v3, v[4:5], off
	s_or_b64 exec, exec, s[66:67]
                                        ; implicit-def: $vgpr6
	s_and_saveexec_b64 s[4:5], s[6:7]
	s_cbranch_execnz .LBB62_198
.LBB62_53:
	s_or_b64 exec, exec, s[4:5]
                                        ; implicit-def: $vgpr7
	s_and_saveexec_b64 s[4:5], s[8:9]
	s_cbranch_execz .LBB62_199
.LBB62_54:
	global_load_ushort v7, v[4:5], off offset:1024
	s_or_b64 exec, exec, s[4:5]
                                        ; implicit-def: $vgpr8
	s_and_saveexec_b64 s[4:5], s[10:11]
	s_cbranch_execnz .LBB62_200
.LBB62_55:
	s_or_b64 exec, exec, s[4:5]
                                        ; implicit-def: $vgpr9
	s_and_saveexec_b64 s[4:5], s[12:13]
	s_cbranch_execz .LBB62_201
.LBB62_56:
	global_load_ushort v9, v[4:5], off offset:2048
	s_or_b64 exec, exec, s[4:5]
                                        ; implicit-def: $vgpr10
	s_and_saveexec_b64 s[4:5], s[14:15]
	s_cbranch_execnz .LBB62_202
.LBB62_57:
	s_or_b64 exec, exec, s[4:5]
                                        ; implicit-def: $vgpr11
	s_and_saveexec_b64 s[4:5], s[16:17]
	s_cbranch_execz .LBB62_203
.LBB62_58:
	global_load_ushort v11, v[4:5], off offset:3072
	s_or_b64 exec, exec, s[4:5]
                                        ; implicit-def: $vgpr12
	s_and_saveexec_b64 s[4:5], s[18:19]
	s_cbranch_execnz .LBB62_204
.LBB62_59:
	s_or_b64 exec, exec, s[4:5]
                                        ; implicit-def: $vgpr13
	s_and_saveexec_b64 s[4:5], s[20:21]
	s_cbranch_execz .LBB62_205
.LBB62_60:
	v_add_co_u32_e32 v14, vcc, 0x1000, v4
	s_nop 1
	v_addc_co_u32_e32 v15, vcc, 0, v5, vcc
	global_load_ushort v13, v[14:15], off
	s_or_b64 exec, exec, s[4:5]
                                        ; implicit-def: $vgpr14
	s_and_saveexec_b64 s[4:5], s[22:23]
	s_cbranch_execnz .LBB62_206
.LBB62_61:
	s_or_b64 exec, exec, s[4:5]
                                        ; implicit-def: $vgpr15
	s_and_saveexec_b64 s[4:5], s[24:25]
	s_cbranch_execz .LBB62_207
.LBB62_62:
	v_add_co_u32_e32 v16, vcc, 0x1000, v4
	s_nop 1
	v_addc_co_u32_e32 v17, vcc, 0, v5, vcc
	global_load_ushort v15, v[16:17], off offset:1024
	s_or_b64 exec, exec, s[4:5]
                                        ; implicit-def: $vgpr16
	s_and_saveexec_b64 s[4:5], s[26:27]
	s_cbranch_execnz .LBB62_208
.LBB62_63:
	s_or_b64 exec, exec, s[4:5]
                                        ; implicit-def: $vgpr17
	s_and_saveexec_b64 s[4:5], s[28:29]
	s_cbranch_execz .LBB62_209
.LBB62_64:
	v_add_co_u32_e32 v18, vcc, 0x1000, v4
	s_nop 1
	v_addc_co_u32_e32 v19, vcc, 0, v5, vcc
	global_load_ushort v17, v[18:19], off offset:2048
	s_or_b64 exec, exec, s[4:5]
                                        ; implicit-def: $vgpr18
	s_and_saveexec_b64 s[4:5], s[30:31]
	s_cbranch_execnz .LBB62_210
.LBB62_65:
	s_or_b64 exec, exec, s[4:5]
                                        ; implicit-def: $vgpr19
	s_and_saveexec_b64 s[4:5], s[34:35]
	s_cbranch_execz .LBB62_211
.LBB62_66:
	v_add_co_u32_e32 v20, vcc, 0x1000, v4
	s_nop 1
	v_addc_co_u32_e32 v21, vcc, 0, v5, vcc
	global_load_ushort v19, v[20:21], off offset:3072
	s_or_b64 exec, exec, s[4:5]
                                        ; implicit-def: $vgpr20
	s_and_saveexec_b64 s[4:5], s[36:37]
	s_cbranch_execnz .LBB62_212
.LBB62_67:
	s_or_b64 exec, exec, s[4:5]
                                        ; implicit-def: $vgpr21
	s_and_saveexec_b64 s[4:5], s[38:39]
	s_cbranch_execz .LBB62_213
.LBB62_68:
	v_add_co_u32_e32 v48, vcc, 0x2000, v4
	s_nop 1
	v_addc_co_u32_e32 v49, vcc, 0, v5, vcc
	global_load_ushort v21, v[48:49], off
	s_or_b64 exec, exec, s[4:5]
                                        ; implicit-def: $vgpr47
	s_and_saveexec_b64 s[4:5], s[40:41]
	s_cbranch_execnz .LBB62_214
.LBB62_69:
	s_or_b64 exec, exec, s[4:5]
                                        ; implicit-def: $vgpr49
	s_and_saveexec_b64 s[4:5], s[42:43]
	s_cbranch_execz .LBB62_215
.LBB62_70:
	v_add_co_u32_e32 v48, vcc, 0x2000, v4
	s_nop 1
	v_addc_co_u32_e32 v49, vcc, 0, v5, vcc
	global_load_ushort v49, v[48:49], off offset:1024
	s_or_b64 exec, exec, s[4:5]
                                        ; implicit-def: $vgpr51
	s_and_saveexec_b64 s[4:5], s[44:45]
	s_cbranch_execnz .LBB62_216
.LBB62_71:
	s_or_b64 exec, exec, s[4:5]
                                        ; implicit-def: $vgpr52
	s_and_saveexec_b64 s[4:5], s[46:47]
	s_cbranch_execz .LBB62_217
.LBB62_72:
	v_add_co_u32_e32 v52, vcc, 0x2000, v4
	s_nop 1
	v_addc_co_u32_e32 v53, vcc, 0, v5, vcc
	global_load_ushort v52, v[52:53], off offset:2048
	s_or_b64 exec, exec, s[4:5]
                                        ; implicit-def: $vgpr53
	s_and_saveexec_b64 s[4:5], s[48:49]
	s_cbranch_execnz .LBB62_218
.LBB62_73:
	s_or_b64 exec, exec, s[4:5]
                                        ; implicit-def: $vgpr55
	s_and_saveexec_b64 s[4:5], s[50:51]
	s_cbranch_execz .LBB62_75
.LBB62_74:
	v_add_co_u32_e32 v54, vcc, 0x2000, v4
	s_nop 1
	v_addc_co_u32_e32 v55, vcc, 0, v5, vcc
	global_load_ushort v55, v[54:55], off offset:3072
.LBB62_75:
	s_or_b64 exec, exec, s[4:5]
	v_mul_u32_u24_e32 v54, 24, v0
                                        ; implicit-def: $vgpr56
	s_and_saveexec_b64 s[4:5], s[52:53]
	s_cbranch_execz .LBB62_77
; %bb.76:
	v_add_co_u32_e32 v4, vcc, 0x2000, v4
	s_nop 1
	v_addc_co_u32_e32 v5, vcc, 0, v5, vcc
	global_load_ushort v56, v[4:5], off offset:3584
.LBB62_77:
	s_or_b64 exec, exec, s[4:5]
	s_mov_b32 s8, 0
	v_sub_u32_e32 v48, v1, v2
	s_mov_b32 s9, s8
	s_mov_b32 s6, s8
	;; [unrolled: 1-line block ×3, first 2 shown]
	s_waitcnt vmcnt(0)
	ds_write_b16 v48, v3
	ds_write_b16 v48, v6 offset:512
	ds_write_b16 v48, v7 offset:1024
	;; [unrolled: 1-line block ×23, first 2 shown]
	s_mov_b32 s10, s8
	s_mov_b32 s11, s8
	;; [unrolled: 1-line block ×18, first 2 shown]
	v_mov_b64_e32 v[20:21], s[6:7]
	v_mov_b64_e32 v[2:3], s[8:9]
	v_cmp_gt_u32_e32 vcc, s3, v54
	s_mov_b64 s[28:29], 0
	v_mov_b64_e32 v[52:53], s[24:25]
	v_mov_b64_e32 v[18:19], s[4:5]
	;; [unrolled: 1-line block ×9, first 2 shown]
	v_mov_b32_e32 v1, 0
	s_mov_b64 s[12:13], 0
	s_waitcnt lgkmcnt(0)
	s_barrier
	s_waitcnt lgkmcnt(0)
                                        ; implicit-def: $sgpr6_sgpr7
                                        ; implicit-def: $vgpr51
	s_and_saveexec_b64 s[10:11], vcc
	s_cbranch_execz .LBB62_123
; %bb.78:
	v_mad_u32_u24 v1, v0, 46, v48
	ds_read_u16 v1, v1
	v_cmp_ne_u32_e32 vcc, v46, v42
	s_mov_b32 s12, 0
	v_or_b32_e32 v2, 1, v54
	v_cndmask_b32_e64 v3, 0, 1, vcc
	s_mov_b32 s13, s12
	s_mov_b32 s6, s12
	;; [unrolled: 1-line block ×3, first 2 shown]
	v_cmp_gt_u32_e32 vcc, s3, v2
	s_waitcnt lgkmcnt(0)
	v_lshl_or_b32 v1, v3, 16, v1
	s_mov_b32 s14, s12
	s_mov_b32 s15, s12
	;; [unrolled: 1-line block ×18, first 2 shown]
	v_mov_b64_e32 v[20:21], s[6:7]
	v_mov_b64_e32 v[2:3], s[12:13]
	s_mov_b64 s[34:35], 0
	v_mov_b64_e32 v[52:53], s[30:31]
	v_mov_b64_e32 v[18:19], s[4:5]
	;; [unrolled: 1-line block ×9, first 2 shown]
                                        ; implicit-def: $sgpr36_sgpr37
                                        ; implicit-def: $vgpr51
	s_and_saveexec_b64 s[30:31], vcc
	s_cbranch_execz .LBB62_122
; %bb.79:
	v_mul_u32_u24_e32 v2, 46, v0
	v_add_u32_e32 v55, v48, v2
	ds_read_b128 v[46:49], v55 offset:2
	v_or_b32_e32 v2, 2, v54
	v_cmp_ne_u32_e32 vcc, v42, v43
	v_mov_b64_e32 v[20:21], s[6:7]
	v_mov_b32_e32 v53, 0
	v_cndmask_b32_e64 v3, 0, 1, vcc
	v_cmp_gt_u32_e32 vcc, s3, v2
	s_waitcnt lgkmcnt(0)
	v_and_b32_e32 v2, 0xffff, v46
	v_lshl_or_b32 v52, v3, 16, v2
	v_mov_b64_e32 v[2:3], s[12:13]
	v_mov_b64_e32 v[18:19], s[4:5]
	;; [unrolled: 1-line block ×9, first 2 shown]
                                        ; implicit-def: $sgpr12_sgpr13
                                        ; implicit-def: $vgpr51
	s_and_saveexec_b64 s[6:7], vcc
	s_cbranch_execz .LBB62_121
; %bb.80:
	v_cmp_ne_u32_e32 vcc, v43, v44
	s_mov_b32 s12, 0
	v_or_b32_e32 v2, 3, v54
	v_cndmask_b32_e64 v3, 0, 1, vcc
	s_mov_b32 s13, s12
	s_mov_b32 s36, s12
	;; [unrolled: 1-line block ×3, first 2 shown]
	v_alignbit_b32 v53, v3, v46, 16
	v_cmp_gt_u32_e32 vcc, s3, v2
	s_mov_b32 s14, s12
	s_mov_b32 s15, s12
	;; [unrolled: 1-line block ×16, first 2 shown]
	v_mov_b64_e32 v[18:19], s[36:37]
	v_mov_b64_e32 v[2:3], s[12:13]
	s_mov_b64 s[4:5], 0
	v_mov_b64_e32 v[20:21], s[38:39]
	v_mov_b64_e32 v[4:5], s[14:15]
	v_mov_b64_e32 v[6:7], s[16:17]
	v_mov_b64_e32 v[8:9], s[18:19]
	v_mov_b64_e32 v[10:11], s[20:21]
	v_mov_b64_e32 v[12:13], s[22:23]
	v_mov_b64_e32 v[14:15], s[24:25]
	v_mov_b64_e32 v[16:17], s[26:27]
                                        ; implicit-def: $sgpr36_sgpr37
                                        ; implicit-def: $vgpr51
	s_and_saveexec_b64 s[34:35], vcc
	s_cbranch_execz .LBB62_120
; %bb.81:
	v_cmp_ne_u32_e32 vcc, v44, v45
	v_and_b32_e32 v2, 0xffff, v47
	v_or_b32_e32 v3, 4, v54
	v_cndmask_b32_e64 v4, 0, 1, vcc
	v_lshl_or_b32 v18, v4, 16, v2
	v_cmp_gt_u32_e32 vcc, s3, v3
	v_mov_b32_e32 v20, 0
	v_mov_b64_e32 v[2:3], s[12:13]
	v_mov_b32_e32 v19, v20
	v_mov_b32_e32 v21, v20
	v_mov_b64_e32 v[4:5], s[14:15]
	v_mov_b64_e32 v[6:7], s[16:17]
	;; [unrolled: 1-line block ×7, first 2 shown]
                                        ; implicit-def: $sgpr12_sgpr13
                                        ; implicit-def: $vgpr51
	s_and_saveexec_b64 s[36:37], vcc
	s_cbranch_execz .LBB62_119
; %bb.82:
	v_cmp_ne_u32_e32 vcc, v45, v38
	s_mov_b32 s12, 0
	v_or_b32_e32 v2, 5, v54
	v_cndmask_b32_e64 v3, 0, 1, vcc
	s_mov_b32 s13, s12
	v_alignbit_b32 v19, v3, v47, 16
	v_cmp_gt_u32_e32 vcc, s3, v2
	s_mov_b32 s14, s12
	s_mov_b32 s15, s12
	;; [unrolled: 1-line block ×14, first 2 shown]
	v_mov_b64_e32 v[2:3], s[12:13]
	v_mov_b32_e32 v21, v20
	v_mov_b64_e32 v[4:5], s[14:15]
	v_mov_b64_e32 v[6:7], s[16:17]
	;; [unrolled: 1-line block ×7, first 2 shown]
                                        ; implicit-def: $sgpr40_sgpr41
                                        ; implicit-def: $vgpr51
	s_and_saveexec_b64 s[38:39], vcc
	s_cbranch_execz .LBB62_118
; %bb.83:
	v_cmp_ne_u32_e32 vcc, v38, v39
	v_and_b32_e32 v2, 0xffff, v48
	v_or_b32_e32 v3, 6, v54
	v_cndmask_b32_e64 v4, 0, 1, vcc
	v_lshl_or_b32 v20, v4, 16, v2
	v_cmp_gt_u32_e32 vcc, s3, v3
	v_mov_b64_e32 v[2:3], s[12:13]
	v_mov_b32_e32 v21, s12
	v_mov_b64_e32 v[4:5], s[14:15]
	v_mov_b64_e32 v[6:7], s[16:17]
	;; [unrolled: 1-line block ×7, first 2 shown]
                                        ; implicit-def: $sgpr12_sgpr13
                                        ; implicit-def: $vgpr51
	s_and_saveexec_b64 s[40:41], vcc
	s_cbranch_execz .LBB62_117
; %bb.84:
	v_cmp_ne_u32_e32 vcc, v39, v40
	s_mov_b32 s12, 0
	v_or_b32_e32 v2, 7, v54
	v_cndmask_b32_e64 v3, 0, 1, vcc
	s_mov_b32 s13, s12
	v_alignbit_b32 v21, v3, v48, 16
	v_cmp_gt_u32_e32 vcc, s3, v2
	s_mov_b32 s14, s12
	s_mov_b32 s15, s12
	;; [unrolled: 1-line block ×14, first 2 shown]
	v_mov_b64_e32 v[2:3], s[12:13]
	v_mov_b64_e32 v[4:5], s[14:15]
	;; [unrolled: 1-line block ×8, first 2 shown]
                                        ; implicit-def: $sgpr14_sgpr15
                                        ; implicit-def: $vgpr51
	s_and_saveexec_b64 s[12:13], vcc
	s_cbranch_execz .LBB62_116
; %bb.85:
	v_cmp_ne_u32_e32 vcc, v40, v41
	v_and_b32_e32 v2, 0xffff, v49
	v_add_u32_e32 v3, 8, v54
	v_cndmask_b32_e64 v4, 0, 1, vcc
	v_lshl_or_b32 v2, v4, 16, v2
	v_mov_b32_e32 v4, 0
	v_cmp_gt_u32_e32 vcc, s3, v3
	v_mov_b32_e32 v3, v4
	v_mov_b32_e32 v5, v4
	;; [unrolled: 1-line block ×14, first 2 shown]
                                        ; implicit-def: $sgpr16_sgpr17
                                        ; implicit-def: $vgpr51
	s_and_saveexec_b64 s[14:15], vcc
	s_cbranch_execz .LBB62_115
; %bb.86:
	v_cmp_ne_u32_e32 vcc, v41, v34
	v_add_u32_e32 v5, 9, v54
	v_mov_b32_e32 v6, v4
	v_cndmask_b32_e64 v3, 0, 1, vcc
	v_alignbit_b32 v3, v3, v49, 16
	v_cmp_gt_u32_e32 vcc, s3, v5
	v_mov_b32_e32 v5, v4
	v_mov_b32_e32 v7, v4
	;; [unrolled: 1-line block ×12, first 2 shown]
                                        ; implicit-def: $sgpr18_sgpr19
                                        ; implicit-def: $vgpr51
	s_and_saveexec_b64 s[16:17], vcc
	s_cbranch_execz .LBB62_114
; %bb.87:
	ds_read_b128 v[38:41], v55 offset:18
	v_add_u32_e32 v4, 10, v54
	v_cmp_ne_u32_e32 vcc, v34, v35
	v_mov_b32_e32 v6, 0
	v_mov_b32_e32 v7, v6
	v_cndmask_b32_e64 v5, 0, 1, vcc
	v_cmp_gt_u32_e32 vcc, s3, v4
	s_waitcnt lgkmcnt(0)
	v_and_b32_e32 v4, 0xffff, v38
	v_lshl_or_b32 v4, v5, 16, v4
	v_mov_b32_e32 v5, v6
	v_mov_b32_e32 v8, v6
	;; [unrolled: 1-line block ×11, first 2 shown]
                                        ; implicit-def: $sgpr20_sgpr21
                                        ; implicit-def: $vgpr51
	s_and_saveexec_b64 s[18:19], vcc
	s_cbranch_execz .LBB62_113
; %bb.88:
	v_cmp_ne_u32_e32 vcc, v35, v36
	v_add_u32_e32 v7, 11, v54
	v_mov_b32_e32 v8, v6
	v_cndmask_b32_e64 v5, 0, 1, vcc
	v_alignbit_b32 v5, v5, v38, 16
	v_cmp_gt_u32_e32 vcc, s3, v7
	v_mov_b32_e32 v7, v6
	v_mov_b32_e32 v9, v6
	;; [unrolled: 1-line block ×10, first 2 shown]
                                        ; implicit-def: $sgpr22_sgpr23
                                        ; implicit-def: $vgpr51
	s_and_saveexec_b64 s[20:21], vcc
	s_cbranch_execz .LBB62_112
; %bb.89:
	v_cmp_ne_u32_e32 vcc, v36, v37
	v_and_b32_e32 v6, 0xffff, v39
	v_add_u32_e32 v7, 12, v54
	v_cndmask_b32_e64 v8, 0, 1, vcc
	v_lshl_or_b32 v6, v8, 16, v6
	v_mov_b32_e32 v8, 0
	v_cmp_gt_u32_e32 vcc, s3, v7
	v_mov_b32_e32 v7, v8
	v_mov_b32_e32 v9, v8
	;; [unrolled: 1-line block ×10, first 2 shown]
                                        ; implicit-def: $sgpr24_sgpr25
                                        ; implicit-def: $vgpr51
	s_and_saveexec_b64 s[22:23], vcc
	s_cbranch_execz .LBB62_111
; %bb.90:
	v_cmp_ne_u32_e32 vcc, v37, v30
	v_add_u32_e32 v9, 13, v54
	v_mov_b32_e32 v10, v8
	v_cndmask_b32_e64 v7, 0, 1, vcc
	v_alignbit_b32 v7, v7, v39, 16
	v_cmp_gt_u32_e32 vcc, s3, v9
	v_mov_b32_e32 v9, v8
	v_mov_b32_e32 v11, v8
	;; [unrolled: 1-line block ×8, first 2 shown]
                                        ; implicit-def: $sgpr26_sgpr27
                                        ; implicit-def: $vgpr51
	s_and_saveexec_b64 s[24:25], vcc
	s_cbranch_execz .LBB62_110
; %bb.91:
	v_cmp_ne_u32_e32 vcc, v30, v31
	v_and_b32_e32 v8, 0xffff, v40
	v_add_u32_e32 v9, 14, v54
	v_cndmask_b32_e64 v10, 0, 1, vcc
	v_lshl_or_b32 v8, v10, 16, v8
	v_mov_b32_e32 v10, 0
	v_cmp_gt_u32_e32 vcc, s3, v9
	v_mov_b32_e32 v9, v10
	v_mov_b32_e32 v11, v10
	;; [unrolled: 1-line block ×8, first 2 shown]
                                        ; implicit-def: $sgpr42_sgpr43
                                        ; implicit-def: $vgpr51
	s_and_saveexec_b64 s[26:27], vcc
	s_cbranch_execz .LBB62_109
; %bb.92:
	v_cmp_ne_u32_e32 vcc, v31, v32
	v_add_u32_e32 v11, 15, v54
	v_mov_b32_e32 v12, v10
	v_cndmask_b32_e64 v9, 0, 1, vcc
	v_alignbit_b32 v9, v9, v40, 16
	v_cmp_gt_u32_e32 vcc, s3, v11
	v_mov_b32_e32 v11, v10
	v_mov_b32_e32 v13, v10
	;; [unrolled: 1-line block ×6, first 2 shown]
                                        ; implicit-def: $sgpr44_sgpr45
                                        ; implicit-def: $vgpr51
	s_and_saveexec_b64 s[42:43], vcc
	s_cbranch_execz .LBB62_108
; %bb.93:
	v_cmp_ne_u32_e32 vcc, v32, v33
	v_and_b32_e32 v10, 0xffff, v41
	v_add_u32_e32 v11, 16, v54
	v_cndmask_b32_e64 v12, 0, 1, vcc
	v_lshl_or_b32 v10, v12, 16, v10
	v_mov_b32_e32 v12, 0
	v_cmp_gt_u32_e32 vcc, s3, v11
	v_mov_b32_e32 v11, v12
	v_mov_b32_e32 v13, v12
	;; [unrolled: 1-line block ×6, first 2 shown]
                                        ; implicit-def: $sgpr46_sgpr47
                                        ; implicit-def: $vgpr51
	s_and_saveexec_b64 s[44:45], vcc
	s_cbranch_execz .LBB62_107
; %bb.94:
	v_cmp_ne_u32_e32 vcc, v33, v26
	v_add_u32_e32 v13, 17, v54
	v_mov_b32_e32 v14, v12
	v_cndmask_b32_e64 v11, 0, 1, vcc
	v_alignbit_b32 v11, v11, v41, 16
	v_cmp_gt_u32_e32 vcc, s3, v13
	v_mov_b32_e32 v13, v12
	v_mov_b32_e32 v15, v12
	;; [unrolled: 1-line block ×4, first 2 shown]
                                        ; implicit-def: $sgpr48_sgpr49
                                        ; implicit-def: $vgpr51
	s_and_saveexec_b64 s[46:47], vcc
	s_cbranch_execz .LBB62_106
; %bb.95:
	ds_read_b96 v[30:32], v55 offset:34
	v_add_u32_e32 v12, 18, v54
	v_cmp_ne_u32_e32 vcc, v26, v27
	v_mov_b32_e32 v14, 0
	v_mov_b32_e32 v15, v14
	v_cndmask_b32_e64 v13, 0, 1, vcc
	v_cmp_gt_u32_e32 vcc, s3, v12
	s_waitcnt lgkmcnt(0)
	v_and_b32_e32 v12, 0xffff, v30
	v_lshl_or_b32 v12, v13, 16, v12
	v_mov_b32_e32 v13, v14
	v_mov_b32_e32 v16, v14
	;; [unrolled: 1-line block ×3, first 2 shown]
                                        ; implicit-def: $sgpr50_sgpr51
                                        ; implicit-def: $vgpr51
	s_and_saveexec_b64 s[48:49], vcc
	s_cbranch_execz .LBB62_105
; %bb.96:
	v_cmp_ne_u32_e32 vcc, v27, v28
	v_add_u32_e32 v15, 19, v54
	v_mov_b32_e32 v16, v14
	v_cndmask_b32_e64 v13, 0, 1, vcc
	v_alignbit_b32 v13, v13, v30, 16
	v_cmp_gt_u32_e32 vcc, s3, v15
	v_mov_b32_e32 v15, v14
	v_mov_b32_e32 v17, v14
                                        ; implicit-def: $sgpr52_sgpr53
                                        ; implicit-def: $vgpr51
	s_and_saveexec_b64 s[50:51], vcc
	s_cbranch_execz .LBB62_104
; %bb.97:
	v_cmp_ne_u32_e32 vcc, v28, v29
	v_and_b32_e32 v14, 0xffff, v31
	v_add_u32_e32 v15, 20, v54
	v_cndmask_b32_e64 v16, 0, 1, vcc
	v_lshl_or_b32 v14, v16, 16, v14
	v_mov_b32_e32 v16, 0
	v_cmp_gt_u32_e32 vcc, s3, v15
	v_mov_b32_e32 v15, v16
	v_mov_b32_e32 v17, v16
                                        ; implicit-def: $sgpr66_sgpr67
                                        ; implicit-def: $vgpr51
	s_and_saveexec_b64 s[52:53], vcc
	s_cbranch_execz .LBB62_103
; %bb.98:
	v_cmp_ne_u32_e32 vcc, v29, v22
	v_add_u32_e32 v17, 21, v54
	s_mov_b32 s9, 0
	v_cndmask_b32_e64 v15, 0, 1, vcc
	v_alignbit_b32 v15, v15, v31, 16
	v_cmp_gt_u32_e32 vcc, s3, v17
	v_mov_b32_e32 v17, v16
                                        ; implicit-def: $sgpr72_sgpr73
                                        ; implicit-def: $vgpr51
	s_and_saveexec_b64 s[66:67], vcc
	s_cbranch_execz .LBB62_102
; %bb.99:
	v_cmp_ne_u32_e32 vcc, v22, v23
	v_and_b32_e32 v16, 0xffff, v32
	v_add_u32_e32 v17, 22, v54
	v_cndmask_b32_e64 v22, 0, 1, vcc
	v_lshl_or_b32 v16, v22, 16, v16
	v_cmp_gt_u32_e32 vcc, s3, v17
	v_mov_b32_e32 v17, s9
                                        ; implicit-def: $sgpr72_sgpr73
                                        ; implicit-def: $vgpr51
	s_and_saveexec_b64 s[74:75], vcc
	s_xor_b64 s[74:75], exec, s[74:75]
	s_cbranch_execz .LBB62_101
; %bb.100:
	ds_read_u16 v51, v55 offset:46
	v_add_u32_e32 v22, 23, v54
	v_cmp_ne_u32_e64 s[4:5], v23, v24
	v_cmp_ne_u32_e32 vcc, v24, v25
	s_and_b64 s[72:73], vcc, exec
	v_cndmask_b32_e64 v17, 0, 1, s[4:5]
	v_cmp_gt_u32_e64 s[4:5], s3, v22
	v_alignbit_b32 v17, v17, v32, 16
	s_and_b64 s[4:5], s[4:5], exec
.LBB62_101:
	s_or_b64 exec, exec, s[74:75]
	s_and_b64 s[72:73], s[72:73], exec
	s_and_b64 s[4:5], s[4:5], exec
.LBB62_102:
	s_or_b64 exec, exec, s[66:67]
	s_and_b64 s[66:67], s[72:73], exec
	s_and_b64 s[4:5], s[4:5], exec
.LBB62_103:
	s_or_b64 exec, exec, s[52:53]
	s_and_b64 s[52:53], s[66:67], exec
	s_and_b64 s[4:5], s[4:5], exec
.LBB62_104:
	s_or_b64 exec, exec, s[50:51]
	s_and_b64 s[50:51], s[52:53], exec
	s_and_b64 s[4:5], s[4:5], exec
.LBB62_105:
	s_or_b64 exec, exec, s[48:49]
	s_and_b64 s[48:49], s[50:51], exec
	s_and_b64 s[4:5], s[4:5], exec
.LBB62_106:
	s_or_b64 exec, exec, s[46:47]
	s_and_b64 s[46:47], s[48:49], exec
	s_and_b64 s[4:5], s[4:5], exec
.LBB62_107:
	s_or_b64 exec, exec, s[44:45]
	s_and_b64 s[44:45], s[46:47], exec
	s_and_b64 s[4:5], s[4:5], exec
.LBB62_108:
	s_or_b64 exec, exec, s[42:43]
	s_and_b64 s[42:43], s[44:45], exec
	s_and_b64 s[4:5], s[4:5], exec
.LBB62_109:
	s_or_b64 exec, exec, s[26:27]
	s_and_b64 s[26:27], s[42:43], exec
	s_and_b64 s[4:5], s[4:5], exec
.LBB62_110:
	s_or_b64 exec, exec, s[24:25]
	s_and_b64 s[24:25], s[26:27], exec
	s_and_b64 s[4:5], s[4:5], exec
.LBB62_111:
	s_or_b64 exec, exec, s[22:23]
	s_and_b64 s[22:23], s[24:25], exec
	s_and_b64 s[4:5], s[4:5], exec
.LBB62_112:
	s_or_b64 exec, exec, s[20:21]
	s_and_b64 s[20:21], s[22:23], exec
	s_and_b64 s[4:5], s[4:5], exec
.LBB62_113:
	s_or_b64 exec, exec, s[18:19]
	s_and_b64 s[18:19], s[20:21], exec
	s_and_b64 s[4:5], s[4:5], exec
.LBB62_114:
	s_or_b64 exec, exec, s[16:17]
	s_and_b64 s[16:17], s[18:19], exec
	s_and_b64 s[4:5], s[4:5], exec
.LBB62_115:
	s_or_b64 exec, exec, s[14:15]
	s_and_b64 s[14:15], s[16:17], exec
	s_and_b64 s[4:5], s[4:5], exec
.LBB62_116:
	s_or_b64 exec, exec, s[12:13]
	s_and_b64 s[12:13], s[14:15], exec
	s_and_b64 s[4:5], s[4:5], exec
.LBB62_117:
	s_or_b64 exec, exec, s[40:41]
	s_and_b64 s[40:41], s[12:13], exec
	s_and_b64 s[4:5], s[4:5], exec
.LBB62_118:
	s_or_b64 exec, exec, s[38:39]
	s_and_b64 s[12:13], s[40:41], exec
	s_and_b64 s[4:5], s[4:5], exec
.LBB62_119:
	s_or_b64 exec, exec, s[36:37]
	s_and_b64 s[36:37], s[12:13], exec
	s_and_b64 s[4:5], s[4:5], exec
.LBB62_120:
	s_or_b64 exec, exec, s[34:35]
	s_and_b64 s[12:13], s[36:37], exec
	s_and_b64 s[34:35], s[4:5], exec
.LBB62_121:
	s_or_b64 exec, exec, s[6:7]
	s_and_b64 s[36:37], s[12:13], exec
	s_and_b64 s[34:35], s[34:35], exec
.LBB62_122:
	s_or_b64 exec, exec, s[30:31]
	s_and_b64 s[6:7], s[36:37], exec
	s_and_b64 s[12:13], s[34:35], exec
.LBB62_123:
	s_or_b64 exec, exec, s[10:11]
	s_and_b64 vcc, exec, s[28:29]
	v_cmp_ne_u32_e64 s[4:5], 0, v0
	s_cbranch_vccnz .LBB62_125
	s_branch .LBB62_128
.LBB62_124:
	s_mov_b64 s[12:13], 0
                                        ; implicit-def: $sgpr6_sgpr7
                                        ; implicit-def: $vgpr52_vgpr53
                                        ; implicit-def: $vgpr18_vgpr19_vgpr20_vgpr21
                                        ; implicit-def: $vgpr2_vgpr3_vgpr4_vgpr5_vgpr6_vgpr7_vgpr8_vgpr9_vgpr10_vgpr11_vgpr12_vgpr13_vgpr14_vgpr15_vgpr16_vgpr17
                                        ; implicit-def: $vgpr51
                                        ; implicit-def: $vgpr1
                                        ; implicit-def: $sgpr8
	s_and_b64 vcc, exec, s[28:29]
	v_cmp_ne_u32_e64 s[4:5], 0, v0
	s_cbranch_vccz .LBB62_128
.LBB62_125:
	s_waitcnt lgkmcnt(0)
	v_mov_b32_e32 v51, 0
	v_lshl_add_u64 v[2:3], s[70:71], 0, v[50:51]
	v_add_co_u32_e32 v4, vcc, 0x1000, v2
	global_load_dword v8, v50, s[70:71]
	global_load_dword v9, v50, s[70:71] offset:1024
	global_load_dword v10, v50, s[70:71] offset:2048
	;; [unrolled: 1-line block ×3, first 2 shown]
	v_addc_co_u32_e32 v5, vcc, 0, v3, vcc
	v_add_co_u32_e32 v6, vcc, 0x2000, v2
	s_movk_i32 s7, 0x5c
	s_nop 0
	v_addc_co_u32_e32 v7, vcc, 0, v3, vcc
	global_load_dword v12, v[4:5], off
	global_load_dword v13, v[4:5], off offset:1024
	global_load_dword v14, v[4:5], off offset:2048
	global_load_dword v15, v[4:5], off offset:3072
	global_load_dword v16, v[6:7], off
	global_load_dword v17, v[6:7], off offset:1024
	global_load_dword v18, v[6:7], off offset:2048
	;; [unrolled: 1-line block ×3, first 2 shown]
	v_add_co_u32_e32 v4, vcc, 0x3000, v2
	s_sub_u32 s6, 0, s2
	s_nop 0
	v_addc_co_u32_e32 v5, vcc, 0, v3, vcc
	v_add_co_u32_e32 v6, vcc, 0x4000, v2
	v_mad_u32_u24 v38, v0, s7, v50
	s_nop 0
	v_addc_co_u32_e32 v7, vcc, 0, v3, vcc
	v_add_co_u32_e32 v2, vcc, 0x5000, v2
	global_load_dword v20, v[4:5], off
	global_load_dword v21, v[4:5], off offset:1024
	global_load_dword v22, v[4:5], off offset:2048
	;; [unrolled: 1-line block ×3, first 2 shown]
	global_load_dword v24, v[6:7], off
	global_load_dword v25, v[6:7], off offset:1024
	global_load_dword v26, v[6:7], off offset:2048
	;; [unrolled: 1-line block ×3, first 2 shown]
	v_addc_co_u32_e32 v3, vcc, 0, v3, vcc
	global_load_dword v4, v[2:3], off
	global_load_dword v5, v[2:3], off offset:1024
	global_load_dword v6, v[2:3], off offset:2048
	;; [unrolled: 1-line block ×3, first 2 shown]
	s_subb_u32 s7, 0, 0
	s_cmp_eq_u64 s[6:7], s[64:65]
	s_cselect_b32 s6, 0, -4
	s_cselect_b32 s7, 0, -1
	s_add_u32 s6, s70, s6
	s_addc_u32 s7, s71, s7
	s_movk_i32 s9, 0xffa4
	s_movk_i32 s8, 0x1000
	;; [unrolled: 1-line block ×3, first 2 shown]
	v_mad_i32_i24 v1, v0, s9, v38
	s_waitcnt vmcnt(22)
	ds_write2st64_b32 v50, v8, v9 offset1:4
	s_waitcnt vmcnt(20)
	ds_write2st64_b32 v50, v10, v11 offset0:8 offset1:12
	s_waitcnt vmcnt(18)
	ds_write2st64_b32 v50, v12, v13 offset0:16 offset1:20
	;; [unrolled: 2-line block ×11, first 2 shown]
	s_waitcnt lgkmcnt(0)
	s_barrier
	ds_read2_b64 v[2:5], v38 offset1:11
	ds_read2_b64 v[34:37], v38 offset0:9 offset1:10
	ds_read2_b64 v[30:33], v38 offset0:7 offset1:8
	;; [unrolled: 1-line block ×5, first 2 shown]
	s_load_dword s6, s[6:7], 0x0
	s_waitcnt lgkmcnt(0)
	ds_write_b32 v1, v5 offset:24576
	s_waitcnt lgkmcnt(0)
	s_barrier
	v_mov_b32_e32 v10, s6
	s_and_saveexec_b64 s[6:7], s[4:5]
	s_cbranch_execz .LBB62_127
; %bb.126:
	ds_read_b32 v10, v1 offset:24572
.LBB62_127:
	s_or_b64 exec, exec, s[6:7]
	v_lshlrev_b32_e32 v12, 1, v0
	v_mov_b32_e32 v13, v51
	v_lshl_add_u64 v[14:15], s[68:69], 0, v[12:13]
	v_add_co_u32_e32 v16, vcc, s8, v14
	s_waitcnt lgkmcnt(0)
	s_nop 0
	v_addc_co_u32_e32 v17, vcc, 0, v15, vcc
	v_add_co_u32_e32 v14, vcc, s3, v14
	s_barrier
	global_load_ushort v11, v12, s[68:69]
	v_addc_co_u32_e32 v15, vcc, 0, v15, vcc
	global_load_ushort v13, v12, s[68:69] offset:512
	global_load_ushort v18, v12, s[68:69] offset:1024
	;; [unrolled: 1-line block ×7, first 2 shown]
	global_load_ushort v40, v[14:15], off offset:-4096
	global_load_ushort v41, v[16:17], off offset:512
	global_load_ushort v42, v[16:17], off offset:1024
	;; [unrolled: 1-line block ×7, first 2 shown]
                                        ; kill: killed $vgpr16 killed $vgpr17
                                        ; kill: killed $sgpr68 killed $sgpr69
	s_nop 0
	global_load_ushort v16, v[14:15], off
	global_load_ushort v17, v[14:15], off offset:512
	global_load_ushort v48, v[14:15], off offset:1024
	;; [unrolled: 1-line block ×7, first 2 shown]
	v_cmp_ne_u32_e32 vcc, v10, v2
	v_cmp_ne_u32_e64 s[6:7], v4, v5
	v_sub_u32_e32 v1, v1, v12
	v_cndmask_b32_e64 v5, 0, 1, vcc
	v_cmp_ne_u32_e32 vcc, v3, v6
	v_mad_u32_u24 v57, v0, 46, v1
	s_mov_b64 s[12:13], -1
	v_cndmask_b32_e64 v55, 0, 1, vcc
	v_cmp_ne_u32_e32 vcc, v2, v3
                                        ; implicit-def: $sgpr8
	s_waitcnt vmcnt(23)
	ds_write_b16 v1, v11
	s_waitcnt vmcnt(22)
	ds_write_b16 v1, v13 offset:512
	s_waitcnt vmcnt(21)
	ds_write_b16 v1, v18 offset:1024
	;; [unrolled: 2-line block ×23, first 2 shown]
	v_cndmask_b32_e64 v2, 0, 1, vcc
	v_cmp_ne_u32_e32 vcc, v9, v22
	s_waitcnt lgkmcnt(0)
	s_barrier
	ds_read_u16 v1, v57
	ds_read_b96 v[14:16], v57 offset:2
	ds_read_b128 v[38:41], v57 offset:14
	ds_read_b128 v[10:13], v57 offset:30
	ds_read_u16 v51, v57 offset:46
	v_cndmask_b32_e64 v3, 0, 1, vcc
	v_cmp_ne_u32_e32 vcc, v7, v8
	s_waitcnt lgkmcnt(4)
	v_lshl_or_b32 v1, v5, 16, v1
	s_waitcnt lgkmcnt(3)
	v_and_b32_e32 v5, 0xffff, v14
	v_cndmask_b32_e64 v56, 0, 1, vcc
	v_cmp_ne_u32_e32 vcc, v8, v9
	v_and_b32_e32 v17, 0xffff, v16
	v_lshl_or_b32 v52, v2, 16, v5
	v_cndmask_b32_e64 v2, 0, 1, vcc
	v_cmp_ne_u32_e32 vcc, v6, v7
	v_lshl_or_b32 v20, v2, 16, v17
	v_alignbit_b32 v21, v3, v16, 16
	v_cndmask_b32_e64 v2, 0, 1, vcc
	v_cmp_ne_u32_e32 vcc, v37, v4
	v_alignbit_b32 v53, v55, v14, 16
	v_and_b32_e32 v14, 0xffff, v15
	v_cndmask_b32_e64 v3, 0, 1, vcc
	v_cmp_ne_u32_e32 vcc, v35, v36
	s_waitcnt lgkmcnt(1)
	v_alignbit_b32 v17, v3, v13, 16
	v_alignbit_b32 v19, v56, v15, 16
	v_cndmask_b32_e64 v3, 0, 1, vcc
	v_cmp_ne_u32_e32 vcc, v33, v34
	v_alignbit_b32 v15, v3, v12, 16
	v_and_b32_e32 v16, 0xffff, v13
	v_cndmask_b32_e64 v3, 0, 1, vcc
	v_cmp_ne_u32_e32 vcc, v31, v32
	v_alignbit_b32 v13, v3, v11, 16
	v_and_b32_e32 v44, 0xffff, v11
	v_cndmask_b32_e64 v3, 0, 1, vcc
	v_cmp_ne_u32_e32 vcc, v29, v30
	v_alignbit_b32 v11, v3, v10, 16
	v_lshl_or_b32 v18, v2, 16, v14
	v_cndmask_b32_e64 v3, 0, 1, vcc
	v_cmp_ne_u32_e32 vcc, v27, v28
	v_alignbit_b32 v9, v3, v41, 16
	v_and_b32_e32 v14, 0xffff, v12
	v_cndmask_b32_e64 v3, 0, 1, vcc
	v_cmp_ne_u32_e32 vcc, v25, v26
	v_alignbit_b32 v7, v3, v40, 16
	v_and_b32_e32 v43, 0xffff, v10
	;; [unrolled: 4-line block ×3, first 2 shown]
	v_cndmask_b32_e64 v3, 0, 1, vcc
	v_cmp_ne_u32_e32 vcc, v36, v37
	v_and_b32_e32 v6, 0xffff, v40
	v_and_b32_e32 v2, 0xffff, v38
	v_cndmask_b32_e64 v4, 0, 1, vcc
	v_cmp_ne_u32_e32 vcc, v34, v35
	v_lshl_or_b32 v16, v4, 16, v16
	v_and_b32_e32 v42, 0xffff, v39
	v_cndmask_b32_e64 v4, 0, 1, vcc
	v_cmp_ne_u32_e32 vcc, v32, v33
	v_lshl_or_b32 v14, v4, 16, v14
	v_alignbit_b32 v3, v3, v38, 16
	v_cndmask_b32_e64 v4, 0, 1, vcc
	v_cmp_ne_u32_e32 vcc, v30, v31
	v_lshl_or_b32 v12, v4, 16, v44
	s_nop 0
	v_cndmask_b32_e64 v4, 0, 1, vcc
	v_cmp_ne_u32_e32 vcc, v28, v29
	v_lshl_or_b32 v10, v4, 16, v43
	s_nop 0
	;; [unrolled: 4-line block ×5, first 2 shown]
	v_cndmask_b32_e64 v22, 0, 1, vcc
	v_lshl_or_b32 v2, v22, 16, v2
.LBB62_128:
	v_mov_b32_e32 v32, s8
	s_and_saveexec_b64 s[4:5], s[12:13]
	s_cbranch_execz .LBB62_130
; %bb.129:
	v_mov_b32_e32 v22, 0x10000
	v_cndmask_b32_e64 v22, 0, v22, s[6:7]
	s_waitcnt lgkmcnt(0)
	v_or_b32_sdwa v32, v22, v51 dst_sel:DWORD dst_unused:UNUSED_PAD src0_sel:DWORD src1_sel:WORD_0
.LBB62_130:
	s_or_b64 exec, exec, s[4:5]
	s_cmp_lg_u32 s2, 0
	v_mbcnt_lo_u32_b32 v33, -1, 0
	s_waitcnt lgkmcnt(0)
	s_barrier
	s_cbranch_scc0 .LBB62_219
; %bb.131:
	s_mov_b32 s3, 0x10000
	v_max_i16_e32 v22, v1, v52
	v_cmp_gt_u32_e64 s[4:5], s3, v52
	v_cmp_gt_u32_e64 s[6:7], s3, v53
	v_cmp_gt_u32_e64 s[8:9], s3, v18
	v_cndmask_b32_e64 v22, v52, v22, s[4:5]
	v_max_i16_e32 v22, v22, v53
	v_cndmask_b32_e64 v22, v53, v22, s[6:7]
	v_max_i16_e32 v22, v22, v18
	v_cndmask_b32_e64 v22, v18, v22, s[8:9]
	v_max_i16_e32 v22, v22, v19
	v_cmp_gt_u32_e64 s[10:11], s3, v19
	v_cmp_gt_u32_e64 s[12:13], s3, v20
	v_cmp_gt_u32_e64 s[14:15], s3, v21
	v_cndmask_b32_e64 v22, v19, v22, s[10:11]
	v_max_i16_e32 v22, v22, v20
	v_cndmask_b32_e64 v22, v20, v22, s[12:13]
	v_max_i16_e32 v22, v22, v21
	v_cndmask_b32_e64 v22, v21, v22, s[14:15]
	;; [unrolled: 9-line block ×5, first 2 shown]
	v_max_i16_e32 v22, v22, v11
	v_cmp_gt_u32_e64 s[36:37], s3, v11
	v_cmp_gt_u32_e64 s[38:39], s3, v12
	v_or3_b32 v24, v32, v17, v16
	v_cndmask_b32_e64 v22, v11, v22, s[36:37]
	v_max_i16_e32 v22, v22, v12
	v_cndmask_b32_e64 v22, v12, v22, s[38:39]
	v_or3_b32 v24, v24, v15, v14
	v_max_i16_e32 v22, v22, v13
	v_cmp_gt_u32_e64 s[40:41], s3, v13
	v_or3_b32 v24, v24, v13, v12
	v_or3_b32 v24, v24, v11, v10
	v_cndmask_b32_e64 v22, v13, v22, s[40:41]
	v_max_i16_e32 v22, v22, v14
	v_cmp_gt_u32_e64 s[42:43], s3, v14
	v_or3_b32 v24, v24, v9, v8
	v_or3_b32 v24, v24, v7, v6
	v_cndmask_b32_e64 v22, v14, v22, s[42:43]
	;; [unrolled: 5-line block ×4, first 2 shown]
	v_max_i16_e32 v22, v22, v17
	v_cmp_gt_u32_e64 s[48:49], s3, v17
	v_or3_b32 v24, v24, v53, v52
	v_and_b32_e32 v24, 0x10000, v24
	v_cndmask_b32_e64 v22, v17, v22, s[48:49]
	v_and_b32_e32 v23, 0x10000, v1
	v_max_i16_e32 v22, v22, v32
	v_cmp_gt_u32_e64 s[50:51], s3, v32
	v_mov_b32_e32 v25, 0x10000
	v_cmp_eq_u32_e32 vcc, 0, v24
	v_cndmask_b32_e64 v22, v32, v22, s[50:51]
	s_nop 0
	v_cndmask_b32_e32 v26, v25, v23, vcc
	v_mbcnt_hi_u32_b32 v25, -1, v33
	v_and_b32_e32 v28, 15, v25
	v_or_b32_sdwa v24, v26, v22 dst_sel:DWORD dst_unused:UNUSED_PAD src0_sel:DWORD src1_sel:WORD_0
	v_lshrrev_b32_e32 v23, 16, v26
	v_cmp_ne_u32_e32 vcc, 0, v28
	v_mov_b32_dpp v27, v24 row_shr:1 row_mask:0xf bank_mask:0xf
	s_and_saveexec_b64 s[52:53], vcc
; %bb.132:
	v_and_b32_e32 v23, 0x10000, v26
	v_mov_b32_e32 v24, 1
	v_and_b32_sdwa v24, v27, v24 dst_sel:DWORD dst_unused:UNUSED_PAD src0_sel:WORD_1 src1_sel:DWORD
	v_cmp_ne_u32_e32 vcc, 0, v23
	s_nop 1
	v_cndmask_b32_e64 v23, v24, 1, vcc
	v_max_i16_e32 v24, v27, v22
	v_cmp_eq_u32_e32 vcc, 0, v26
	s_nop 1
	v_cndmask_b32_e32 v22, v22, v24, vcc
	v_lshlrev_b32_e32 v24, 16, v23
	v_or_b32_sdwa v24, v24, v22 dst_sel:DWORD dst_unused:UNUSED_PAD src0_sel:DWORD src1_sel:WORD_0
; %bb.133:
	s_or_b64 exec, exec, s[52:53]
	v_lshrrev_b32_e32 v27, 16, v24
	v_mov_b32_dpp v29, v24 row_shr:2 row_mask:0xf bank_mask:0xf
	v_cmp_lt_u32_e32 vcc, 1, v28
	v_mov_b32_e32 v26, v24
	s_and_saveexec_b64 s[52:53], vcc
	s_cbranch_execz .LBB62_135
; %bb.134:
	v_and_b32_e32 v22, 0x10000, v24
	v_mov_b32_e32 v23, 1
	v_and_b32_sdwa v23, v29, v23 dst_sel:DWORD dst_unused:UNUSED_PAD src0_sel:WORD_1 src1_sel:DWORD
	v_cmp_ne_u32_e32 vcc, 0, v22
	v_max_i16_e32 v22, v29, v24
	s_nop 0
	v_cndmask_b32_e64 v23, v23, 1, vcc
	v_cmp_gt_u32_e32 vcc, s3, v24
	v_mov_b32_e32 v27, v23
	s_nop 0
	v_cndmask_b32_e32 v22, v24, v22, vcc
	v_lshlrev_b32_e32 v24, 16, v23
	v_or_b32_sdwa v24, v24, v22 dst_sel:DWORD dst_unused:UNUSED_PAD src0_sel:DWORD src1_sel:WORD_0
	v_mov_b32_e32 v26, v22
.LBB62_135:
	s_or_b64 exec, exec, s[52:53]
	v_mov_b32_dpp v29, v24 row_shr:4 row_mask:0xf bank_mask:0xf
	v_cmp_lt_u32_e32 vcc, 3, v28
	s_and_saveexec_b64 s[52:53], vcc
	s_cbranch_execz .LBB62_137
; %bb.136:
	v_and_b32_e32 v22, 1, v27
	v_mov_b32_e32 v23, 1
	v_and_b32_sdwa v23, v29, v23 dst_sel:DWORD dst_unused:UNUSED_PAD src0_sel:WORD_1 src1_sel:DWORD
	v_cmp_eq_u32_e32 vcc, 1, v22
	v_max_i16_e32 v22, v29, v26
	s_nop 0
	v_cndmask_b32_e64 v23, v23, 1, vcc
	v_cmp_eq_u16_e32 vcc, 0, v27
	v_lshlrev_b32_e32 v24, 16, v23
	v_mov_b32_e32 v27, v23
	v_cndmask_b32_e32 v22, v26, v22, vcc
	v_or_b32_sdwa v24, v24, v22 dst_sel:DWORD dst_unused:UNUSED_PAD src0_sel:DWORD src1_sel:WORD_0
	v_mov_b32_e32 v26, v22
.LBB62_137:
	s_or_b64 exec, exec, s[52:53]
	v_mov_b32_dpp v29, v24 row_shr:8 row_mask:0xf bank_mask:0xf
	v_cmp_lt_u32_e32 vcc, 7, v28
	s_and_saveexec_b64 s[52:53], vcc
	s_cbranch_execz .LBB62_139
; %bb.138:
	v_and_b32_e32 v22, 1, v27
	v_mov_b32_e32 v23, 1
	v_and_b32_sdwa v23, v29, v23 dst_sel:DWORD dst_unused:UNUSED_PAD src0_sel:WORD_1 src1_sel:DWORD
	v_cmp_eq_u32_e32 vcc, 1, v22
	v_max_i16_e32 v22, v29, v26
	s_nop 0
	v_cndmask_b32_e64 v23, v23, 1, vcc
	v_cmp_eq_u16_e32 vcc, 0, v27
	v_lshlrev_b32_e32 v24, 16, v23
	v_mov_b32_e32 v27, v23
	v_cndmask_b32_e32 v22, v26, v22, vcc
	v_or_b32_sdwa v24, v24, v22 dst_sel:DWORD dst_unused:UNUSED_PAD src0_sel:DWORD src1_sel:WORD_0
	v_mov_b32_e32 v26, v22
.LBB62_139:
	s_or_b64 exec, exec, s[52:53]
	v_and_b32_e32 v29, 16, v25
	v_mov_b32_dpp v28, v24 row_bcast:15 row_mask:0xf bank_mask:0xf
	v_cmp_ne_u32_e32 vcc, 0, v29
	s_and_saveexec_b64 s[52:53], vcc
	s_cbranch_execz .LBB62_141
; %bb.140:
	v_and_b32_e32 v22, 1, v27
	v_mov_b32_e32 v23, 1
	v_and_b32_sdwa v23, v28, v23 dst_sel:DWORD dst_unused:UNUSED_PAD src0_sel:WORD_1 src1_sel:DWORD
	v_cmp_eq_u32_e32 vcc, 1, v22
	v_max_i16_e32 v22, v28, v26
	s_nop 0
	v_cndmask_b32_e64 v23, v23, 1, vcc
	v_cmp_eq_u16_e32 vcc, 0, v27
	v_lshlrev_b32_e32 v24, 16, v23
	v_mov_b32_e32 v27, v23
	v_cndmask_b32_e32 v22, v26, v22, vcc
	v_or_b32_sdwa v24, v24, v22 dst_sel:DWORD dst_unused:UNUSED_PAD src0_sel:DWORD src1_sel:WORD_0
	v_mov_b32_e32 v26, v22
.LBB62_141:
	s_or_b64 exec, exec, s[52:53]
	v_mov_b32_dpp v24, v24 row_bcast:31 row_mask:0xf bank_mask:0xf
	v_cmp_lt_u32_e32 vcc, 31, v25
	s_and_saveexec_b64 s[52:53], vcc
; %bb.142:
	v_and_b32_e32 v22, 1, v27
	v_mov_b32_e32 v23, 1
	v_and_b32_sdwa v23, v24, v23 dst_sel:DWORD dst_unused:UNUSED_PAD src0_sel:WORD_1 src1_sel:DWORD
	v_cmp_eq_u32_e32 vcc, 1, v22
	v_max_i16_e32 v22, v24, v26
	s_nop 0
	v_cndmask_b32_e64 v23, v23, 1, vcc
	v_cmp_eq_u16_e32 vcc, 0, v27
	s_nop 1
	v_cndmask_b32_e32 v22, v26, v22, vcc
; %bb.143:
	s_or_b64 exec, exec, s[52:53]
	v_or_b32_e32 v26, 63, v0
	v_lshrrev_b32_e32 v24, 6, v0
	v_cmp_eq_u32_e32 vcc, v26, v0
	s_and_saveexec_b64 s[52:53], vcc
	s_cbranch_execz .LBB62_145
; %bb.144:
	v_lshlrev_b32_e32 v26, 2, v24
	ds_write_b16 v26, v22
	ds_write_b8 v26, v23 offset:2
.LBB62_145:
	s_or_b64 exec, exec, s[52:53]
	v_cmp_gt_u32_e32 vcc, 4, v0
	s_waitcnt lgkmcnt(0)
	s_barrier
	s_and_saveexec_b64 s[52:53], vcc
	s_cbranch_execz .LBB62_151
; %bb.146:
	ds_read_b32 v26, v50
	v_and_b32_e32 v28, 3, v25
	v_cmp_ne_u32_e32 vcc, 0, v28
	s_waitcnt lgkmcnt(0)
	v_lshrrev_b32_e32 v27, 16, v26
	v_mov_b32_dpp v30, v26 row_shr:1 row_mask:0xf bank_mask:0xf
	v_mov_b32_e32 v29, v26
	s_and_saveexec_b64 s[64:65], vcc
	s_cbranch_execz .LBB62_148
; %bb.147:
	v_and_b32_e32 v29, 0x10000, v26
	v_mov_b32_e32 v34, 1
	v_and_b32_sdwa v34, v30, v34 dst_sel:DWORD dst_unused:UNUSED_PAD src0_sel:WORD_1 src1_sel:DWORD
	v_cmp_ne_u32_e32 vcc, 0, v29
	v_mov_b32_e32 v29, 0
	v_max_i16_e32 v30, v30, v26
	v_cndmask_b32_e64 v34, v34, 1, vcc
	v_cmp_eq_u16_sdwa vcc, v27, v29 src0_sel:BYTE_0 src1_sel:DWORD
	v_and_b32_e32 v31, 0xff000000, v26
	s_nop 0
	v_cndmask_b32_e32 v29, v26, v30, vcc
	v_lshlrev_b32_e32 v26, 16, v34
	v_and_b32_e32 v27, 0xffff, v29
	v_or3_b32 v26, v26, v31, v27
	v_mov_b32_e32 v27, v34
.LBB62_148:
	s_or_b64 exec, exec, s[64:65]
	v_mov_b32_dpp v30, v26 row_shr:2 row_mask:0xf bank_mask:0xf
	v_cmp_lt_u32_e32 vcc, 1, v28
	s_and_saveexec_b64 s[64:65], vcc
; %bb.149:
	v_and_b32_e32 v27, 0x10000, v26
	v_mov_b32_e32 v28, 1
	v_and_b32_sdwa v28, v30, v28 dst_sel:DWORD dst_unused:UNUSED_PAD src0_sel:WORD_1 src1_sel:DWORD
	v_cmp_eq_u32_e32 vcc, 0, v27
	v_max_i16_e32 v29, v30, v26
	s_nop 0
	v_cndmask_b32_e32 v27, 1, v28, vcc
	v_and_b32_e32 v28, 0xff0000, v26
	v_cmp_eq_u32_e32 vcc, 0, v28
	s_nop 1
	v_cndmask_b32_e32 v29, v26, v29, vcc
; %bb.150:
	s_or_b64 exec, exec, s[64:65]
	ds_write_b16 v50, v29
	ds_write_b8 v50, v27 offset:2
.LBB62_151:
	s_or_b64 exec, exec, s[52:53]
	v_cmp_gt_u32_e32 vcc, 64, v0
	v_cmp_lt_u32_e64 s[52:53], 63, v0
	v_mov_b32_e32 v34, 0
	v_mov_b32_e32 v35, 0
	s_waitcnt lgkmcnt(0)
	s_barrier
	s_and_saveexec_b64 s[64:65], s[52:53]
	s_cbranch_execz .LBB62_153
; %bb.152:
	v_lshl_add_u32 v24, v24, 2, -4
	ds_read_u16 v34, v24
	ds_read_u8 v35, v24 offset:2
	v_and_b32_e32 v26, 1, v23
	v_cmp_eq_u16_e64 s[52:53], 0, v23
	s_waitcnt lgkmcnt(1)
	v_max_i16_e32 v24, v34, v22
	v_cndmask_b32_e64 v22, v22, v24, s[52:53]
	v_cmp_eq_u32_e64 s[52:53], 1, v26
	s_waitcnt lgkmcnt(0)
	s_nop 0
	v_cndmask_b32_e64 v23, v35, 1, s[52:53]
.LBB62_153:
	s_or_b64 exec, exec, s[64:65]
	v_and_b32_e32 v23, 0xff, v23
	v_and_b32_e32 v22, 0xffff, v22
	v_lshl_or_b32 v22, v23, 16, v22
	v_add_u32_e32 v23, -1, v25
	v_and_b32_e32 v24, 64, v25
	v_cmp_lt_i32_e64 s[52:53], v23, v24
	s_nop 1
	v_cndmask_b32_e64 v23, v23, v25, s[52:53]
	v_lshlrev_b32_e32 v23, 2, v23
	ds_bpermute_b32 v36, v23, v22
	v_cmp_eq_u32_e64 s[52:53], 0, v25
	s_and_saveexec_b64 s[64:65], vcc
	s_cbranch_execz .LBB62_196
; %bb.154:
	v_mov_b32_e32 v29, 0
	ds_read_b32 v22, v29 offset:12
	s_and_saveexec_b64 s[66:67], s[52:53]
	s_cbranch_execz .LBB62_156
; %bb.155:
	s_add_i32 s68, s2, 64
	s_mov_b32 s69, 0
	s_lshl_b64 s[68:69], s[68:69], 3
	s_add_u32 s68, s60, s68
	s_addc_u32 s69, s61, s69
	v_mov_b32_e32 v23, 1
	s_waitcnt lgkmcnt(0)
	global_store_dwordx2 v29, v[22:23], s[68:69] sc1
.LBB62_156:
	s_or_b64 exec, exec, s[66:67]
	v_xad_u32 v24, v25, -1, s2
	v_add_u32_e32 v28, 64, v24
	v_lshl_add_u64 v[30:31], v[28:29], 3, s[60:61]
	global_load_dwordx2 v[26:27], v[30:31], off sc1
	s_waitcnt vmcnt(0)
	v_cmp_eq_u16_sdwa s[68:69], v27, v29 src0_sel:BYTE_0 src1_sel:DWORD
	s_and_saveexec_b64 s[66:67], s[68:69]
	s_cbranch_execz .LBB62_160
; %bb.157:
	s_mov_b64 s[68:69], 0
	v_mov_b32_e32 v23, 0
.LBB62_158:                             ; =>This Inner Loop Header: Depth=1
	global_load_dwordx2 v[26:27], v[30:31], off sc1
	s_waitcnt vmcnt(0)
	v_cmp_ne_u16_sdwa s[70:71], v27, v23 src0_sel:BYTE_0 src1_sel:DWORD
	s_or_b64 s[68:69], s[70:71], s[68:69]
	s_andn2_b64 exec, exec, s[68:69]
	s_cbranch_execnz .LBB62_158
; %bb.159:
	s_or_b64 exec, exec, s[68:69]
.LBB62_160:
	s_or_b64 exec, exec, s[66:67]
	v_mov_b32_e32 v23, 2
	v_cmp_eq_u16_sdwa s[66:67], v27, v23 src0_sel:BYTE_0 src1_sel:DWORD
	v_lshlrev_b64 v[28:29], v25, -1
	v_and_b32_e32 v31, 63, v25
	v_and_b32_e32 v23, s67, v29
	v_or_b32_e32 v23, 0x80000000, v23
	v_and_b32_e32 v30, s66, v28
	v_ffbl_b32_e32 v23, v23
	v_add_u32_e32 v23, 32, v23
	v_ffbl_b32_e32 v30, v30
	v_cmp_ne_u32_e32 vcc, 63, v31
	v_min_u32_e32 v30, v30, v23
	v_and_b32_e32 v48, 0xffffff, v26
	v_addc_co_u32_e32 v23, vcc, 0, v25, vcc
	v_lshlrev_b32_e32 v23, 2, v23
	ds_bpermute_b32 v38, v23, v48
	v_add_u32_e32 v37, 1, v25
	v_lshrrev_b32_e32 v55, 16, v26
	v_cmp_le_u32_e32 vcc, v37, v30
	v_bfe_u32 v46, v26, 16, 8
	s_and_saveexec_b64 s[66:67], vcc
	s_cbranch_execz .LBB62_162
; %bb.161:
	v_and_b32_e32 v39, 0xff0000, v26
	s_waitcnt lgkmcnt(0)
	v_max_i16_e32 v40, v38, v26
	v_cmp_eq_u32_e32 vcc, 0, v39
	v_and_b32_e32 v39, 0x10000, v39
	s_nop 0
	v_cndmask_b32_e32 v26, v26, v40, vcc
	v_mov_b32_e32 v40, 1
	v_and_b32_sdwa v38, v38, v40 dst_sel:DWORD dst_unused:UNUSED_PAD src0_sel:WORD_1 src1_sel:DWORD
	v_cmp_ne_u32_e32 vcc, 0, v39
	s_nop 1
	v_cndmask_b32_e64 v55, v38, 1, vcc
	v_lshlrev_b32_e32 v38, 16, v55
	v_or_b32_sdwa v48, v38, v26 dst_sel:DWORD dst_unused:UNUSED_PAD src0_sel:DWORD src1_sel:WORD_0
	v_mov_b32_e32 v46, v55
.LBB62_162:
	s_or_b64 exec, exec, s[66:67]
	v_cmp_gt_u32_e32 vcc, 62, v31
	v_add_u32_e32 v39, 2, v25
	s_waitcnt lgkmcnt(0)
	v_cndmask_b32_e64 v38, 0, 1, vcc
	v_lshlrev_b32_e32 v38, 1, v38
	v_add_lshl_u32 v38, v38, v25, 2
	ds_bpermute_b32 v40, v38, v48
	v_cmp_le_u32_e32 vcc, v39, v30
	s_and_saveexec_b64 s[66:67], vcc
	s_cbranch_execz .LBB62_164
; %bb.163:
	s_waitcnt lgkmcnt(0)
	v_max_i16_e32 v41, v40, v26
	v_cmp_eq_u16_e32 vcc, 0, v46
	v_mov_b32_e32 v42, 1
	v_and_b32_sdwa v40, v40, v42 dst_sel:DWORD dst_unused:UNUSED_PAD src0_sel:WORD_1 src1_sel:DWORD
	v_cndmask_b32_e32 v26, v26, v41, vcc
	v_and_b32_e32 v41, 1, v46
	v_cmp_eq_u32_e32 vcc, 1, v41
	s_nop 1
	v_cndmask_b32_e64 v55, v40, 1, vcc
	v_lshlrev_b32_e32 v40, 16, v55
	v_or_b32_sdwa v48, v40, v26 dst_sel:DWORD dst_unused:UNUSED_PAD src0_sel:DWORD src1_sel:WORD_0
	v_mov_b32_e32 v46, v55
.LBB62_164:
	s_or_b64 exec, exec, s[66:67]
	v_cmp_gt_u32_e32 vcc, 60, v31
	v_add_u32_e32 v41, 4, v25
	s_waitcnt lgkmcnt(0)
	v_cndmask_b32_e64 v40, 0, 1, vcc
	v_lshlrev_b32_e32 v40, 2, v40
	v_add_lshl_u32 v40, v40, v25, 2
	ds_bpermute_b32 v42, v40, v48
	v_cmp_le_u32_e32 vcc, v41, v30
	s_and_saveexec_b64 s[66:67], vcc
	s_cbranch_execz .LBB62_166
; %bb.165:
	s_waitcnt lgkmcnt(0)
	v_max_i16_e32 v43, v42, v26
	v_cmp_eq_u16_e32 vcc, 0, v46
	v_mov_b32_e32 v44, 1
	v_and_b32_sdwa v42, v42, v44 dst_sel:DWORD dst_unused:UNUSED_PAD src0_sel:WORD_1 src1_sel:DWORD
	v_cndmask_b32_e32 v26, v26, v43, vcc
	v_and_b32_e32 v43, 1, v46
	v_cmp_eq_u32_e32 vcc, 1, v43
	s_nop 1
	v_cndmask_b32_e64 v55, v42, 1, vcc
	v_lshlrev_b32_e32 v42, 16, v55
	v_or_b32_sdwa v48, v42, v26 dst_sel:DWORD dst_unused:UNUSED_PAD src0_sel:DWORD src1_sel:WORD_0
	v_mov_b32_e32 v46, v55
.LBB62_166:
	s_or_b64 exec, exec, s[66:67]
	v_cmp_gt_u32_e32 vcc, 56, v31
	v_add_u32_e32 v43, 8, v25
	s_waitcnt lgkmcnt(0)
	v_cndmask_b32_e64 v42, 0, 1, vcc
	v_lshlrev_b32_e32 v42, 3, v42
	v_add_lshl_u32 v42, v42, v25, 2
	ds_bpermute_b32 v44, v42, v48
	v_cmp_le_u32_e32 vcc, v43, v30
	s_and_saveexec_b64 s[66:67], vcc
	s_cbranch_execz .LBB62_168
; %bb.167:
	s_waitcnt lgkmcnt(0)
	v_max_i16_e32 v45, v44, v26
	v_cmp_eq_u16_e32 vcc, 0, v46
	s_nop 1
	v_cndmask_b32_e32 v26, v26, v45, vcc
	v_and_b32_e32 v45, 1, v46
	v_mov_b32_e32 v46, 1
	v_and_b32_sdwa v44, v44, v46 dst_sel:DWORD dst_unused:UNUSED_PAD src0_sel:WORD_1 src1_sel:DWORD
	v_cmp_eq_u32_e32 vcc, 1, v45
	s_nop 1
	v_cndmask_b32_e64 v55, v44, 1, vcc
	v_lshlrev_b32_e32 v44, 16, v55
	v_or_b32_sdwa v48, v44, v26 dst_sel:DWORD dst_unused:UNUSED_PAD src0_sel:DWORD src1_sel:WORD_0
	v_mov_b32_e32 v46, v55
.LBB62_168:
	s_or_b64 exec, exec, s[66:67]
	v_cmp_gt_u32_e32 vcc, 48, v31
	v_add_u32_e32 v45, 16, v25
	s_waitcnt lgkmcnt(0)
	v_cndmask_b32_e64 v44, 0, 1, vcc
	v_lshlrev_b32_e32 v44, 4, v44
	v_add_lshl_u32 v44, v44, v25, 2
	ds_bpermute_b32 v47, v44, v48
	v_cmp_le_u32_e32 vcc, v45, v30
	s_and_saveexec_b64 s[66:67], vcc
	s_cbranch_execz .LBB62_170
; %bb.169:
	s_waitcnt lgkmcnt(0)
	v_max_i16_e32 v48, v47, v26
	v_cmp_eq_u16_e32 vcc, 0, v46
	v_and_b32_e32 v46, 1, v46
	s_nop 0
	v_cndmask_b32_e32 v26, v26, v48, vcc
	v_mov_b32_e32 v48, 1
	v_and_b32_sdwa v47, v47, v48 dst_sel:DWORD dst_unused:UNUSED_PAD src0_sel:WORD_1 src1_sel:DWORD
	v_cmp_eq_u32_e32 vcc, 1, v46
	s_nop 1
	v_cndmask_b32_e64 v55, v47, 1, vcc
	v_lshlrev_b32_e32 v46, 16, v55
	v_or_b32_sdwa v48, v46, v26 dst_sel:DWORD dst_unused:UNUSED_PAD src0_sel:DWORD src1_sel:WORD_0
	v_mov_b32_e32 v46, v55
.LBB62_170:
	s_or_b64 exec, exec, s[66:67]
	v_cmp_gt_u32_e32 vcc, 32, v31
	s_nop 1
	v_cndmask_b32_e64 v31, 0, 1, vcc
	v_lshlrev_b32_e32 v31, 5, v31
	s_waitcnt lgkmcnt(0)
	v_add_lshl_u32 v47, v31, v25, 2
	ds_bpermute_b32 v31, v47, v48
	v_add_u32_e32 v48, 32, v25
	v_cmp_le_u32_e32 vcc, v48, v30
	s_and_saveexec_b64 s[66:67], vcc
	s_cbranch_execz .LBB62_172
; %bb.171:
	s_waitcnt lgkmcnt(0)
	v_max_i16_e32 v25, v31, v26
	v_cmp_eq_u16_e32 vcc, 0, v46
	v_mov_b32_e32 v30, 1
	v_and_b32_sdwa v30, v31, v30 dst_sel:DWORD dst_unused:UNUSED_PAD src0_sel:WORD_1 src1_sel:DWORD
	v_cndmask_b32_e32 v26, v26, v25, vcc
	v_and_b32_e32 v25, 1, v46
	v_cmp_eq_u32_e32 vcc, 1, v25
	s_nop 1
	v_cndmask_b32_e64 v55, v30, 1, vcc
.LBB62_172:
	s_or_b64 exec, exec, s[66:67]
	v_mov_b32_e32 v25, 0
	v_mov_b32_e32 v51, 2
	;; [unrolled: 1-line block ×3, first 2 shown]
	s_branch .LBB62_174
.LBB62_173:                             ;   in Loop: Header=BB62_174 Depth=1
	s_or_b64 exec, exec, s[66:67]
	v_max_i16_e32 v26, v26, v49
	v_cmp_eq_u16_sdwa vcc, v46, v25 src0_sel:BYTE_0 src1_sel:DWORD
	v_and_b32_e32 v30, 1, v46
	v_and_b32_e32 v31, 1, v31
	v_cndmask_b32_e32 v26, v49, v26, vcc
	v_cmp_eq_u32_e32 vcc, 1, v30
	v_subrev_u32_e32 v24, 64, v24
	s_nop 0
	v_cndmask_b32_e64 v55, v31, 1, vcc
.LBB62_174:                             ; =>This Loop Header: Depth=1
                                        ;     Child Loop BB62_177 Depth 2
	v_cmp_ne_u16_sdwa s[66:67], v27, v51 src0_sel:BYTE_0 src1_sel:DWORD
	v_mov_b32_e32 v46, v55
	v_mov_b32_e32 v49, v26
	v_cndmask_b32_e64 v27, 0, 1, s[66:67]
	;;#ASMSTART
	;;#ASMEND
	s_nop 0
	v_cmp_ne_u32_e32 vcc, 0, v27
	s_cmp_lg_u64 vcc, exec
	s_cbranch_scc1 .LBB62_191
; %bb.175:                              ;   in Loop: Header=BB62_174 Depth=1
	s_waitcnt lgkmcnt(0)
	v_lshl_add_u64 v[30:31], v[24:25], 3, s[60:61]
	global_load_dwordx2 v[26:27], v[30:31], off sc1
	s_waitcnt vmcnt(0)
	v_cmp_eq_u16_sdwa s[68:69], v27, v25 src0_sel:BYTE_0 src1_sel:DWORD
	s_and_saveexec_b64 s[66:67], s[68:69]
	s_cbranch_execz .LBB62_179
; %bb.176:                              ;   in Loop: Header=BB62_174 Depth=1
	s_mov_b64 s[68:69], 0
.LBB62_177:                             ;   Parent Loop BB62_174 Depth=1
                                        ; =>  This Inner Loop Header: Depth=2
	global_load_dwordx2 v[26:27], v[30:31], off sc1
	s_waitcnt vmcnt(0)
	v_cmp_ne_u16_sdwa s[70:71], v27, v25 src0_sel:BYTE_0 src1_sel:DWORD
	s_or_b64 s[68:69], s[70:71], s[68:69]
	s_andn2_b64 exec, exec, s[68:69]
	s_cbranch_execnz .LBB62_177
; %bb.178:                              ;   in Loop: Header=BB62_174 Depth=1
	s_or_b64 exec, exec, s[68:69]
.LBB62_179:                             ;   in Loop: Header=BB62_174 Depth=1
	s_or_b64 exec, exec, s[66:67]
	v_cmp_eq_u16_sdwa s[66:67], v27, v51 src0_sel:BYTE_0 src1_sel:DWORD
	v_and_b32_e32 v56, 0xffffff, v26
	ds_bpermute_b32 v57, v23, v56
	v_and_b32_e32 v30, s67, v29
	v_or_b32_e32 v30, 0x80000000, v30
	v_and_b32_e32 v31, s66, v28
	v_ffbl_b32_e32 v30, v30
	v_add_u32_e32 v30, 32, v30
	v_ffbl_b32_e32 v31, v31
	v_min_u32_e32 v30, v31, v30
	v_lshrrev_b32_e32 v31, 16, v26
	v_cmp_le_u32_e32 vcc, v37, v30
	v_bfe_u32 v55, v26, 16, 8
	s_and_saveexec_b64 s[66:67], vcc
	s_cbranch_execz .LBB62_181
; %bb.180:                              ;   in Loop: Header=BB62_174 Depth=1
	v_and_b32_e32 v31, 0xff0000, v26
	s_waitcnt lgkmcnt(0)
	v_max_i16_e32 v55, v57, v26
	v_cmp_eq_u32_e32 vcc, 0, v31
	v_and_b32_e32 v31, 0x10000, v31
	s_nop 0
	v_cndmask_b32_e32 v26, v26, v55, vcc
	v_and_b32_sdwa v55, v57, v54 dst_sel:DWORD dst_unused:UNUSED_PAD src0_sel:WORD_1 src1_sel:DWORD
	v_cmp_ne_u32_e32 vcc, 0, v31
	s_nop 1
	v_cndmask_b32_e64 v31, v55, 1, vcc
	v_lshlrev_b32_e32 v55, 16, v31
	v_or_b32_sdwa v56, v55, v26 dst_sel:DWORD dst_unused:UNUSED_PAD src0_sel:DWORD src1_sel:WORD_0
	v_mov_b32_e32 v55, v31
.LBB62_181:                             ;   in Loop: Header=BB62_174 Depth=1
	s_or_b64 exec, exec, s[66:67]
	s_waitcnt lgkmcnt(0)
	ds_bpermute_b32 v57, v38, v56
	v_cmp_le_u32_e32 vcc, v39, v30
	s_and_saveexec_b64 s[66:67], vcc
	s_cbranch_execz .LBB62_183
; %bb.182:                              ;   in Loop: Header=BB62_174 Depth=1
	s_waitcnt lgkmcnt(0)
	v_max_i16_e32 v31, v57, v26
	v_cmp_eq_u16_e32 vcc, 0, v55
	s_nop 1
	v_cndmask_b32_e32 v26, v26, v31, vcc
	v_and_b32_e32 v31, 1, v55
	v_and_b32_sdwa v55, v57, v54 dst_sel:DWORD dst_unused:UNUSED_PAD src0_sel:WORD_1 src1_sel:DWORD
	v_cmp_eq_u32_e32 vcc, 1, v31
	s_nop 1
	v_cndmask_b32_e64 v31, v55, 1, vcc
	v_lshlrev_b32_e32 v55, 16, v31
	v_or_b32_sdwa v56, v55, v26 dst_sel:DWORD dst_unused:UNUSED_PAD src0_sel:DWORD src1_sel:WORD_0
	v_mov_b32_e32 v55, v31
.LBB62_183:                             ;   in Loop: Header=BB62_174 Depth=1
	s_or_b64 exec, exec, s[66:67]
	s_waitcnt lgkmcnt(0)
	ds_bpermute_b32 v57, v40, v56
	v_cmp_le_u32_e32 vcc, v41, v30
	s_and_saveexec_b64 s[66:67], vcc
	s_cbranch_execz .LBB62_185
; %bb.184:                              ;   in Loop: Header=BB62_174 Depth=1
	s_waitcnt lgkmcnt(0)
	v_max_i16_e32 v31, v57, v26
	v_cmp_eq_u16_e32 vcc, 0, v55
	s_nop 1
	v_cndmask_b32_e32 v26, v26, v31, vcc
	v_and_b32_e32 v31, 1, v55
	v_and_b32_sdwa v55, v57, v54 dst_sel:DWORD dst_unused:UNUSED_PAD src0_sel:WORD_1 src1_sel:DWORD
	v_cmp_eq_u32_e32 vcc, 1, v31
	s_nop 1
	v_cndmask_b32_e64 v31, v55, 1, vcc
	v_lshlrev_b32_e32 v55, 16, v31
	v_or_b32_sdwa v56, v55, v26 dst_sel:DWORD dst_unused:UNUSED_PAD src0_sel:DWORD src1_sel:WORD_0
	v_mov_b32_e32 v55, v31
.LBB62_185:                             ;   in Loop: Header=BB62_174 Depth=1
	;; [unrolled: 21-line block ×4, first 2 shown]
	s_or_b64 exec, exec, s[66:67]
	ds_bpermute_b32 v56, v47, v56
	v_cmp_le_u32_e32 vcc, v48, v30
	s_and_saveexec_b64 s[66:67], vcc
	s_cbranch_execz .LBB62_173
; %bb.190:                              ;   in Loop: Header=BB62_174 Depth=1
	s_waitcnt lgkmcnt(0)
	v_max_i16_e32 v30, v56, v26
	v_cmp_eq_u16_e32 vcc, 0, v55
	v_lshrrev_b32_e32 v31, 16, v56
	s_nop 0
	v_cndmask_b32_e32 v26, v26, v30, vcc
	v_and_b32_e32 v30, 1, v55
	v_cmp_eq_u32_e32 vcc, 1, v30
	s_nop 1
	v_cndmask_b32_e64 v31, v31, 1, vcc
	s_branch .LBB62_173
.LBB62_191:                             ;   in Loop: Header=BB62_174 Depth=1
                                        ; implicit-def: $vgpr55
                                        ; implicit-def: $vgpr26
	s_cbranch_execz .LBB62_174
; %bb.192:
	s_and_saveexec_b64 s[66:67], s[52:53]
	s_cbranch_execz .LBB62_194
; %bb.193:
	v_and_b32_e32 v23, 0xff0000, v22
	v_max_i16_e32 v24, v49, v22
	v_cmp_eq_u32_e32 vcc, 0, v23
	s_mov_b32 s3, 0
	s_add_i32 s2, s2, 64
	v_cndmask_b32_e32 v23, v22, v24, vcc
	v_and_b32_e32 v22, 0x10000, v22
	v_mov_b32_e32 v24, 1
	v_and_b32_sdwa v24, v46, v24 dst_sel:WORD_1 dst_unused:UNUSED_PAD src0_sel:DWORD src1_sel:DWORD
	v_mov_b32_e32 v25, 0x10000
	v_cmp_eq_u32_e32 vcc, 0, v22
	s_lshl_b64 s[2:3], s[2:3], 3
	s_add_u32 s2, s60, s2
	v_cndmask_b32_e32 v22, v25, v24, vcc
	s_addc_u32 s3, s61, s3
	v_mov_b32_e32 v24, 0
	v_or_b32_sdwa v22, v22, v23 dst_sel:DWORD dst_unused:UNUSED_PAD src0_sel:DWORD src1_sel:WORD_0
	v_mov_b32_e32 v23, 2
	global_store_dwordx2 v24, v[22:23], s[2:3] sc1
.LBB62_194:
	s_or_b64 exec, exec, s[66:67]
	v_cmp_eq_u32_e32 vcc, 0, v0
	s_and_b64 exec, exec, vcc
	s_cbranch_execz .LBB62_196
; %bb.195:
	v_mov_b32_e32 v22, 0
	ds_write_b16 v22, v49 offset:12
	ds_write_b8 v22, v46 offset:14
.LBB62_196:
	s_or_b64 exec, exec, s[64:65]
	s_waitcnt lgkmcnt(0)
	v_lshrrev_b32_e32 v22, 16, v36
	v_mov_b32_e32 v24, 0
	v_cndmask_b32_e64 v22, v22, v35, s[52:53]
	s_barrier
	ds_read_b32 v25, v24 offset:12
	v_and_b32_e32 v27, 0x10000, v1
	v_cndmask_b32_e64 v23, v36, v34, s[52:53]
	s_mov_b32 s2, 0x10000
	v_and_b32_e32 v22, 1, v22
	v_cmp_ne_u32_e32 vcc, 0, v27
	v_max_i16_e32 v23, v23, v1
	v_lshrrev_b32_e32 v26, 16, v1
	v_cndmask_b32_e64 v22, v22, 1, vcc
	v_cmp_gt_u32_e32 vcc, s2, v1
	s_nop 1
	v_cndmask_b32_e32 v23, v1, v23, vcc
	v_cmp_eq_u32_e32 vcc, 0, v0
	s_nop 1
	v_cndmask_b32_e32 v22, v22, v26, vcc
	v_cndmask_b32_e32 v23, v23, v1, vcc
	s_waitcnt lgkmcnt(0)
	v_max_i16_e32 v25, v25, v23
	v_cmp_eq_u16_sdwa vcc, v22, v24 src0_sel:BYTE_0 src1_sel:DWORD
	s_nop 1
	v_cndmask_b32_e32 v22, v23, v25, vcc
	v_and_b32_e32 v47, 0xffff, v22
	v_max_i16_e32 v22, v22, v52
	v_cndmask_b32_e64 v22, v52, v22, s[4:5]
	v_max_i16_e32 v23, v22, v53
	v_cndmask_b32_e64 v23, v53, v23, s[6:7]
	v_max_i16_e32 v24, v23, v18
	v_cndmask_b32_e64 v24, v18, v24, s[8:9]
	v_max_i16_e32 v25, v24, v19
	v_cndmask_b32_e64 v25, v19, v25, s[10:11]
	v_max_i16_e32 v26, v25, v20
	v_cndmask_b32_e64 v26, v20, v26, s[12:13]
	v_max_i16_e32 v27, v26, v21
	v_cndmask_b32_e64 v27, v21, v27, s[14:15]
	v_max_i16_e32 v28, v27, v2
	v_cndmask_b32_e64 v29, v2, v28, s[16:17]
	v_max_i16_e32 v28, v29, v3
	v_cndmask_b32_e64 v28, v3, v28, s[18:19]
	v_max_i16_e32 v30, v28, v4
	v_cndmask_b32_e64 v30, v4, v30, s[20:21]
	v_max_i16_e32 v31, v30, v5
	v_cndmask_b32_e64 v31, v5, v31, s[22:23]
	v_max_i16_e32 v34, v31, v6
	v_cndmask_b32_e64 v34, v6, v34, s[24:25]
	v_max_i16_e32 v35, v34, v7
	v_cndmask_b32_e64 v35, v7, v35, s[26:27]
	v_max_i16_e32 v36, v35, v8
	v_cndmask_b32_e64 v36, v8, v36, s[28:29]
	v_max_i16_e32 v37, v36, v9
	v_cndmask_b32_e64 v37, v9, v37, s[30:31]
	v_max_i16_e32 v38, v37, v10
	v_cndmask_b32_e64 v39, v10, v38, s[34:35]
	v_max_i16_e32 v38, v39, v11
	v_cndmask_b32_e64 v38, v11, v38, s[36:37]
	v_max_i16_e32 v40, v38, v12
	v_cndmask_b32_e64 v40, v12, v40, s[38:39]
	v_max_i16_e32 v41, v40, v13
	v_cndmask_b32_e64 v41, v13, v41, s[40:41]
	v_max_i16_e32 v42, v41, v14
	v_cndmask_b32_e64 v42, v14, v42, s[42:43]
	v_max_i16_e32 v43, v42, v15
	v_cndmask_b32_e64 v43, v15, v43, s[44:45]
	v_max_i16_e32 v44, v43, v16
	v_cndmask_b32_e64 v44, v16, v44, s[46:47]
	v_max_i16_e32 v45, v44, v17
	v_cndmask_b32_e64 v45, v17, v45, s[48:49]
	v_max_i16_e32 v46, v45, v32
	v_cndmask_b32_e64 v46, v32, v46, s[50:51]
	v_and_b32_e32 v46, 0xffff, v46
	s_branch .LBB62_249
.LBB62_197:
	s_or_b64 exec, exec, s[66:67]
                                        ; implicit-def: $vgpr6
	s_and_saveexec_b64 s[4:5], s[6:7]
	s_cbranch_execz .LBB62_53
.LBB62_198:
	global_load_ushort v6, v[4:5], off offset:512
	s_or_b64 exec, exec, s[4:5]
                                        ; implicit-def: $vgpr7
	s_and_saveexec_b64 s[4:5], s[8:9]
	s_cbranch_execnz .LBB62_54
.LBB62_199:
	s_or_b64 exec, exec, s[4:5]
                                        ; implicit-def: $vgpr8
	s_and_saveexec_b64 s[4:5], s[10:11]
	s_cbranch_execz .LBB62_55
.LBB62_200:
	global_load_ushort v8, v[4:5], off offset:1536
	s_or_b64 exec, exec, s[4:5]
                                        ; implicit-def: $vgpr9
	s_and_saveexec_b64 s[4:5], s[12:13]
	s_cbranch_execnz .LBB62_56
.LBB62_201:
	s_or_b64 exec, exec, s[4:5]
                                        ; implicit-def: $vgpr10
	s_and_saveexec_b64 s[4:5], s[14:15]
	s_cbranch_execz .LBB62_57
.LBB62_202:
	global_load_ushort v10, v[4:5], off offset:2560
	s_or_b64 exec, exec, s[4:5]
                                        ; implicit-def: $vgpr11
	s_and_saveexec_b64 s[4:5], s[16:17]
	s_cbranch_execnz .LBB62_58
.LBB62_203:
	s_or_b64 exec, exec, s[4:5]
                                        ; implicit-def: $vgpr12
	s_and_saveexec_b64 s[4:5], s[18:19]
	s_cbranch_execz .LBB62_59
.LBB62_204:
	global_load_ushort v12, v[4:5], off offset:3584
	s_or_b64 exec, exec, s[4:5]
                                        ; implicit-def: $vgpr13
	s_and_saveexec_b64 s[4:5], s[20:21]
	s_cbranch_execnz .LBB62_60
.LBB62_205:
	s_or_b64 exec, exec, s[4:5]
                                        ; implicit-def: $vgpr14
	s_and_saveexec_b64 s[4:5], s[22:23]
	s_cbranch_execz .LBB62_61
.LBB62_206:
	v_add_co_u32_e32 v14, vcc, 0x1000, v4
	s_nop 1
	v_addc_co_u32_e32 v15, vcc, 0, v5, vcc
	global_load_ushort v14, v[14:15], off offset:512
	s_or_b64 exec, exec, s[4:5]
                                        ; implicit-def: $vgpr15
	s_and_saveexec_b64 s[4:5], s[24:25]
	s_cbranch_execnz .LBB62_62
.LBB62_207:
	s_or_b64 exec, exec, s[4:5]
                                        ; implicit-def: $vgpr16
	s_and_saveexec_b64 s[4:5], s[26:27]
	s_cbranch_execz .LBB62_63
.LBB62_208:
	v_add_co_u32_e32 v16, vcc, 0x1000, v4
	s_nop 1
	v_addc_co_u32_e32 v17, vcc, 0, v5, vcc
	global_load_ushort v16, v[16:17], off offset:1536
	s_or_b64 exec, exec, s[4:5]
                                        ; implicit-def: $vgpr17
	s_and_saveexec_b64 s[4:5], s[28:29]
	s_cbranch_execnz .LBB62_64
.LBB62_209:
	s_or_b64 exec, exec, s[4:5]
                                        ; implicit-def: $vgpr18
	s_and_saveexec_b64 s[4:5], s[30:31]
	s_cbranch_execz .LBB62_65
.LBB62_210:
	v_add_co_u32_e32 v18, vcc, 0x1000, v4
	s_nop 1
	v_addc_co_u32_e32 v19, vcc, 0, v5, vcc
	global_load_ushort v18, v[18:19], off offset:2560
	s_or_b64 exec, exec, s[4:5]
                                        ; implicit-def: $vgpr19
	s_and_saveexec_b64 s[4:5], s[34:35]
	s_cbranch_execnz .LBB62_66
.LBB62_211:
	s_or_b64 exec, exec, s[4:5]
                                        ; implicit-def: $vgpr20
	s_and_saveexec_b64 s[4:5], s[36:37]
	s_cbranch_execz .LBB62_67
.LBB62_212:
	v_add_co_u32_e32 v20, vcc, 0x1000, v4
	s_nop 1
	v_addc_co_u32_e32 v21, vcc, 0, v5, vcc
	global_load_ushort v20, v[20:21], off offset:3584
	s_or_b64 exec, exec, s[4:5]
                                        ; implicit-def: $vgpr21
	s_and_saveexec_b64 s[4:5], s[38:39]
	s_cbranch_execnz .LBB62_68
.LBB62_213:
	s_or_b64 exec, exec, s[4:5]
                                        ; implicit-def: $vgpr47
	s_and_saveexec_b64 s[4:5], s[40:41]
	s_cbranch_execz .LBB62_69
.LBB62_214:
	v_add_co_u32_e32 v48, vcc, 0x2000, v4
	s_nop 1
	v_addc_co_u32_e32 v49, vcc, 0, v5, vcc
	global_load_ushort v47, v[48:49], off offset:512
	s_or_b64 exec, exec, s[4:5]
                                        ; implicit-def: $vgpr49
	s_and_saveexec_b64 s[4:5], s[42:43]
	s_cbranch_execnz .LBB62_70
.LBB62_215:
	s_or_b64 exec, exec, s[4:5]
                                        ; implicit-def: $vgpr51
	s_and_saveexec_b64 s[4:5], s[44:45]
	s_cbranch_execz .LBB62_71
.LBB62_216:
	v_add_co_u32_e32 v52, vcc, 0x2000, v4
	s_nop 1
	v_addc_co_u32_e32 v53, vcc, 0, v5, vcc
	global_load_ushort v51, v[52:53], off offset:1536
	s_or_b64 exec, exec, s[4:5]
                                        ; implicit-def: $vgpr52
	s_and_saveexec_b64 s[4:5], s[46:47]
	s_cbranch_execnz .LBB62_72
.LBB62_217:
	s_or_b64 exec, exec, s[4:5]
                                        ; implicit-def: $vgpr53
	s_and_saveexec_b64 s[4:5], s[48:49]
	s_cbranch_execz .LBB62_73
.LBB62_218:
	v_add_co_u32_e32 v54, vcc, 0x2000, v4
	s_nop 1
	v_addc_co_u32_e32 v55, vcc, 0, v5, vcc
	global_load_ushort v53, v[54:55], off offset:2560
	s_or_b64 exec, exec, s[4:5]
                                        ; implicit-def: $vgpr55
	s_and_saveexec_b64 s[4:5], s[50:51]
	s_cbranch_execz .LBB62_75
	s_branch .LBB62_74
.LBB62_219:
                                        ; implicit-def: $vgpr47
                                        ; implicit-def: $vgpr22
                                        ; implicit-def: $vgpr23
                                        ; implicit-def: $vgpr24
                                        ; implicit-def: $vgpr25
                                        ; implicit-def: $vgpr26
                                        ; implicit-def: $vgpr27
                                        ; implicit-def: $vgpr29
                                        ; implicit-def: $vgpr28
                                        ; implicit-def: $vgpr30
                                        ; implicit-def: $vgpr31
                                        ; implicit-def: $vgpr34
                                        ; implicit-def: $vgpr35
                                        ; implicit-def: $vgpr36
                                        ; implicit-def: $vgpr37
                                        ; implicit-def: $vgpr39
                                        ; implicit-def: $vgpr38
                                        ; implicit-def: $vgpr40
                                        ; implicit-def: $vgpr41
                                        ; implicit-def: $vgpr42
                                        ; implicit-def: $vgpr43
                                        ; implicit-def: $vgpr44
                                        ; implicit-def: $vgpr45
                                        ; implicit-def: $vgpr46
	s_cbranch_execz .LBB62_249
; %bb.220:
	s_cmp_lg_u64 s[56:57], 0
	s_cselect_b64 s[2:3], -1, 0
	v_cmp_eq_u32_e32 vcc, 0, v0
	v_cmp_ne_u32_e64 s[4:5], 0, v0
	s_and_b64 s[2:3], vcc, s[2:3]
	s_and_saveexec_b64 s[6:7], s[2:3]
	s_cbranch_execz .LBB62_222
; %bb.221:
	v_mov_b32_e32 v22, 0
	global_load_ushort v23, v22, s[56:57]
	global_load_ubyte v24, v22, s[56:57] offset:2
	s_mov_b32 s2, 0x10000
	v_and_b32_e32 v22, 0x10000, v1
	v_mov_b32_e32 v25, 1
	v_cmp_gt_u32_e64 s[2:3], s2, v1
	v_mov_b32_e32 v26, 0x10000
	s_waitcnt vmcnt(1)
	v_max_i16_e32 v23, v23, v1
	s_waitcnt vmcnt(0)
	v_and_b32_sdwa v24, v24, v25 dst_sel:WORD_1 dst_unused:UNUSED_PAD src0_sel:DWORD src1_sel:DWORD
	v_cndmask_b32_e64 v1, v1, v23, s[2:3]
	v_cmp_eq_u32_e64 s[2:3], 0, v22
	s_nop 1
	v_cndmask_b32_e64 v22, v26, v24, s[2:3]
	v_or_b32_sdwa v1, v22, v1 dst_sel:DWORD dst_unused:UNUSED_PAD src0_sel:DWORD src1_sel:WORD_0
.LBB62_222:
	s_or_b64 exec, exec, s[6:7]
	s_mov_b32 s2, 0x10000
	v_max_i16_e32 v22, v1, v52
	v_cmp_gt_u32_e64 s[6:7], s2, v52
	v_cmp_gt_u32_e64 s[8:9], s2, v53
	;; [unrolled: 1-line block ×3, first 2 shown]
	v_cndmask_b32_e64 v22, v52, v22, s[6:7]
	v_max_i16_e32 v23, v22, v53
	v_cndmask_b32_e64 v23, v53, v23, s[8:9]
	v_max_i16_e32 v24, v23, v18
	;; [unrolled: 2-line block ×3, first 2 shown]
	v_cmp_gt_u32_e64 s[12:13], s2, v19
	v_bfe_u32 v28, v19, 16, 1
	v_mov_b32_e32 v49, 1
	v_cndmask_b32_e64 v25, v19, v25, s[12:13]
	v_max_i16_e32 v26, v25, v20
	v_cmp_gt_u32_e64 s[14:15], s2, v20
	v_lshlrev_b16_e32 v28, 1, v28
	v_and_b32_sdwa v29, v18, v49 dst_sel:DWORD dst_unused:UNUSED_PAD src0_sel:WORD_1 src1_sel:DWORD
	v_cndmask_b32_e64 v26, v20, v26, s[14:15]
	v_or_b32_e32 v28, v29, v28
	v_bfe_u32 v29, v21, 16, 1
	v_and_b32_sdwa v30, v20, v49 dst_sel:DWORD dst_unused:UNUSED_PAD src0_sel:WORD_1 src1_sel:DWORD
	v_max_i16_e32 v27, v26, v21
	v_cmp_gt_u32_e64 s[16:17], s2, v21
	v_lshlrev_b16_e32 v29, 3, v29
	v_lshlrev_b16_e32 v30, 2, v30
	v_cndmask_b32_e64 v27, v21, v27, s[16:17]
	v_or_b32_e32 v29, v29, v30
	v_or_b32_e32 v47, v28, v29
	v_max_i16_e32 v28, v27, v2
	v_cmp_gt_u32_e64 s[18:19], s2, v2
	v_cmp_gt_u32_e64 s[20:21], s2, v3
	v_bfe_u32 v48, v11, 16, 1
	v_cndmask_b32_e64 v29, v2, v28, s[18:19]
	v_max_i16_e32 v28, v29, v3
	v_cndmask_b32_e64 v28, v3, v28, s[20:21]
	v_max_i16_e32 v30, v28, v4
	v_cmp_gt_u32_e64 s[22:23], s2, v4
	v_lshlrev_b16_e32 v48, 1, v48
	v_and_b32_sdwa v51, v10, v49 dst_sel:DWORD dst_unused:UNUSED_PAD src0_sel:WORD_1 src1_sel:DWORD
	v_cndmask_b32_e64 v30, v4, v30, s[22:23]
	v_or_b32_e32 v48, v51, v48
	v_bfe_u32 v51, v13, 16, 1
	v_and_b32_sdwa v54, v12, v49 dst_sel:DWORD dst_unused:UNUSED_PAD src0_sel:WORD_1 src1_sel:DWORD
	v_max_i16_e32 v31, v30, v5
	v_cmp_gt_u32_e64 s[24:25], s2, v5
	v_lshlrev_b16_e32 v51, 3, v51
	v_lshlrev_b16_e32 v54, 2, v54
	v_cndmask_b32_e64 v31, v5, v31, s[24:25]
	v_or_b32_e32 v51, v51, v54
	v_max_i16_e32 v34, v31, v6
	v_cmp_gt_u32_e64 s[26:27], s2, v6
	v_or_b32_sdwa v48, v48, v51 dst_sel:BYTE_1 dst_unused:UNUSED_PAD src0_sel:DWORD src1_sel:DWORD
	v_bfe_u32 v51, v15, 16, 1
	v_cndmask_b32_e64 v34, v6, v34, s[26:27]
	v_lshlrev_b16_e32 v51, 1, v51
	v_and_b32_sdwa v54, v14, v49 dst_sel:DWORD dst_unused:UNUSED_PAD src0_sel:WORD_1 src1_sel:DWORD
	v_max_i16_e32 v35, v34, v7
	v_cmp_gt_u32_e64 s[28:29], s2, v7
	v_or_b32_e32 v51, v54, v51
	v_bfe_u32 v54, v17, 16, 1
	v_and_b32_sdwa v55, v16, v49 dst_sel:DWORD dst_unused:UNUSED_PAD src0_sel:WORD_1 src1_sel:DWORD
	v_cndmask_b32_e64 v35, v7, v35, s[28:29]
	v_lshlrev_b16_e32 v54, 3, v54
	v_lshlrev_b16_e32 v55, 2, v55
	v_max_i16_e32 v36, v35, v8
	v_cmp_gt_u32_e64 s[30:31], s2, v8
	v_or_b32_e32 v54, v54, v55
	v_or_b32_e32 v51, v51, v54
	v_cndmask_b32_e64 v36, v8, v36, s[30:31]
	v_max_i16_e32 v37, v36, v9
	v_cmp_gt_u32_e64 s[34:35], s2, v9
	v_lshlrev_b16_e32 v51, 12, v51
	v_or_b32_e32 v48, v51, v48
	v_cndmask_b32_e64 v37, v9, v37, s[34:35]
	v_bfe_u32 v51, v3, 16, 1
	v_max_i16_e32 v38, v37, v10
	v_cmp_gt_u32_e64 s[36:37], s2, v10
	v_lshlrev_b16_e32 v51, 1, v51
	v_and_b32_sdwa v54, v2, v49 dst_sel:DWORD dst_unused:UNUSED_PAD src0_sel:WORD_1 src1_sel:DWORD
	v_cndmask_b32_e64 v39, v10, v38, s[36:37]
	v_or_b32_e32 v51, v54, v51
	v_bfe_u32 v54, v5, 16, 1
	v_and_b32_sdwa v55, v4, v49 dst_sel:DWORD dst_unused:UNUSED_PAD src0_sel:WORD_1 src1_sel:DWORD
	v_max_i16_e32 v38, v39, v11
	v_cmp_gt_u32_e64 s[38:39], s2, v11
	v_lshlrev_b16_e32 v54, 3, v54
	v_lshlrev_b16_e32 v55, 2, v55
	v_cndmask_b32_e64 v38, v11, v38, s[38:39]
	v_or_b32_e32 v54, v54, v55
	v_max_i16_e32 v40, v38, v12
	v_cmp_gt_u32_e64 s[40:41], s2, v12
	v_or_b32_e32 v51, v51, v54
	v_bfe_u32 v54, v7, 16, 1
	v_cndmask_b32_e64 v40, v12, v40, s[40:41]
	v_lshlrev_b16_e32 v54, 1, v54
	v_and_b32_sdwa v55, v6, v49 dst_sel:DWORD dst_unused:UNUSED_PAD src0_sel:WORD_1 src1_sel:DWORD
	v_max_i16_e32 v41, v40, v13
	v_cmp_gt_u32_e64 s[42:43], s2, v13
	v_or_b32_e32 v54, v55, v54
	v_bfe_u32 v55, v9, 16, 1
	v_and_b32_sdwa v56, v8, v49 dst_sel:DWORD dst_unused:UNUSED_PAD src0_sel:WORD_1 src1_sel:DWORD
	v_cndmask_b32_e64 v41, v13, v41, s[42:43]
	v_lshlrev_b16_e32 v55, 3, v55
	v_lshlrev_b16_e32 v56, 2, v56
	v_max_i16_e32 v42, v41, v14
	v_cmp_gt_u32_e64 s[44:45], s2, v14
	v_or_b32_e32 v55, v55, v56
	v_or_b32_e32 v54, v54, v55
	v_cndmask_b32_e64 v42, v14, v42, s[44:45]
	v_max_i16_e32 v43, v42, v15
	v_cmp_gt_u32_e64 s[46:47], s2, v15
	v_lshlrev_b16_e32 v54, 4, v54
	v_or_b32_e32 v51, v51, v54
	v_cndmask_b32_e64 v43, v15, v43, s[46:47]
	v_max_i16_e32 v44, v43, v16
	v_cmp_gt_u32_e64 s[48:49], s2, v16
	v_or_b32_sdwa v51, v51, v48 dst_sel:DWORD dst_unused:UNUSED_PAD src0_sel:BYTE_0 src1_sel:DWORD
	v_or_b32_e32 v47, v51, v47
	v_cndmask_b32_e64 v44, v16, v44, s[48:49]
	v_max_i16_e32 v45, v44, v17
	v_cmp_gt_u32_e64 s[50:51], s2, v17
	v_cmp_gt_u32_e64 s[52:53], s2, v32
	v_cmp_ne_u16_e64 s[2:3], 0, v47
	v_or3_b32 v47, v53, v52, v32
	v_cndmask_b32_e64 v45, v17, v45, s[50:51]
	v_and_b32_e32 v47, 0x10000, v47
	v_max_i16_e32 v48, v45, v32
	v_cmp_ne_u32_e64 s[56:57], 0, v47
	v_and_b32_e32 v46, 0x10000, v1
	v_cndmask_b32_e64 v48, v32, v48, s[52:53]
	v_mov_b32_e32 v51, 0x10000
	s_or_b64 s[2:3], s[56:57], s[2:3]
	v_cndmask_b32_e64 v54, v46, v51, s[2:3]
	v_and_b32_e32 v46, 0xffff, v48
	v_mbcnt_hi_u32_b32 v33, -1, v33
	v_and_b32_e32 v55, 15, v33
	v_or_b32_e32 v51, v54, v46
	v_lshrrev_b32_e32 v47, 16, v54
	v_cmp_ne_u32_e64 s[2:3], 0, v55
	v_mov_b32_dpp v56, v51 row_shr:1 row_mask:0xf bank_mask:0xf
	s_and_saveexec_b64 s[56:57], s[2:3]
; %bb.223:
	v_and_b32_e32 v47, 0x10000, v54
	v_and_b32_sdwa v49, v56, v49 dst_sel:DWORD dst_unused:UNUSED_PAD src0_sel:WORD_1 src1_sel:DWORD
	v_cmp_ne_u32_e64 s[2:3], 0, v47
	s_nop 1
	v_cndmask_b32_e64 v47, v49, 1, s[2:3]
	v_max_i16_e32 v49, v56, v48
	v_cmp_eq_u32_e64 s[2:3], 0, v54
	s_nop 1
	v_cndmask_b32_e64 v48, v48, v49, s[2:3]
	v_lshlrev_b32_e32 v49, 16, v47
	v_or_b32_sdwa v51, v49, v48 dst_sel:DWORD dst_unused:UNUSED_PAD src0_sel:DWORD src1_sel:WORD_0
; %bb.224:
	s_or_b64 exec, exec, s[56:57]
	v_lshrrev_b32_e32 v54, 16, v51
	v_mov_b32_dpp v56, v51 row_shr:2 row_mask:0xf bank_mask:0xf
	v_cmp_lt_u32_e64 s[2:3], 1, v55
	v_mov_b32_e32 v49, v51
	s_and_saveexec_b64 s[56:57], s[2:3]
	s_cbranch_execz .LBB62_226
; %bb.225:
	v_and_b32_e32 v47, 0x10000, v51
	v_mov_b32_e32 v48, 1
	v_and_b32_sdwa v48, v56, v48 dst_sel:DWORD dst_unused:UNUSED_PAD src0_sel:WORD_1 src1_sel:DWORD
	v_cmp_ne_u32_e64 s[2:3], 0, v47
	s_nop 1
	v_cndmask_b32_e64 v47, v48, 1, s[2:3]
	s_mov_b32 s2, 0x10000
	v_max_i16_e32 v48, v56, v51
	v_cmp_gt_u32_e64 s[2:3], s2, v51
	v_lshlrev_b32_e32 v49, 16, v47
	v_mov_b32_e32 v54, v47
	v_cndmask_b32_e64 v48, v51, v48, s[2:3]
	v_or_b32_sdwa v51, v49, v48 dst_sel:DWORD dst_unused:UNUSED_PAD src0_sel:DWORD src1_sel:WORD_0
	v_mov_b32_e32 v49, v48
.LBB62_226:
	s_or_b64 exec, exec, s[56:57]
	v_mov_b32_dpp v56, v51 row_shr:4 row_mask:0xf bank_mask:0xf
	v_cmp_lt_u32_e64 s[2:3], 3, v55
	s_and_saveexec_b64 s[56:57], s[2:3]
	s_cbranch_execz .LBB62_228
; %bb.227:
	v_and_b32_e32 v47, 1, v54
	v_mov_b32_e32 v48, 1
	v_and_b32_sdwa v48, v56, v48 dst_sel:DWORD dst_unused:UNUSED_PAD src0_sel:WORD_1 src1_sel:DWORD
	v_cmp_eq_u32_e64 s[2:3], 1, v47
	s_nop 1
	v_cndmask_b32_e64 v47, v48, 1, s[2:3]
	v_max_i16_e32 v48, v56, v49
	v_cmp_eq_u16_e64 s[2:3], 0, v54
	v_mov_b32_e32 v54, v47
	s_nop 0
	v_cndmask_b32_e64 v48, v49, v48, s[2:3]
	v_lshlrev_b32_e32 v49, 16, v47
	v_or_b32_sdwa v51, v49, v48 dst_sel:DWORD dst_unused:UNUSED_PAD src0_sel:DWORD src1_sel:WORD_0
	v_mov_b32_e32 v49, v48
.LBB62_228:
	s_or_b64 exec, exec, s[56:57]
	v_mov_b32_dpp v56, v51 row_shr:8 row_mask:0xf bank_mask:0xf
	v_cmp_lt_u32_e64 s[2:3], 7, v55
	s_and_saveexec_b64 s[56:57], s[2:3]
	s_cbranch_execz .LBB62_230
; %bb.229:
	v_and_b32_e32 v47, 1, v54
	v_mov_b32_e32 v48, 1
	v_and_b32_sdwa v48, v56, v48 dst_sel:DWORD dst_unused:UNUSED_PAD src0_sel:WORD_1 src1_sel:DWORD
	v_cmp_eq_u32_e64 s[2:3], 1, v47
	s_nop 1
	v_cndmask_b32_e64 v47, v48, 1, s[2:3]
	v_max_i16_e32 v48, v56, v49
	v_cmp_eq_u16_e64 s[2:3], 0, v54
	v_mov_b32_e32 v54, v47
	s_nop 0
	v_cndmask_b32_e64 v48, v49, v48, s[2:3]
	v_lshlrev_b32_e32 v49, 16, v47
	v_or_b32_sdwa v51, v49, v48 dst_sel:DWORD dst_unused:UNUSED_PAD src0_sel:DWORD src1_sel:WORD_0
	v_mov_b32_e32 v49, v48
.LBB62_230:
	s_or_b64 exec, exec, s[56:57]
	v_and_b32_e32 v56, 16, v33
	v_mov_b32_dpp v55, v51 row_bcast:15 row_mask:0xf bank_mask:0xf
	v_cmp_ne_u32_e64 s[2:3], 0, v56
	s_and_saveexec_b64 s[56:57], s[2:3]
	s_cbranch_execz .LBB62_232
; %bb.231:
	v_and_b32_e32 v47, 1, v54
	v_mov_b32_e32 v48, 1
	v_and_b32_sdwa v48, v55, v48 dst_sel:DWORD dst_unused:UNUSED_PAD src0_sel:WORD_1 src1_sel:DWORD
	v_cmp_eq_u32_e64 s[2:3], 1, v47
	s_nop 1
	v_cndmask_b32_e64 v47, v48, 1, s[2:3]
	v_max_i16_e32 v48, v55, v49
	v_cmp_eq_u16_e64 s[2:3], 0, v54
	v_mov_b32_e32 v54, v47
	s_nop 0
	v_cndmask_b32_e64 v48, v49, v48, s[2:3]
	v_lshlrev_b32_e32 v49, 16, v47
	v_or_b32_sdwa v51, v49, v48 dst_sel:DWORD dst_unused:UNUSED_PAD src0_sel:DWORD src1_sel:WORD_0
	v_mov_b32_e32 v49, v48
.LBB62_232:
	s_or_b64 exec, exec, s[56:57]
	v_mov_b32_dpp v51, v51 row_bcast:31 row_mask:0xf bank_mask:0xf
	v_cmp_lt_u32_e64 s[2:3], 31, v33
	s_and_saveexec_b64 s[56:57], s[2:3]
; %bb.233:
	v_and_b32_e32 v47, 1, v54
	v_mov_b32_e32 v48, 1
	v_and_b32_sdwa v48, v51, v48 dst_sel:DWORD dst_unused:UNUSED_PAD src0_sel:WORD_1 src1_sel:DWORD
	v_cmp_eq_u32_e64 s[2:3], 1, v47
	s_nop 1
	v_cndmask_b32_e64 v47, v48, 1, s[2:3]
	v_max_i16_e32 v48, v51, v49
	v_cmp_eq_u16_e64 s[2:3], 0, v54
	s_nop 1
	v_cndmask_b32_e64 v48, v49, v48, s[2:3]
; %bb.234:
	s_or_b64 exec, exec, s[56:57]
	v_or_b32_e32 v51, 63, v0
	v_lshrrev_b32_e32 v49, 6, v0
	v_cmp_eq_u32_e64 s[2:3], v51, v0
	s_and_saveexec_b64 s[56:57], s[2:3]
	s_cbranch_execz .LBB62_236
; %bb.235:
	v_lshlrev_b32_e32 v51, 2, v49
	ds_write_b16 v51, v48
	ds_write_b8 v51, v47 offset:2
.LBB62_236:
	s_or_b64 exec, exec, s[56:57]
	v_cmp_gt_u32_e64 s[2:3], 4, v0
	s_waitcnt lgkmcnt(0)
	s_barrier
	s_and_saveexec_b64 s[56:57], s[2:3]
	s_cbranch_execz .LBB62_242
; %bb.237:
	ds_read_b32 v51, v50
	v_and_b32_e32 v55, 3, v33
	v_cmp_ne_u32_e64 s[2:3], 0, v55
	s_waitcnt lgkmcnt(0)
	v_lshrrev_b32_e32 v54, 16, v51
	v_mov_b32_dpp v57, v51 row_shr:1 row_mask:0xf bank_mask:0xf
	v_mov_b32_e32 v56, v51
	s_and_saveexec_b64 s[64:65], s[2:3]
	s_cbranch_execz .LBB62_239
; %bb.238:
	v_and_b32_e32 v56, 0x10000, v51
	v_mov_b32_e32 v59, 1
	v_and_b32_sdwa v59, v57, v59 dst_sel:DWORD dst_unused:UNUSED_PAD src0_sel:WORD_1 src1_sel:DWORD
	v_cmp_ne_u32_e64 s[2:3], 0, v56
	v_mov_b32_e32 v56, 0
	v_max_i16_e32 v57, v57, v51
	v_cndmask_b32_e64 v59, v59, 1, s[2:3]
	v_cmp_eq_u16_sdwa s[2:3], v54, v56 src0_sel:BYTE_0 src1_sel:DWORD
	v_and_b32_e32 v58, 0xff000000, v51
	s_nop 0
	v_cndmask_b32_e64 v56, v51, v57, s[2:3]
	v_lshlrev_b32_e32 v51, 16, v59
	v_and_b32_e32 v54, 0xffff, v56
	v_or3_b32 v51, v51, v58, v54
	v_mov_b32_e32 v54, v59
.LBB62_239:
	s_or_b64 exec, exec, s[64:65]
	v_mov_b32_dpp v57, v51 row_shr:2 row_mask:0xf bank_mask:0xf
	v_cmp_lt_u32_e64 s[2:3], 1, v55
	s_and_saveexec_b64 s[64:65], s[2:3]
; %bb.240:
	v_and_b32_e32 v54, 0x10000, v51
	v_mov_b32_e32 v55, 1
	v_and_b32_sdwa v55, v57, v55 dst_sel:DWORD dst_unused:UNUSED_PAD src0_sel:WORD_1 src1_sel:DWORD
	v_cmp_eq_u32_e64 s[2:3], 0, v54
	v_max_i16_e32 v56, v57, v51
	s_nop 0
	v_cndmask_b32_e64 v54, 1, v55, s[2:3]
	v_and_b32_e32 v55, 0xff0000, v51
	v_cmp_eq_u32_e64 s[2:3], 0, v55
	s_nop 1
	v_cndmask_b32_e64 v56, v51, v56, s[2:3]
; %bb.241:
	s_or_b64 exec, exec, s[64:65]
	ds_write_b16 v50, v56
	ds_write_b8 v50, v54 offset:2
.LBB62_242:
	s_or_b64 exec, exec, s[56:57]
	v_cmp_lt_u32_e64 s[2:3], 63, v0
	v_mov_b32_e32 v51, 0
	s_waitcnt lgkmcnt(0)
	s_barrier
	s_and_saveexec_b64 s[56:57], s[2:3]
	s_cbranch_execz .LBB62_244
; %bb.243:
	v_lshl_add_u32 v49, v49, 2, -4
	ds_read_u16 v51, v49
	ds_read_u8 v49, v49 offset:2
	v_and_b32_e32 v54, 1, v47
	v_cmp_eq_u16_e64 s[2:3], 0, v47
	s_waitcnt lgkmcnt(1)
	v_max_i16_e32 v55, v51, v48
	v_cndmask_b32_e64 v48, v48, v55, s[2:3]
	v_cmp_eq_u32_e64 s[2:3], 1, v54
	s_waitcnt lgkmcnt(0)
	s_nop 0
	v_cndmask_b32_e64 v47, v49, 1, s[2:3]
.LBB62_244:
	s_or_b64 exec, exec, s[56:57]
	v_and_b32_e32 v47, 0xff, v47
	v_and_b32_e32 v48, 0xffff, v48
	v_lshl_or_b32 v47, v47, 16, v48
	v_add_u32_e32 v48, -1, v33
	v_and_b32_e32 v49, 64, v33
	v_cmp_lt_i32_e64 s[2:3], v48, v49
	s_nop 1
	v_cndmask_b32_e64 v48, v48, v33, s[2:3]
	v_lshlrev_b32_e32 v48, 2, v48
	ds_bpermute_b32 v47, v48, v47
	s_and_saveexec_b64 s[56:57], s[4:5]
	s_cbranch_execz .LBB62_246
; %bb.245:
	v_cmp_eq_u32_e64 s[2:3], 0, v33
	v_and_b32_e32 v23, 0xff0000, v1
	s_waitcnt lgkmcnt(0)
	v_cndmask_b32_e64 v22, v47, v51, s[2:3]
	v_max_i16_e32 v22, v22, v1
	v_cmp_eq_u32_e64 s[2:3], 0, v23
	s_nop 1
	v_cndmask_b32_e64 v22, v1, v22, s[2:3]
	v_and_b32_e32 v1, 0xffff, v22
	v_max_i16_e32 v22, v22, v52
	v_cndmask_b32_e64 v22, v52, v22, s[6:7]
	v_max_i16_e32 v23, v22, v53
	v_cndmask_b32_e64 v23, v53, v23, s[8:9]
	v_max_i16_e32 v24, v23, v18
	v_cndmask_b32_e64 v24, v18, v24, s[10:11]
	v_max_i16_e32 v18, v24, v19
	v_cndmask_b32_e64 v25, v19, v18, s[12:13]
	v_max_i16_e32 v18, v25, v20
	v_cndmask_b32_e64 v26, v20, v18, s[14:15]
	v_max_i16_e32 v18, v26, v21
	v_cndmask_b32_e64 v27, v21, v18, s[16:17]
	v_max_i16_e32 v18, v27, v2
	v_cndmask_b32_e64 v29, v2, v18, s[18:19]
	v_max_i16_e32 v2, v29, v3
	v_cndmask_b32_e64 v28, v3, v2, s[20:21]
	v_max_i16_e32 v2, v28, v4
	v_cndmask_b32_e64 v30, v4, v2, s[22:23]
	v_max_i16_e32 v2, v30, v5
	v_cndmask_b32_e64 v31, v5, v2, s[24:25]
	v_max_i16_e32 v2, v31, v6
	v_cndmask_b32_e64 v34, v6, v2, s[26:27]
	v_max_i16_e32 v2, v34, v7
	v_cndmask_b32_e64 v35, v7, v2, s[28:29]
	v_max_i16_e32 v2, v35, v8
	v_cndmask_b32_e64 v36, v8, v2, s[30:31]
	v_max_i16_e32 v2, v36, v9
	v_cndmask_b32_e64 v37, v9, v2, s[34:35]
	v_max_i16_e32 v2, v37, v10
	v_cndmask_b32_e64 v39, v10, v2, s[36:37]
	v_max_i16_e32 v2, v39, v11
	v_cndmask_b32_e64 v38, v11, v2, s[38:39]
	v_max_i16_e32 v2, v38, v12
	v_cndmask_b32_e64 v40, v12, v2, s[40:41]
	v_max_i16_e32 v2, v40, v13
	v_cndmask_b32_e64 v41, v13, v2, s[42:43]
	v_max_i16_e32 v2, v41, v14
	v_cndmask_b32_e64 v42, v14, v2, s[44:45]
	v_max_i16_e32 v2, v42, v15
	v_cndmask_b32_e64 v43, v15, v2, s[46:47]
	v_max_i16_e32 v2, v43, v16
	v_cndmask_b32_e64 v44, v16, v2, s[48:49]
	v_max_i16_e32 v2, v44, v17
	v_cndmask_b32_e64 v45, v17, v2, s[50:51]
	v_max_i16_e32 v2, v45, v32
	v_cndmask_b32_e64 v2, v32, v2, s[52:53]
	v_and_b32_e32 v46, 0xffff, v2
.LBB62_246:
	s_or_b64 exec, exec, s[56:57]
	s_and_saveexec_b64 s[2:3], vcc
	s_cbranch_execz .LBB62_248
; %bb.247:
	v_mov_b32_e32 v4, 0
	ds_read_u8 v2, v4 offset:14
	ds_read_u16 v3, v4 offset:12
	s_waitcnt lgkmcnt(1)
	v_lshlrev_b32_e32 v2, 16, v2
	s_waitcnt lgkmcnt(0)
	v_or_b32_e32 v2, v2, v3
	v_mov_b32_e32 v3, 2
	global_store_dwordx2 v4, v[2:3], s[60:61] offset:512 sc1
.LBB62_248:
	s_or_b64 exec, exec, s[2:3]
	s_waitcnt lgkmcnt(0)
	v_mov_b32_e32 v47, v1
.LBB62_249:
	s_load_dwordx2 s[0:1], s[0:1], 0x18
	v_mul_u32_u24_e32 v4, 24, v0
	s_waitcnt lgkmcnt(0)
	s_add_u32 s0, s0, s58
	s_addc_u32 s1, s1, s59
	s_and_b64 vcc, exec, s[54:55]
	s_cbranch_vccz .LBB62_299
; %bb.250:
	s_add_i32 s33, s33, s62
	v_cmp_le_u32_e32 vcc, s33, v4
	v_or_b32_e32 v8, 1, v4
	v_or_b32_e32 v7, 2, v4
	v_or_b32_e32 v6, 3, v4
	v_or_b32_e32 v5, 4, v4
	v_or_b32_e32 v3, 5, v4
	v_or_b32_e32 v2, 6, v4
	v_or_b32_e32 v1, 7, v4
	s_and_saveexec_b64 s[2:3], vcc
	s_xor_b64 s[2:3], exec, s[2:3]
; %bb.251:
	v_or_b32_e32 v8, 1, v4
	v_or_b32_e32 v7, 2, v4
	;; [unrolled: 1-line block ×7, first 2 shown]
; %bb.252:
	s_andn2_saveexec_b64 s[2:3], s[2:3]
	s_or_b64 exec, exec, s[2:3]
	v_lshlrev_b32_e32 v48, 1, v4
	v_lshlrev_b32_e32 v8, 1, v8
	;; [unrolled: 1-line block ×4, first 2 shown]
	s_mov_b32 s2, 0x5040100
	s_barrier
	ds_write_b16 v48, v47
	ds_write_b16 v8, v22
	;; [unrolled: 1-line block ×4, first 2 shown]
	v_lshlrev_b32_e32 v5, 1, v5
	v_lshlrev_b32_e32 v3, 1, v3
	;; [unrolled: 1-line block ×4, first 2 shown]
	v_perm_b32 v9, v39, v37, s2
	v_perm_b32 v8, v36, v35, s2
	;; [unrolled: 1-line block ×4, first 2 shown]
	ds_write_b16 v5, v25
	ds_write_b16 v3, v26
	;; [unrolled: 1-line block ×4, first 2 shown]
	ds_write_b128 v48, v[6:9] offset:16
	v_perm_b32 v9, v46, v45, s2
	v_perm_b32 v8, v44, v43, s2
	;; [unrolled: 1-line block ×4, first 2 shown]
	s_movk_i32 s2, 0xffd2
	v_mad_i32_i24 v2, v0, s2, v48
	ds_write_b128 v48, v[6:9] offset:32
	s_waitcnt lgkmcnt(0)
	s_barrier
	ds_read_u16 v53, v2 offset:512
	ds_read_u16 v52, v2 offset:1024
	;; [unrolled: 1-line block ×23, first 2 shown]
	v_mov_b32_e32 v51, 0
	v_lshl_add_u64 v[2:3], s[0:1], 0, v[50:51]
	v_cmp_gt_u32_e32 vcc, s33, v0
	s_and_saveexec_b64 s[2:3], vcc
	s_cbranch_execz .LBB62_254
; %bb.253:
	v_mul_i32_i24_e32 v54, 0xffffffd2, v0
	v_add_u32_e32 v48, v48, v54
	ds_read_i16 v48, v48
	s_waitcnt lgkmcnt(0)
	v_cvt_f32_i32_e32 v48, v48
	global_store_dword v[2:3], v48, off
.LBB62_254:
	s_or_b64 exec, exec, s[2:3]
	v_or_b32_e32 v48, 0x100, v0
	v_cmp_gt_u32_e32 vcc, s33, v48
	s_and_saveexec_b64 s[2:3], vcc
	s_cbranch_execz .LBB62_256
; %bb.255:
	s_waitcnt lgkmcnt(14)
	v_cvt_f32_i32_sdwa v48, sext(v53) dst_sel:DWORD dst_unused:UNUSED_PAD src0_sel:WORD_0
	global_store_dword v[2:3], v48, off offset:1024
.LBB62_256:
	s_or_b64 exec, exec, s[2:3]
	v_or_b32_e32 v48, 0x200, v0
	v_cmp_gt_u32_e32 vcc, s33, v48
	s_and_saveexec_b64 s[2:3], vcc
	s_cbranch_execz .LBB62_258
; %bb.257:
	s_waitcnt lgkmcnt(14)
	v_cvt_f32_i32_sdwa v48, sext(v52) dst_sel:DWORD dst_unused:UNUSED_PAD src0_sel:WORD_0
	global_store_dword v[2:3], v48, off offset:2048
.LBB62_258:
	;; [unrolled: 10-line block ×3, first 2 shown]
	s_or_b64 exec, exec, s[2:3]
	v_or_b32_e32 v48, 0x400, v0
	v_cmp_gt_u32_e32 vcc, s33, v48
	s_and_saveexec_b64 s[2:3], vcc
	s_cbranch_execz .LBB62_262
; %bb.261:
	s_waitcnt lgkmcnt(14)
	v_cvt_f32_i32_sdwa v33, sext(v33) dst_sel:DWORD dst_unused:UNUSED_PAD src0_sel:WORD_0
	v_add_co_u32_e32 v48, vcc, 0x1000, v2
	s_nop 1
	v_addc_co_u32_e32 v49, vcc, 0, v3, vcc
	global_store_dword v[48:49], v33, off
.LBB62_262:
	s_or_b64 exec, exec, s[2:3]
	s_waitcnt lgkmcnt(14)
	v_or_b32_e32 v33, 0x500, v0
	v_cmp_gt_u32_e32 vcc, s33, v33
	s_and_saveexec_b64 s[2:3], vcc
	s_cbranch_execz .LBB62_264
; %bb.263:
	v_cvt_f32_i32_sdwa v48, sext(v32) dst_sel:DWORD dst_unused:UNUSED_PAD src0_sel:WORD_0
	v_add_co_u32_e32 v32, vcc, 0x1000, v2
	s_nop 1
	v_addc_co_u32_e32 v33, vcc, 0, v3, vcc
	global_store_dword v[32:33], v48, off offset:1024
.LBB62_264:
	s_or_b64 exec, exec, s[2:3]
	v_or_b32_e32 v32, 0x600, v0
	v_cmp_gt_u32_e32 vcc, s33, v32
	s_and_saveexec_b64 s[2:3], vcc
	s_cbranch_execz .LBB62_266
; %bb.265:
	v_cvt_f32_i32_sdwa v21, sext(v21) dst_sel:DWORD dst_unused:UNUSED_PAD src0_sel:WORD_0
	v_add_co_u32_e32 v32, vcc, 0x1000, v2
	s_nop 1
	v_addc_co_u32_e32 v33, vcc, 0, v3, vcc
	global_store_dword v[32:33], v21, off offset:2048
.LBB62_266:
	s_or_b64 exec, exec, s[2:3]
	;; [unrolled: 12-line block ×3, first 2 shown]
	v_or_b32_e32 v20, 0x800, v0
	v_cmp_gt_u32_e32 vcc, s33, v20
	s_and_saveexec_b64 s[2:3], vcc
	s_cbranch_execz .LBB62_270
; %bb.269:
	v_cvt_f32_i32_sdwa v19, sext(v19) dst_sel:DWORD dst_unused:UNUSED_PAD src0_sel:WORD_0
	v_add_co_u32_e32 v20, vcc, 0x2000, v2
	s_nop 1
	v_addc_co_u32_e32 v21, vcc, 0, v3, vcc
	global_store_dword v[20:21], v19, off
.LBB62_270:
	s_or_b64 exec, exec, s[2:3]
	v_or_b32_e32 v19, 0x900, v0
	v_cmp_gt_u32_e32 vcc, s33, v19
	s_and_saveexec_b64 s[2:3], vcc
	s_cbranch_execz .LBB62_272
; %bb.271:
	v_cvt_f32_i32_sdwa v20, sext(v18) dst_sel:DWORD dst_unused:UNUSED_PAD src0_sel:WORD_0
	v_add_co_u32_e32 v18, vcc, 0x2000, v2
	s_nop 1
	v_addc_co_u32_e32 v19, vcc, 0, v3, vcc
	global_store_dword v[18:19], v20, off offset:1024
.LBB62_272:
	s_or_b64 exec, exec, s[2:3]
	v_or_b32_e32 v18, 0xa00, v0
	v_cmp_gt_u32_e32 vcc, s33, v18
	s_and_saveexec_b64 s[2:3], vcc
	s_cbranch_execz .LBB62_274
; %bb.273:
	s_waitcnt lgkmcnt(13)
	v_cvt_f32_i32_sdwa v17, sext(v17) dst_sel:DWORD dst_unused:UNUSED_PAD src0_sel:WORD_0
	v_add_co_u32_e32 v18, vcc, 0x2000, v2
	s_nop 1
	v_addc_co_u32_e32 v19, vcc, 0, v3, vcc
	global_store_dword v[18:19], v17, off offset:2048
.LBB62_274:
	s_or_b64 exec, exec, s[2:3]
	s_waitcnt lgkmcnt(13)
	v_or_b32_e32 v17, 0xb00, v0
	v_cmp_gt_u32_e32 vcc, s33, v17
	s_and_saveexec_b64 s[2:3], vcc
	s_cbranch_execz .LBB62_276
; %bb.275:
	s_waitcnt lgkmcnt(12)
	v_cvt_f32_i32_sdwa v18, sext(v16) dst_sel:DWORD dst_unused:UNUSED_PAD src0_sel:WORD_0
	v_add_co_u32_e32 v16, vcc, 0x2000, v2
	s_nop 1
	v_addc_co_u32_e32 v17, vcc, 0, v3, vcc
	global_store_dword v[16:17], v18, off offset:3072
.LBB62_276:
	s_or_b64 exec, exec, s[2:3]
	s_waitcnt lgkmcnt(12)
	v_or_b32_e32 v16, 0xc00, v0
	v_cmp_gt_u32_e32 vcc, s33, v16
	s_and_saveexec_b64 s[2:3], vcc
	s_cbranch_execz .LBB62_278
; %bb.277:
	s_waitcnt lgkmcnt(11)
	v_cvt_f32_i32_sdwa v15, sext(v15) dst_sel:DWORD dst_unused:UNUSED_PAD src0_sel:WORD_0
	v_add_co_u32_e32 v16, vcc, 0x3000, v2
	s_nop 1
	v_addc_co_u32_e32 v17, vcc, 0, v3, vcc
	global_store_dword v[16:17], v15, off
.LBB62_278:
	s_or_b64 exec, exec, s[2:3]
	s_waitcnt lgkmcnt(11)
	v_or_b32_e32 v15, 0xd00, v0
	v_cmp_gt_u32_e32 vcc, s33, v15
	s_and_saveexec_b64 s[2:3], vcc
	s_cbranch_execz .LBB62_280
; %bb.279:
	s_waitcnt lgkmcnt(10)
	v_cvt_f32_i32_sdwa v16, sext(v14) dst_sel:DWORD dst_unused:UNUSED_PAD src0_sel:WORD_0
	v_add_co_u32_e32 v14, vcc, 0x3000, v2
	s_nop 1
	v_addc_co_u32_e32 v15, vcc, 0, v3, vcc
	global_store_dword v[14:15], v16, off offset:1024
.LBB62_280:
	s_or_b64 exec, exec, s[2:3]
	s_waitcnt lgkmcnt(10)
	v_or_b32_e32 v14, 0xe00, v0
	v_cmp_gt_u32_e32 vcc, s33, v14
	s_and_saveexec_b64 s[2:3], vcc
	s_cbranch_execz .LBB62_282
; %bb.281:
	s_waitcnt lgkmcnt(9)
	v_cvt_f32_i32_sdwa v13, sext(v13) dst_sel:DWORD dst_unused:UNUSED_PAD src0_sel:WORD_0
	v_add_co_u32_e32 v14, vcc, 0x3000, v2
	s_nop 1
	v_addc_co_u32_e32 v15, vcc, 0, v3, vcc
	global_store_dword v[14:15], v13, off offset:2048
.LBB62_282:
	s_or_b64 exec, exec, s[2:3]
	s_waitcnt lgkmcnt(9)
	v_or_b32_e32 v13, 0xf00, v0
	v_cmp_gt_u32_e32 vcc, s33, v13
	s_and_saveexec_b64 s[2:3], vcc
	s_cbranch_execz .LBB62_284
; %bb.283:
	s_waitcnt lgkmcnt(8)
	v_cvt_f32_i32_sdwa v14, sext(v12) dst_sel:DWORD dst_unused:UNUSED_PAD src0_sel:WORD_0
	v_add_co_u32_e32 v12, vcc, 0x3000, v2
	s_nop 1
	v_addc_co_u32_e32 v13, vcc, 0, v3, vcc
	global_store_dword v[12:13], v14, off offset:3072
.LBB62_284:
	s_or_b64 exec, exec, s[2:3]
	s_waitcnt lgkmcnt(8)
	v_or_b32_e32 v12, 0x1000, v0
	v_cmp_gt_u32_e32 vcc, s33, v12
	s_and_saveexec_b64 s[2:3], vcc
	s_cbranch_execz .LBB62_286
; %bb.285:
	s_waitcnt lgkmcnt(7)
	v_cvt_f32_i32_sdwa v11, sext(v11) dst_sel:DWORD dst_unused:UNUSED_PAD src0_sel:WORD_0
	v_add_co_u32_e32 v12, vcc, 0x4000, v2
	s_nop 1
	v_addc_co_u32_e32 v13, vcc, 0, v3, vcc
	global_store_dword v[12:13], v11, off
.LBB62_286:
	s_or_b64 exec, exec, s[2:3]
	s_waitcnt lgkmcnt(7)
	v_or_b32_e32 v11, 0x1100, v0
	v_cmp_gt_u32_e32 vcc, s33, v11
	s_and_saveexec_b64 s[2:3], vcc
	s_cbranch_execz .LBB62_288
; %bb.287:
	s_waitcnt lgkmcnt(6)
	v_cvt_f32_i32_sdwa v12, sext(v10) dst_sel:DWORD dst_unused:UNUSED_PAD src0_sel:WORD_0
	v_add_co_u32_e32 v10, vcc, 0x4000, v2
	s_nop 1
	v_addc_co_u32_e32 v11, vcc, 0, v3, vcc
	global_store_dword v[10:11], v12, off offset:1024
.LBB62_288:
	s_or_b64 exec, exec, s[2:3]
	s_waitcnt lgkmcnt(6)
	v_or_b32_e32 v10, 0x1200, v0
	v_cmp_gt_u32_e32 vcc, s33, v10
	s_and_saveexec_b64 s[2:3], vcc
	s_cbranch_execz .LBB62_290
; %bb.289:
	s_waitcnt lgkmcnt(5)
	v_cvt_f32_i32_sdwa v9, sext(v9) dst_sel:DWORD dst_unused:UNUSED_PAD src0_sel:WORD_0
	v_add_co_u32_e32 v10, vcc, 0x4000, v2
	s_nop 1
	v_addc_co_u32_e32 v11, vcc, 0, v3, vcc
	global_store_dword v[10:11], v9, off offset:2048
.LBB62_290:
	s_or_b64 exec, exec, s[2:3]
	s_waitcnt lgkmcnt(5)
	v_or_b32_e32 v9, 0x1300, v0
	v_cmp_gt_u32_e32 vcc, s33, v9
	s_and_saveexec_b64 s[2:3], vcc
	s_cbranch_execz .LBB62_292
; %bb.291:
	s_waitcnt lgkmcnt(4)
	v_cvt_f32_i32_sdwa v10, sext(v8) dst_sel:DWORD dst_unused:UNUSED_PAD src0_sel:WORD_0
	v_add_co_u32_e32 v8, vcc, 0x4000, v2
	s_nop 1
	v_addc_co_u32_e32 v9, vcc, 0, v3, vcc
	global_store_dword v[8:9], v10, off offset:3072
.LBB62_292:
	s_or_b64 exec, exec, s[2:3]
	s_waitcnt lgkmcnt(4)
	v_or_b32_e32 v8, 0x1400, v0
	v_cmp_gt_u32_e32 vcc, s33, v8
	s_and_saveexec_b64 s[2:3], vcc
	s_cbranch_execz .LBB62_294
; %bb.293:
	s_waitcnt lgkmcnt(3)
	v_cvt_f32_i32_sdwa v7, sext(v7) dst_sel:DWORD dst_unused:UNUSED_PAD src0_sel:WORD_0
	v_add_co_u32_e32 v8, vcc, 0x5000, v2
	s_nop 1
	v_addc_co_u32_e32 v9, vcc, 0, v3, vcc
	global_store_dword v[8:9], v7, off
.LBB62_294:
	s_or_b64 exec, exec, s[2:3]
	s_waitcnt lgkmcnt(3)
	v_or_b32_e32 v7, 0x1500, v0
	v_cmp_gt_u32_e32 vcc, s33, v7
	s_and_saveexec_b64 s[2:3], vcc
	s_cbranch_execz .LBB62_296
; %bb.295:
	s_waitcnt lgkmcnt(2)
	v_cvt_f32_i32_sdwa v8, sext(v6) dst_sel:DWORD dst_unused:UNUSED_PAD src0_sel:WORD_0
	v_add_co_u32_e32 v6, vcc, 0x5000, v2
	s_nop 1
	v_addc_co_u32_e32 v7, vcc, 0, v3, vcc
	global_store_dword v[6:7], v8, off offset:1024
.LBB62_296:
	s_or_b64 exec, exec, s[2:3]
	s_waitcnt lgkmcnt(2)
	v_or_b32_e32 v6, 0x1600, v0
	v_cmp_gt_u32_e32 vcc, s33, v6
	s_and_saveexec_b64 s[2:3], vcc
	s_cbranch_execz .LBB62_298
; %bb.297:
	s_waitcnt lgkmcnt(1)
	v_cvt_f32_i32_sdwa v1, sext(v1) dst_sel:DWORD dst_unused:UNUSED_PAD src0_sel:WORD_0
	v_add_co_u32_e32 v2, vcc, 0x5000, v2
	s_nop 1
	v_addc_co_u32_e32 v3, vcc, 0, v3, vcc
	global_store_dword v[2:3], v1, off offset:2048
.LBB62_298:
	s_or_b64 exec, exec, s[2:3]
	v_or_b32_e32 v2, 0x1700, v0
	s_waitcnt lgkmcnt(1)
	v_mov_b32_e32 v1, v51
	v_cmp_gt_u32_e64 s[2:3], s33, v2
	s_branch .LBB62_301
.LBB62_299:
	s_mov_b64 s[2:3], 0
                                        ; implicit-def: $vgpr5
	s_cbranch_execz .LBB62_301
; %bb.300:
	s_mov_b32 s4, 0x5040100
	v_lshlrev_b32_e32 v6, 1, v4
	s_waitcnt lgkmcnt(0)
	v_perm_b32 v5, v29, v27, s4
	v_perm_b32 v4, v26, v25, s4
	;; [unrolled: 1-line block ×4, first 2 shown]
	s_barrier
	ds_write_b128 v6, v[2:5]
	v_perm_b32 v5, v39, v37, s4
	v_perm_b32 v4, v36, v35, s4
	;; [unrolled: 1-line block ×4, first 2 shown]
	ds_write_b128 v6, v[2:5] offset:16
	v_perm_b32 v4, v44, v43, s4
	v_perm_b32 v3, v42, v41, s4
	;; [unrolled: 1-line block ×4, first 2 shown]
	s_movk_i32 s4, 0xffd2
	ds_write_b128 v6, v[2:5] offset:32
	v_mad_i32_i24 v2, v0, s4, v6
	s_waitcnt lgkmcnt(0)
	s_barrier
	ds_read_i16 v4, v2
	ds_read_i16 v6, v2 offset:512
	ds_read_i16 v7, v2 offset:1024
	;; [unrolled: 1-line block ×22, first 2 shown]
	ds_read_u16 v5, v2 offset:11776
	s_waitcnt lgkmcnt(14)
	v_cvt_f32_i32_e32 v4, v4
	v_mov_b32_e32 v1, 0
	v_cvt_f32_i32_e32 v6, v6
	v_mov_b32_e32 v51, v1
	v_cvt_f32_i32_e32 v7, v7
	v_lshl_add_u64 v[2:3], s[0:1], 0, v[50:51]
	v_cvt_f32_i32_e32 v8, v8
	s_movk_i32 s4, 0x1000
	global_store_dword v50, v4, s[0:1]
	global_store_dword v50, v6, s[0:1] offset:1024
	global_store_dword v50, v7, s[0:1] offset:2048
	;; [unrolled: 1-line block ×3, first 2 shown]
	v_cvt_f32_i32_e32 v4, v9
	v_add_co_u32_e32 v6, vcc, s4, v2
	s_movk_i32 s4, 0x2000
	s_nop 0
	v_addc_co_u32_e32 v7, vcc, 0, v3, vcc
	v_cvt_f32_i32_e32 v10, v10
	v_add_co_u32_e32 v8, vcc, s4, v2
	v_cvt_f32_i32_e32 v11, v11
	s_nop 0
	v_addc_co_u32_e32 v9, vcc, 0, v3, vcc
	v_cvt_f32_i32_e32 v12, v12
	global_store_dword v[8:9], v4, off offset:-4096
	global_store_dword v[6:7], v10, off offset:1024
	global_store_dword v[6:7], v11, off offset:2048
	;; [unrolled: 1-line block ×3, first 2 shown]
	v_cvt_f32_i32_e32 v4, v13
	v_cvt_f32_i32_e32 v6, v14
	s_waitcnt lgkmcnt(13)
	v_cvt_f32_i32_e32 v7, v15
	s_waitcnt lgkmcnt(12)
	v_cvt_f32_i32_e32 v10, v16
	s_movk_i32 s4, 0x3000
	global_store_dword v[8:9], v4, off
	global_store_dword v[8:9], v6, off offset:1024
	global_store_dword v[8:9], v7, off offset:2048
	;; [unrolled: 1-line block ×3, first 2 shown]
	s_waitcnt lgkmcnt(11)
	v_cvt_f32_i32_e32 v4, v17
	v_add_co_u32_e32 v6, vcc, s4, v2
	s_movk_i32 s4, 0x4000
	s_nop 0
	v_addc_co_u32_e32 v7, vcc, 0, v3, vcc
	s_waitcnt lgkmcnt(10)
	v_cvt_f32_i32_e32 v10, v18
	v_add_co_u32_e32 v8, vcc, s4, v2
	s_waitcnt lgkmcnt(9)
	v_cvt_f32_i32_e32 v11, v19
	v_addc_co_u32_e32 v9, vcc, 0, v3, vcc
	s_waitcnt lgkmcnt(8)
	v_cvt_f32_i32_e32 v12, v20
	global_store_dword v[8:9], v4, off offset:-4096
	global_store_dword v[6:7], v10, off offset:1024
	global_store_dword v[6:7], v11, off offset:2048
	global_store_dword v[6:7], v12, off offset:3072
	s_waitcnt lgkmcnt(7)
	v_cvt_f32_i32_e32 v4, v21
	s_waitcnt lgkmcnt(6)
	v_cvt_f32_i32_e32 v6, v22
	;; [unrolled: 2-line block ×4, first 2 shown]
	global_store_dword v[8:9], v4, off
	global_store_dword v[8:9], v6, off offset:1024
	global_store_dword v[8:9], v7, off offset:2048
	;; [unrolled: 1-line block ×3, first 2 shown]
	s_waitcnt lgkmcnt(3)
	v_cvt_f32_i32_e32 v4, v25
	s_waitcnt lgkmcnt(2)
	v_cvt_f32_i32_e32 v6, v26
	v_add_co_u32_e32 v2, vcc, 0x5000, v2
	s_waitcnt lgkmcnt(1)
	v_cvt_f32_i32_e32 v7, v27
	v_addc_co_u32_e32 v3, vcc, 0, v3, vcc
	s_or_b64 s[2:3], s[2:3], exec
	global_store_dword v[2:3], v4, off
	global_store_dword v[2:3], v6, off offset:1024
	global_store_dword v[2:3], v7, off offset:2048
.LBB62_301:
	s_and_saveexec_b64 s[4:5], s[2:3]
	s_cbranch_execz .LBB62_303
; %bb.302:
	s_waitcnt lgkmcnt(0)
	v_cvt_f32_i32_sdwa v2, sext(v5) dst_sel:DWORD dst_unused:UNUSED_PAD src0_sel:WORD_0
	v_lshl_add_u64 v[0:1], v[0:1], 2, s[0:1]
	v_add_co_u32_e32 v0, vcc, 0x5000, v0
	s_nop 1
	v_addc_co_u32_e32 v1, vcc, 0, v1, vcc
	global_store_dword v[0:1], v2, off offset:3072
	s_endpgm
.LBB62_303:
	s_endpgm
	.section	.rodata,"a",@progbits
	.p2align	6, 0x0
	.amdhsa_kernel _ZN7rocprim6detail25device_scan_by_key_kernelILNS0_25lookback_scan_determinismE0ELb0ENS0_26wrapped_scan_by_key_configINS_14default_configEisEEPiN6hipcub22TransformInputIteratorIsNS7_6CastOpIsEEPslEEPfsNS7_8EqualityENS7_3MaxENS0_19lookback_scan_stateINS_5tupleIJsbEEELb0ELb1EEEsEEvT2_T3_T4_T5_T6_T7_T8_mmmPKNSH_IJT9_bEEE
		.amdhsa_group_segment_fixed_size 26624
		.amdhsa_private_segment_fixed_size 0
		.amdhsa_kernarg_size 80
		.amdhsa_user_sgpr_count 2
		.amdhsa_user_sgpr_dispatch_ptr 0
		.amdhsa_user_sgpr_queue_ptr 0
		.amdhsa_user_sgpr_kernarg_segment_ptr 1
		.amdhsa_user_sgpr_dispatch_id 0
		.amdhsa_user_sgpr_kernarg_preload_length 0
		.amdhsa_user_sgpr_kernarg_preload_offset 0
		.amdhsa_user_sgpr_private_segment_size 0
		.amdhsa_uses_dynamic_stack 0
		.amdhsa_enable_private_segment 0
		.amdhsa_system_sgpr_workgroup_id_x 1
		.amdhsa_system_sgpr_workgroup_id_y 0
		.amdhsa_system_sgpr_workgroup_id_z 0
		.amdhsa_system_sgpr_workgroup_info 0
		.amdhsa_system_vgpr_workitem_id 0
		.amdhsa_next_free_vgpr 60
		.amdhsa_next_free_sgpr 76
		.amdhsa_accum_offset 60
		.amdhsa_reserve_vcc 1
		.amdhsa_float_round_mode_32 0
		.amdhsa_float_round_mode_16_64 0
		.amdhsa_float_denorm_mode_32 3
		.amdhsa_float_denorm_mode_16_64 3
		.amdhsa_dx10_clamp 1
		.amdhsa_ieee_mode 1
		.amdhsa_fp16_overflow 0
		.amdhsa_tg_split 0
		.amdhsa_exception_fp_ieee_invalid_op 0
		.amdhsa_exception_fp_denorm_src 0
		.amdhsa_exception_fp_ieee_div_zero 0
		.amdhsa_exception_fp_ieee_overflow 0
		.amdhsa_exception_fp_ieee_underflow 0
		.amdhsa_exception_fp_ieee_inexact 0
		.amdhsa_exception_int_div_zero 0
	.end_amdhsa_kernel
	.section	.text._ZN7rocprim6detail25device_scan_by_key_kernelILNS0_25lookback_scan_determinismE0ELb0ENS0_26wrapped_scan_by_key_configINS_14default_configEisEEPiN6hipcub22TransformInputIteratorIsNS7_6CastOpIsEEPslEEPfsNS7_8EqualityENS7_3MaxENS0_19lookback_scan_stateINS_5tupleIJsbEEELb0ELb1EEEsEEvT2_T3_T4_T5_T6_T7_T8_mmmPKNSH_IJT9_bEEE,"axG",@progbits,_ZN7rocprim6detail25device_scan_by_key_kernelILNS0_25lookback_scan_determinismE0ELb0ENS0_26wrapped_scan_by_key_configINS_14default_configEisEEPiN6hipcub22TransformInputIteratorIsNS7_6CastOpIsEEPslEEPfsNS7_8EqualityENS7_3MaxENS0_19lookback_scan_stateINS_5tupleIJsbEEELb0ELb1EEEsEEvT2_T3_T4_T5_T6_T7_T8_mmmPKNSH_IJT9_bEEE,comdat
.Lfunc_end62:
	.size	_ZN7rocprim6detail25device_scan_by_key_kernelILNS0_25lookback_scan_determinismE0ELb0ENS0_26wrapped_scan_by_key_configINS_14default_configEisEEPiN6hipcub22TransformInputIteratorIsNS7_6CastOpIsEEPslEEPfsNS7_8EqualityENS7_3MaxENS0_19lookback_scan_stateINS_5tupleIJsbEEELb0ELb1EEEsEEvT2_T3_T4_T5_T6_T7_T8_mmmPKNSH_IJT9_bEEE, .Lfunc_end62-_ZN7rocprim6detail25device_scan_by_key_kernelILNS0_25lookback_scan_determinismE0ELb0ENS0_26wrapped_scan_by_key_configINS_14default_configEisEEPiN6hipcub22TransformInputIteratorIsNS7_6CastOpIsEEPslEEPfsNS7_8EqualityENS7_3MaxENS0_19lookback_scan_stateINS_5tupleIJsbEEELb0ELb1EEEsEEvT2_T3_T4_T5_T6_T7_T8_mmmPKNSH_IJT9_bEEE
                                        ; -- End function
	.section	.AMDGPU.csdata,"",@progbits
; Kernel info:
; codeLenInByte = 16548
; NumSgprs: 82
; NumVgprs: 60
; NumAgprs: 0
; TotalNumVgprs: 60
; ScratchSize: 0
; MemoryBound: 0
; FloatMode: 240
; IeeeMode: 1
; LDSByteSize: 26624 bytes/workgroup (compile time only)
; SGPRBlocks: 10
; VGPRBlocks: 7
; NumSGPRsForWavesPerEU: 82
; NumVGPRsForWavesPerEU: 60
; AccumOffset: 60
; Occupancy: 2
; WaveLimiterHint : 1
; COMPUTE_PGM_RSRC2:SCRATCH_EN: 0
; COMPUTE_PGM_RSRC2:USER_SGPR: 2
; COMPUTE_PGM_RSRC2:TRAP_HANDLER: 0
; COMPUTE_PGM_RSRC2:TGID_X_EN: 1
; COMPUTE_PGM_RSRC2:TGID_Y_EN: 0
; COMPUTE_PGM_RSRC2:TGID_Z_EN: 0
; COMPUTE_PGM_RSRC2:TIDIG_COMP_CNT: 0
; COMPUTE_PGM_RSRC3_GFX90A:ACCUM_OFFSET: 14
; COMPUTE_PGM_RSRC3_GFX90A:TG_SPLIT: 0
	.section	.text._ZN7rocprim6detail31init_lookback_scan_state_kernelINS0_19lookback_scan_stateINS_5tupleIJmbEEELb1ELb0EEEEEvT_jjPNS6_10value_typeE,"axG",@progbits,_ZN7rocprim6detail31init_lookback_scan_state_kernelINS0_19lookback_scan_stateINS_5tupleIJmbEEELb1ELb0EEEEEvT_jjPNS6_10value_typeE,comdat
	.protected	_ZN7rocprim6detail31init_lookback_scan_state_kernelINS0_19lookback_scan_stateINS_5tupleIJmbEEELb1ELb0EEEEEvT_jjPNS6_10value_typeE ; -- Begin function _ZN7rocprim6detail31init_lookback_scan_state_kernelINS0_19lookback_scan_stateINS_5tupleIJmbEEELb1ELb0EEEEEvT_jjPNS6_10value_typeE
	.globl	_ZN7rocprim6detail31init_lookback_scan_state_kernelINS0_19lookback_scan_stateINS_5tupleIJmbEEELb1ELb0EEEEEvT_jjPNS6_10value_typeE
	.p2align	8
	.type	_ZN7rocprim6detail31init_lookback_scan_state_kernelINS0_19lookback_scan_stateINS_5tupleIJmbEEELb1ELb0EEEEEvT_jjPNS6_10value_typeE,@function
_ZN7rocprim6detail31init_lookback_scan_state_kernelINS0_19lookback_scan_stateINS_5tupleIJmbEEELb1ELb0EEEEEvT_jjPNS6_10value_typeE: ; @_ZN7rocprim6detail31init_lookback_scan_state_kernelINS0_19lookback_scan_stateINS_5tupleIJmbEEELb1ELb0EEEEEvT_jjPNS6_10value_typeE
; %bb.0:
	s_load_dword s3, s[0:1], 0x34
	s_load_dwordx2 s[8:9], s[0:1], 0x20
	s_load_dwordx4 s[4:7], s[0:1], 0x10
	s_waitcnt lgkmcnt(0)
	s_and_b32 s3, s3, 0xffff
	s_mul_i32 s2, s2, s3
	s_cmp_eq_u64 s[8:9], 0
	v_add_u32_e32 v0, s2, v0
	s_cbranch_scc1 .LBB63_11
; %bb.1:
	s_cmp_lt_u32 s7, s6
	s_cselect_b32 s2, s7, 0
	s_mov_b32 s13, 0
	v_cmp_eq_u32_e32 vcc, s2, v0
	s_and_saveexec_b64 s[10:11], vcc
	s_cbranch_execz .LBB63_10
; %bb.2:
	s_add_i32 s12, s7, 64
	v_mov_b32_e32 v1, s12
	global_load_ubyte v1, v1, s[4:5] sc1
	s_load_dwordx4 s[0:3], s[0:1], 0x0
	s_add_u32 s14, s4, s12
	s_addc_u32 s15, s5, 0
	s_waitcnt vmcnt(0)
	v_cmp_ne_u16_e32 vcc, 0, v1
	v_readfirstlane_b32 s7, v1
	s_cbranch_vccz .LBB63_4
; %bb.3:
	s_and_b32 s7, 0xffff, s7
	s_branch .LBB63_9
.LBB63_4:
	s_mov_b32 s7, 1
	v_mov_b32_e32 v1, 0
.LBB63_5:                               ; =>This Loop Header: Depth=1
                                        ;     Child Loop BB63_6 Depth 2
	s_max_u32 s16, s7, 1
.LBB63_6:                               ;   Parent Loop BB63_5 Depth=1
                                        ; =>  This Inner Loop Header: Depth=2
	s_add_i32 s16, s16, -1
	s_cmp_eq_u32 s16, 0
	s_sleep 1
	s_cbranch_scc0 .LBB63_6
; %bb.7:                                ;   in Loop: Header=BB63_5 Depth=1
	global_load_ubyte v2, v1, s[14:15] sc1
	s_cmp_lt_u32 s7, 32
	s_cselect_b64 s[16:17], -1, 0
	s_cmp_lg_u64 s[16:17], 0
	s_addc_u32 s7, s7, 0
	s_waitcnt vmcnt(0)
	v_cmp_ne_u16_e32 vcc, 0, v2
	v_readfirstlane_b32 s16, v2
	s_cbranch_vccz .LBB63_5
; %bb.8:
	s_and_b32 s7, 0xffff, s16
.LBB63_9:
	s_cmp_eq_u32 s7, 1
	s_waitcnt lgkmcnt(0)
	s_cselect_b32 s3, s1, s3
	s_cselect_b32 s2, s0, s2
	s_lshl_b64 s[0:1], s[12:13], 4
	s_add_u32 s0, s2, s0
	s_addc_u32 s1, s3, s1
	v_mov_b32_e32 v1, 0
	global_load_dword v2, v1, s[0:1] sc1
	global_load_dword v3, v1, s[0:1] offset:4 sc1
	global_load_dword v4, v1, s[0:1] offset:8 sc1
	;; [unrolled: 1-line block ×3, first 2 shown]
	s_waitcnt vmcnt(2)
	global_store_dwordx2 v1, v[2:3], s[8:9]
	s_waitcnt vmcnt(2)
	global_store_byte v1, v4, s[8:9] offset:8
.LBB63_10:
	s_or_b64 exec, exec, s[10:11]
.LBB63_11:
	v_cmp_gt_u32_e32 vcc, s6, v0
	s_and_saveexec_b64 s[0:1], vcc
	s_cbranch_execnz .LBB63_14
; %bb.12:
	s_or_b64 exec, exec, s[0:1]
	v_cmp_gt_u32_e32 vcc, 64, v0
	s_and_saveexec_b64 s[0:1], vcc
	s_cbranch_execnz .LBB63_15
.LBB63_13:
	s_endpgm
.LBB63_14:
	v_add_u32_e32 v1, 64, v0
	v_mov_b32_e32 v2, 0
	global_store_byte v1, v2, s[4:5]
	s_or_b64 exec, exec, s[0:1]
	v_cmp_gt_u32_e32 vcc, 64, v0
	s_and_saveexec_b64 s[0:1], vcc
	s_cbranch_execz .LBB63_13
.LBB63_15:
	v_mov_b32_e32 v1, 0xff
	global_store_byte v0, v1, s[4:5]
	s_endpgm
	.section	.rodata,"a",@progbits
	.p2align	6, 0x0
	.amdhsa_kernel _ZN7rocprim6detail31init_lookback_scan_state_kernelINS0_19lookback_scan_stateINS_5tupleIJmbEEELb1ELb0EEEEEvT_jjPNS6_10value_typeE
		.amdhsa_group_segment_fixed_size 0
		.amdhsa_private_segment_fixed_size 0
		.amdhsa_kernarg_size 296
		.amdhsa_user_sgpr_count 2
		.amdhsa_user_sgpr_dispatch_ptr 0
		.amdhsa_user_sgpr_queue_ptr 0
		.amdhsa_user_sgpr_kernarg_segment_ptr 1
		.amdhsa_user_sgpr_dispatch_id 0
		.amdhsa_user_sgpr_kernarg_preload_length 0
		.amdhsa_user_sgpr_kernarg_preload_offset 0
		.amdhsa_user_sgpr_private_segment_size 0
		.amdhsa_uses_dynamic_stack 0
		.amdhsa_enable_private_segment 0
		.amdhsa_system_sgpr_workgroup_id_x 1
		.amdhsa_system_sgpr_workgroup_id_y 0
		.amdhsa_system_sgpr_workgroup_id_z 0
		.amdhsa_system_sgpr_workgroup_info 0
		.amdhsa_system_vgpr_workitem_id 0
		.amdhsa_next_free_vgpr 6
		.amdhsa_next_free_sgpr 18
		.amdhsa_accum_offset 8
		.amdhsa_reserve_vcc 1
		.amdhsa_float_round_mode_32 0
		.amdhsa_float_round_mode_16_64 0
		.amdhsa_float_denorm_mode_32 3
		.amdhsa_float_denorm_mode_16_64 3
		.amdhsa_dx10_clamp 1
		.amdhsa_ieee_mode 1
		.amdhsa_fp16_overflow 0
		.amdhsa_tg_split 0
		.amdhsa_exception_fp_ieee_invalid_op 0
		.amdhsa_exception_fp_denorm_src 0
		.amdhsa_exception_fp_ieee_div_zero 0
		.amdhsa_exception_fp_ieee_overflow 0
		.amdhsa_exception_fp_ieee_underflow 0
		.amdhsa_exception_fp_ieee_inexact 0
		.amdhsa_exception_int_div_zero 0
	.end_amdhsa_kernel
	.section	.text._ZN7rocprim6detail31init_lookback_scan_state_kernelINS0_19lookback_scan_stateINS_5tupleIJmbEEELb1ELb0EEEEEvT_jjPNS6_10value_typeE,"axG",@progbits,_ZN7rocprim6detail31init_lookback_scan_state_kernelINS0_19lookback_scan_stateINS_5tupleIJmbEEELb1ELb0EEEEEvT_jjPNS6_10value_typeE,comdat
.Lfunc_end63:
	.size	_ZN7rocprim6detail31init_lookback_scan_state_kernelINS0_19lookback_scan_stateINS_5tupleIJmbEEELb1ELb0EEEEEvT_jjPNS6_10value_typeE, .Lfunc_end63-_ZN7rocprim6detail31init_lookback_scan_state_kernelINS0_19lookback_scan_stateINS_5tupleIJmbEEELb1ELb0EEEEEvT_jjPNS6_10value_typeE
                                        ; -- End function
	.section	.AMDGPU.csdata,"",@progbits
; Kernel info:
; codeLenInByte = 388
; NumSgprs: 24
; NumVgprs: 6
; NumAgprs: 0
; TotalNumVgprs: 6
; ScratchSize: 0
; MemoryBound: 0
; FloatMode: 240
; IeeeMode: 1
; LDSByteSize: 0 bytes/workgroup (compile time only)
; SGPRBlocks: 2
; VGPRBlocks: 0
; NumSGPRsForWavesPerEU: 24
; NumVGPRsForWavesPerEU: 6
; AccumOffset: 8
; Occupancy: 8
; WaveLimiterHint : 0
; COMPUTE_PGM_RSRC2:SCRATCH_EN: 0
; COMPUTE_PGM_RSRC2:USER_SGPR: 2
; COMPUTE_PGM_RSRC2:TRAP_HANDLER: 0
; COMPUTE_PGM_RSRC2:TGID_X_EN: 1
; COMPUTE_PGM_RSRC2:TGID_Y_EN: 0
; COMPUTE_PGM_RSRC2:TGID_Z_EN: 0
; COMPUTE_PGM_RSRC2:TIDIG_COMP_CNT: 0
; COMPUTE_PGM_RSRC3_GFX90A:ACCUM_OFFSET: 1
; COMPUTE_PGM_RSRC3_GFX90A:TG_SPLIT: 0
	.section	.text._ZN7rocprim6detail31init_lookback_scan_state_kernelINS0_19lookback_scan_stateINS_5tupleIJmbEEELb0ELb0EEEEEvT_jjPNS6_10value_typeE,"axG",@progbits,_ZN7rocprim6detail31init_lookback_scan_state_kernelINS0_19lookback_scan_stateINS_5tupleIJmbEEELb0ELb0EEEEEvT_jjPNS6_10value_typeE,comdat
	.protected	_ZN7rocprim6detail31init_lookback_scan_state_kernelINS0_19lookback_scan_stateINS_5tupleIJmbEEELb0ELb0EEEEEvT_jjPNS6_10value_typeE ; -- Begin function _ZN7rocprim6detail31init_lookback_scan_state_kernelINS0_19lookback_scan_stateINS_5tupleIJmbEEELb0ELb0EEEEEvT_jjPNS6_10value_typeE
	.globl	_ZN7rocprim6detail31init_lookback_scan_state_kernelINS0_19lookback_scan_stateINS_5tupleIJmbEEELb0ELb0EEEEEvT_jjPNS6_10value_typeE
	.p2align	8
	.type	_ZN7rocprim6detail31init_lookback_scan_state_kernelINS0_19lookback_scan_stateINS_5tupleIJmbEEELb0ELb0EEEEEvT_jjPNS6_10value_typeE,@function
_ZN7rocprim6detail31init_lookback_scan_state_kernelINS0_19lookback_scan_stateINS_5tupleIJmbEEELb0ELb0EEEEEvT_jjPNS6_10value_typeE: ; @_ZN7rocprim6detail31init_lookback_scan_state_kernelINS0_19lookback_scan_stateINS_5tupleIJmbEEELb0ELb0EEEEEvT_jjPNS6_10value_typeE
; %bb.0:
	s_load_dword s3, s[0:1], 0x34
	s_load_dwordx2 s[8:9], s[0:1], 0x20
	s_load_dwordx4 s[4:7], s[0:1], 0x10
	s_waitcnt lgkmcnt(0)
	s_and_b32 s3, s3, 0xffff
	s_mul_i32 s2, s2, s3
	s_cmp_eq_u64 s[8:9], 0
	v_add_u32_e32 v0, s2, v0
	s_cbranch_scc1 .LBB64_7
; %bb.1:
	s_cmp_lt_u32 s7, s6
	s_cselect_b32 s2, s7, 0
	s_mov_b32 s13, 0
	v_cmp_eq_u32_e32 vcc, s2, v0
	s_and_saveexec_b64 s[10:11], vcc
	s_cbranch_execz .LBB64_6
; %bb.2:
	s_add_i32 s12, s7, 64
	v_mov_b32_e32 v1, s12
	global_load_ubyte v1, v1, s[4:5] sc1
	s_load_dwordx4 s[0:3], s[0:1], 0x0
	s_add_u32 s14, s4, s12
	s_addc_u32 s15, s5, 0
	s_waitcnt vmcnt(0)
	v_cmp_ne_u16_e32 vcc, 0, v1
	v_readfirstlane_b32 s7, v1
	s_cbranch_vccnz .LBB64_5
; %bb.3:
	v_mov_b32_e32 v1, 0
.LBB64_4:                               ; =>This Inner Loop Header: Depth=1
	global_load_ubyte v2, v1, s[14:15] sc1
	s_waitcnt vmcnt(0)
	v_cmp_eq_u16_e32 vcc, 0, v2
	v_readfirstlane_b32 s7, v2
	s_cbranch_vccnz .LBB64_4
.LBB64_5:
	s_and_b32 s7, 0xffff, s7
	s_cmp_eq_u32 s7, 1
	s_waitcnt lgkmcnt(0)
	s_cselect_b32 s3, s1, s3
	s_cselect_b32 s2, s0, s2
	s_lshl_b64 s[0:1], s[12:13], 4
	s_add_u32 s0, s2, s0
	s_addc_u32 s1, s3, s1
	v_mov_b32_e32 v1, 0
	global_load_dword v2, v1, s[0:1] sc1
	global_load_dword v3, v1, s[0:1] offset:4 sc1
	global_load_dword v4, v1, s[0:1] offset:8 sc1
	;; [unrolled: 1-line block ×3, first 2 shown]
	s_waitcnt vmcnt(2)
	global_store_dwordx2 v1, v[2:3], s[8:9]
	s_waitcnt vmcnt(2)
	global_store_byte v1, v4, s[8:9] offset:8
.LBB64_6:
	s_or_b64 exec, exec, s[10:11]
.LBB64_7:
	v_cmp_gt_u32_e32 vcc, s6, v0
	s_and_saveexec_b64 s[0:1], vcc
	s_cbranch_execnz .LBB64_10
; %bb.8:
	s_or_b64 exec, exec, s[0:1]
	v_cmp_gt_u32_e32 vcc, 64, v0
	s_and_saveexec_b64 s[0:1], vcc
	s_cbranch_execnz .LBB64_11
.LBB64_9:
	s_endpgm
.LBB64_10:
	v_add_u32_e32 v1, 64, v0
	v_mov_b32_e32 v2, 0
	global_store_byte v1, v2, s[4:5]
	s_or_b64 exec, exec, s[0:1]
	v_cmp_gt_u32_e32 vcc, 64, v0
	s_and_saveexec_b64 s[0:1], vcc
	s_cbranch_execz .LBB64_9
.LBB64_11:
	v_mov_b32_e32 v1, 0xff
	global_store_byte v0, v1, s[4:5]
	s_endpgm
	.section	.rodata,"a",@progbits
	.p2align	6, 0x0
	.amdhsa_kernel _ZN7rocprim6detail31init_lookback_scan_state_kernelINS0_19lookback_scan_stateINS_5tupleIJmbEEELb0ELb0EEEEEvT_jjPNS6_10value_typeE
		.amdhsa_group_segment_fixed_size 0
		.amdhsa_private_segment_fixed_size 0
		.amdhsa_kernarg_size 296
		.amdhsa_user_sgpr_count 2
		.amdhsa_user_sgpr_dispatch_ptr 0
		.amdhsa_user_sgpr_queue_ptr 0
		.amdhsa_user_sgpr_kernarg_segment_ptr 1
		.amdhsa_user_sgpr_dispatch_id 0
		.amdhsa_user_sgpr_kernarg_preload_length 0
		.amdhsa_user_sgpr_kernarg_preload_offset 0
		.amdhsa_user_sgpr_private_segment_size 0
		.amdhsa_uses_dynamic_stack 0
		.amdhsa_enable_private_segment 0
		.amdhsa_system_sgpr_workgroup_id_x 1
		.amdhsa_system_sgpr_workgroup_id_y 0
		.amdhsa_system_sgpr_workgroup_id_z 0
		.amdhsa_system_sgpr_workgroup_info 0
		.amdhsa_system_vgpr_workitem_id 0
		.amdhsa_next_free_vgpr 6
		.amdhsa_next_free_sgpr 16
		.amdhsa_accum_offset 8
		.amdhsa_reserve_vcc 1
		.amdhsa_float_round_mode_32 0
		.amdhsa_float_round_mode_16_64 0
		.amdhsa_float_denorm_mode_32 3
		.amdhsa_float_denorm_mode_16_64 3
		.amdhsa_dx10_clamp 1
		.amdhsa_ieee_mode 1
		.amdhsa_fp16_overflow 0
		.amdhsa_tg_split 0
		.amdhsa_exception_fp_ieee_invalid_op 0
		.amdhsa_exception_fp_denorm_src 0
		.amdhsa_exception_fp_ieee_div_zero 0
		.amdhsa_exception_fp_ieee_overflow 0
		.amdhsa_exception_fp_ieee_underflow 0
		.amdhsa_exception_fp_ieee_inexact 0
		.amdhsa_exception_int_div_zero 0
	.end_amdhsa_kernel
	.section	.text._ZN7rocprim6detail31init_lookback_scan_state_kernelINS0_19lookback_scan_stateINS_5tupleIJmbEEELb0ELb0EEEEEvT_jjPNS6_10value_typeE,"axG",@progbits,_ZN7rocprim6detail31init_lookback_scan_state_kernelINS0_19lookback_scan_stateINS_5tupleIJmbEEELb0ELb0EEEEEvT_jjPNS6_10value_typeE,comdat
.Lfunc_end64:
	.size	_ZN7rocprim6detail31init_lookback_scan_state_kernelINS0_19lookback_scan_stateINS_5tupleIJmbEEELb0ELb0EEEEEvT_jjPNS6_10value_typeE, .Lfunc_end64-_ZN7rocprim6detail31init_lookback_scan_state_kernelINS0_19lookback_scan_stateINS_5tupleIJmbEEELb0ELb0EEEEEvT_jjPNS6_10value_typeE
                                        ; -- End function
	.section	.AMDGPU.csdata,"",@progbits
; Kernel info:
; codeLenInByte = 336
; NumSgprs: 22
; NumVgprs: 6
; NumAgprs: 0
; TotalNumVgprs: 6
; ScratchSize: 0
; MemoryBound: 0
; FloatMode: 240
; IeeeMode: 1
; LDSByteSize: 0 bytes/workgroup (compile time only)
; SGPRBlocks: 2
; VGPRBlocks: 0
; NumSGPRsForWavesPerEU: 22
; NumVGPRsForWavesPerEU: 6
; AccumOffset: 8
; Occupancy: 8
; WaveLimiterHint : 0
; COMPUTE_PGM_RSRC2:SCRATCH_EN: 0
; COMPUTE_PGM_RSRC2:USER_SGPR: 2
; COMPUTE_PGM_RSRC2:TRAP_HANDLER: 0
; COMPUTE_PGM_RSRC2:TGID_X_EN: 1
; COMPUTE_PGM_RSRC2:TGID_Y_EN: 0
; COMPUTE_PGM_RSRC2:TGID_Z_EN: 0
; COMPUTE_PGM_RSRC2:TIDIG_COMP_CNT: 0
; COMPUTE_PGM_RSRC3_GFX90A:ACCUM_OFFSET: 1
; COMPUTE_PGM_RSRC3_GFX90A:TG_SPLIT: 0
	.section	.text._ZN7rocprim6detail25device_scan_by_key_kernelILNS0_25lookback_scan_determinismE0ELb0ENS0_26wrapped_scan_by_key_configINS_14default_configEimEEPiN6hipcub22TransformInputIteratorImNS7_6CastOpImEEPmlEESB_mNS7_8EqualityENS7_3SumENS0_19lookback_scan_stateINS_5tupleIJmbEEELb1ELb0EEEmEEvT2_T3_T4_T5_T6_T7_T8_mmmPKNSG_IJT9_bEEE,"axG",@progbits,_ZN7rocprim6detail25device_scan_by_key_kernelILNS0_25lookback_scan_determinismE0ELb0ENS0_26wrapped_scan_by_key_configINS_14default_configEimEEPiN6hipcub22TransformInputIteratorImNS7_6CastOpImEEPmlEESB_mNS7_8EqualityENS7_3SumENS0_19lookback_scan_stateINS_5tupleIJmbEEELb1ELb0EEEmEEvT2_T3_T4_T5_T6_T7_T8_mmmPKNSG_IJT9_bEEE,comdat
	.protected	_ZN7rocprim6detail25device_scan_by_key_kernelILNS0_25lookback_scan_determinismE0ELb0ENS0_26wrapped_scan_by_key_configINS_14default_configEimEEPiN6hipcub22TransformInputIteratorImNS7_6CastOpImEEPmlEESB_mNS7_8EqualityENS7_3SumENS0_19lookback_scan_stateINS_5tupleIJmbEEELb1ELb0EEEmEEvT2_T3_T4_T5_T6_T7_T8_mmmPKNSG_IJT9_bEEE ; -- Begin function _ZN7rocprim6detail25device_scan_by_key_kernelILNS0_25lookback_scan_determinismE0ELb0ENS0_26wrapped_scan_by_key_configINS_14default_configEimEEPiN6hipcub22TransformInputIteratorImNS7_6CastOpImEEPmlEESB_mNS7_8EqualityENS7_3SumENS0_19lookback_scan_stateINS_5tupleIJmbEEELb1ELb0EEEmEEvT2_T3_T4_T5_T6_T7_T8_mmmPKNSG_IJT9_bEEE
	.globl	_ZN7rocprim6detail25device_scan_by_key_kernelILNS0_25lookback_scan_determinismE0ELb0ENS0_26wrapped_scan_by_key_configINS_14default_configEimEEPiN6hipcub22TransformInputIteratorImNS7_6CastOpImEEPmlEESB_mNS7_8EqualityENS7_3SumENS0_19lookback_scan_stateINS_5tupleIJmbEEELb1ELb0EEEmEEvT2_T3_T4_T5_T6_T7_T8_mmmPKNSG_IJT9_bEEE
	.p2align	8
	.type	_ZN7rocprim6detail25device_scan_by_key_kernelILNS0_25lookback_scan_determinismE0ELb0ENS0_26wrapped_scan_by_key_configINS_14default_configEimEEPiN6hipcub22TransformInputIteratorImNS7_6CastOpImEEPmlEESB_mNS7_8EqualityENS7_3SumENS0_19lookback_scan_stateINS_5tupleIJmbEEELb1ELb0EEEmEEvT2_T3_T4_T5_T6_T7_T8_mmmPKNSG_IJT9_bEEE,@function
_ZN7rocprim6detail25device_scan_by_key_kernelILNS0_25lookback_scan_determinismE0ELb0ENS0_26wrapped_scan_by_key_configINS_14default_configEimEEPiN6hipcub22TransformInputIteratorImNS7_6CastOpImEEPmlEESB_mNS7_8EqualityENS7_3SumENS0_19lookback_scan_stateINS_5tupleIJmbEEELb1ELb0EEEmEEvT2_T3_T4_T5_T6_T7_T8_mmmPKNSG_IJT9_bEEE: ; @_ZN7rocprim6detail25device_scan_by_key_kernelILNS0_25lookback_scan_determinismE0ELb0ENS0_26wrapped_scan_by_key_configINS_14default_configEimEEPiN6hipcub22TransformInputIteratorImNS7_6CastOpImEEPmlEESB_mNS7_8EqualityENS7_3SumENS0_19lookback_scan_stateINS_5tupleIJmbEEELb1ELb0EEEmEEvT2_T3_T4_T5_T6_T7_T8_mmmPKNSG_IJT9_bEEE
; %bb.0:
	s_endpgm
	.section	.rodata,"a",@progbits
	.p2align	6, 0x0
	.amdhsa_kernel _ZN7rocprim6detail25device_scan_by_key_kernelILNS0_25lookback_scan_determinismE0ELb0ENS0_26wrapped_scan_by_key_configINS_14default_configEimEEPiN6hipcub22TransformInputIteratorImNS7_6CastOpImEEPmlEESB_mNS7_8EqualityENS7_3SumENS0_19lookback_scan_stateINS_5tupleIJmbEEELb1ELb0EEEmEEvT2_T3_T4_T5_T6_T7_T8_mmmPKNSG_IJT9_bEEE
		.amdhsa_group_segment_fixed_size 0
		.amdhsa_private_segment_fixed_size 0
		.amdhsa_kernarg_size 104
		.amdhsa_user_sgpr_count 2
		.amdhsa_user_sgpr_dispatch_ptr 0
		.amdhsa_user_sgpr_queue_ptr 0
		.amdhsa_user_sgpr_kernarg_segment_ptr 1
		.amdhsa_user_sgpr_dispatch_id 0
		.amdhsa_user_sgpr_kernarg_preload_length 0
		.amdhsa_user_sgpr_kernarg_preload_offset 0
		.amdhsa_user_sgpr_private_segment_size 0
		.amdhsa_uses_dynamic_stack 0
		.amdhsa_enable_private_segment 0
		.amdhsa_system_sgpr_workgroup_id_x 1
		.amdhsa_system_sgpr_workgroup_id_y 0
		.amdhsa_system_sgpr_workgroup_id_z 0
		.amdhsa_system_sgpr_workgroup_info 0
		.amdhsa_system_vgpr_workitem_id 0
		.amdhsa_next_free_vgpr 1
		.amdhsa_next_free_sgpr 0
		.amdhsa_accum_offset 4
		.amdhsa_reserve_vcc 0
		.amdhsa_float_round_mode_32 0
		.amdhsa_float_round_mode_16_64 0
		.amdhsa_float_denorm_mode_32 3
		.amdhsa_float_denorm_mode_16_64 3
		.amdhsa_dx10_clamp 1
		.amdhsa_ieee_mode 1
		.amdhsa_fp16_overflow 0
		.amdhsa_tg_split 0
		.amdhsa_exception_fp_ieee_invalid_op 0
		.amdhsa_exception_fp_denorm_src 0
		.amdhsa_exception_fp_ieee_div_zero 0
		.amdhsa_exception_fp_ieee_overflow 0
		.amdhsa_exception_fp_ieee_underflow 0
		.amdhsa_exception_fp_ieee_inexact 0
		.amdhsa_exception_int_div_zero 0
	.end_amdhsa_kernel
	.section	.text._ZN7rocprim6detail25device_scan_by_key_kernelILNS0_25lookback_scan_determinismE0ELb0ENS0_26wrapped_scan_by_key_configINS_14default_configEimEEPiN6hipcub22TransformInputIteratorImNS7_6CastOpImEEPmlEESB_mNS7_8EqualityENS7_3SumENS0_19lookback_scan_stateINS_5tupleIJmbEEELb1ELb0EEEmEEvT2_T3_T4_T5_T6_T7_T8_mmmPKNSG_IJT9_bEEE,"axG",@progbits,_ZN7rocprim6detail25device_scan_by_key_kernelILNS0_25lookback_scan_determinismE0ELb0ENS0_26wrapped_scan_by_key_configINS_14default_configEimEEPiN6hipcub22TransformInputIteratorImNS7_6CastOpImEEPmlEESB_mNS7_8EqualityENS7_3SumENS0_19lookback_scan_stateINS_5tupleIJmbEEELb1ELb0EEEmEEvT2_T3_T4_T5_T6_T7_T8_mmmPKNSG_IJT9_bEEE,comdat
.Lfunc_end65:
	.size	_ZN7rocprim6detail25device_scan_by_key_kernelILNS0_25lookback_scan_determinismE0ELb0ENS0_26wrapped_scan_by_key_configINS_14default_configEimEEPiN6hipcub22TransformInputIteratorImNS7_6CastOpImEEPmlEESB_mNS7_8EqualityENS7_3SumENS0_19lookback_scan_stateINS_5tupleIJmbEEELb1ELb0EEEmEEvT2_T3_T4_T5_T6_T7_T8_mmmPKNSG_IJT9_bEEE, .Lfunc_end65-_ZN7rocprim6detail25device_scan_by_key_kernelILNS0_25lookback_scan_determinismE0ELb0ENS0_26wrapped_scan_by_key_configINS_14default_configEimEEPiN6hipcub22TransformInputIteratorImNS7_6CastOpImEEPmlEESB_mNS7_8EqualityENS7_3SumENS0_19lookback_scan_stateINS_5tupleIJmbEEELb1ELb0EEEmEEvT2_T3_T4_T5_T6_T7_T8_mmmPKNSG_IJT9_bEEE
                                        ; -- End function
	.section	.AMDGPU.csdata,"",@progbits
; Kernel info:
; codeLenInByte = 4
; NumSgprs: 6
; NumVgprs: 0
; NumAgprs: 0
; TotalNumVgprs: 0
; ScratchSize: 0
; MemoryBound: 0
; FloatMode: 240
; IeeeMode: 1
; LDSByteSize: 0 bytes/workgroup (compile time only)
; SGPRBlocks: 0
; VGPRBlocks: 0
; NumSGPRsForWavesPerEU: 6
; NumVGPRsForWavesPerEU: 1
; AccumOffset: 4
; Occupancy: 8
; WaveLimiterHint : 0
; COMPUTE_PGM_RSRC2:SCRATCH_EN: 0
; COMPUTE_PGM_RSRC2:USER_SGPR: 2
; COMPUTE_PGM_RSRC2:TRAP_HANDLER: 0
; COMPUTE_PGM_RSRC2:TGID_X_EN: 1
; COMPUTE_PGM_RSRC2:TGID_Y_EN: 0
; COMPUTE_PGM_RSRC2:TGID_Z_EN: 0
; COMPUTE_PGM_RSRC2:TIDIG_COMP_CNT: 0
; COMPUTE_PGM_RSRC3_GFX90A:ACCUM_OFFSET: 0
; COMPUTE_PGM_RSRC3_GFX90A:TG_SPLIT: 0
	.section	.text._ZN7rocprim6detail25device_scan_by_key_kernelILNS0_25lookback_scan_determinismE0ELb0ENS0_26wrapped_scan_by_key_configINS_14default_configEimEEPiN6hipcub22TransformInputIteratorImNS7_6CastOpImEEPmlEESB_mNS7_8EqualityENS7_3SumENS0_19lookback_scan_stateINS_5tupleIJmbEEELb0ELb0EEEmEEvT2_T3_T4_T5_T6_T7_T8_mmmPKNSG_IJT9_bEEE,"axG",@progbits,_ZN7rocprim6detail25device_scan_by_key_kernelILNS0_25lookback_scan_determinismE0ELb0ENS0_26wrapped_scan_by_key_configINS_14default_configEimEEPiN6hipcub22TransformInputIteratorImNS7_6CastOpImEEPmlEESB_mNS7_8EqualityENS7_3SumENS0_19lookback_scan_stateINS_5tupleIJmbEEELb0ELb0EEEmEEvT2_T3_T4_T5_T6_T7_T8_mmmPKNSG_IJT9_bEEE,comdat
	.protected	_ZN7rocprim6detail25device_scan_by_key_kernelILNS0_25lookback_scan_determinismE0ELb0ENS0_26wrapped_scan_by_key_configINS_14default_configEimEEPiN6hipcub22TransformInputIteratorImNS7_6CastOpImEEPmlEESB_mNS7_8EqualityENS7_3SumENS0_19lookback_scan_stateINS_5tupleIJmbEEELb0ELb0EEEmEEvT2_T3_T4_T5_T6_T7_T8_mmmPKNSG_IJT9_bEEE ; -- Begin function _ZN7rocprim6detail25device_scan_by_key_kernelILNS0_25lookback_scan_determinismE0ELb0ENS0_26wrapped_scan_by_key_configINS_14default_configEimEEPiN6hipcub22TransformInputIteratorImNS7_6CastOpImEEPmlEESB_mNS7_8EqualityENS7_3SumENS0_19lookback_scan_stateINS_5tupleIJmbEEELb0ELb0EEEmEEvT2_T3_T4_T5_T6_T7_T8_mmmPKNSG_IJT9_bEEE
	.globl	_ZN7rocprim6detail25device_scan_by_key_kernelILNS0_25lookback_scan_determinismE0ELb0ENS0_26wrapped_scan_by_key_configINS_14default_configEimEEPiN6hipcub22TransformInputIteratorImNS7_6CastOpImEEPmlEESB_mNS7_8EqualityENS7_3SumENS0_19lookback_scan_stateINS_5tupleIJmbEEELb0ELb0EEEmEEvT2_T3_T4_T5_T6_T7_T8_mmmPKNSG_IJT9_bEEE
	.p2align	8
	.type	_ZN7rocprim6detail25device_scan_by_key_kernelILNS0_25lookback_scan_determinismE0ELb0ENS0_26wrapped_scan_by_key_configINS_14default_configEimEEPiN6hipcub22TransformInputIteratorImNS7_6CastOpImEEPmlEESB_mNS7_8EqualityENS7_3SumENS0_19lookback_scan_stateINS_5tupleIJmbEEELb0ELb0EEEmEEvT2_T3_T4_T5_T6_T7_T8_mmmPKNSG_IJT9_bEEE,@function
_ZN7rocprim6detail25device_scan_by_key_kernelILNS0_25lookback_scan_determinismE0ELb0ENS0_26wrapped_scan_by_key_configINS_14default_configEimEEPiN6hipcub22TransformInputIteratorImNS7_6CastOpImEEPmlEESB_mNS7_8EqualityENS7_3SumENS0_19lookback_scan_stateINS_5tupleIJmbEEELb0ELb0EEEmEEvT2_T3_T4_T5_T6_T7_T8_mmmPKNSG_IJT9_bEEE: ; @_ZN7rocprim6detail25device_scan_by_key_kernelILNS0_25lookback_scan_determinismE0ELb0ENS0_26wrapped_scan_by_key_configINS_14default_configEimEEPiN6hipcub22TransformInputIteratorImNS7_6CastOpImEEPmlEESB_mNS7_8EqualityENS7_3SumENS0_19lookback_scan_stateINS_5tupleIJmbEEELb0ELb0EEEmEEvT2_T3_T4_T5_T6_T7_T8_mmmPKNSG_IJT9_bEEE
; %bb.0:
	s_load_dwordx4 s[4:7], s[0:1], 0x0
	s_load_dwordx8 s[88:95], s[0:1], 0x30
	s_load_dwordx2 s[98:99], s[0:1], 0x60
	s_load_dwordx4 s[48:51], s[0:1], 0x50
	s_mul_i32 s8, s2, 0x1500
	s_mov_b32 s9, 0
	s_lshl_b64 s[10:11], s[8:9], 2
	s_waitcnt lgkmcnt(0)
	s_add_u32 s54, s4, s10
	s_addc_u32 s55, s5, s11
	s_lshl_b64 s[96:97], s[8:9], 3
	s_add_u32 s52, s6, s96
	s_addc_u32 s53, s7, s97
	s_add_u32 s4, s2, s48
	s_addc_u32 s5, 0, s49
	s_add_u32 s6, s50, -1
	s_addc_u32 s7, s51, -1
	v_mov_b64_e32 v[2:3], s[6:7]
	v_cmp_ge_u64_e64 s[68:69], s[4:5], v[2:3]
	s_mov_b64 s[10:11], -1
	s_and_b64 vcc, exec, s[68:69]
	s_mul_i32 s33, s6, 0xffffeb00
	v_lshlrev_b32_e32 v82, 2, v0
	s_cbranch_vccz .LBB66_65
; %bb.1:
	s_load_dword s3, s[54:55], 0x0
	s_add_i32 s62, s33, s94
	v_mov_b32_e32 v83, 0
	v_lshl_add_u64 v[2:3], s[54:55], 0, v[82:83]
	v_cmp_gt_u32_e64 s[4:5], s62, v0
	s_waitcnt lgkmcnt(0)
	v_mov_b32_e32 v1, s3
	s_and_saveexec_b64 s[6:7], s[4:5]
	s_cbranch_execz .LBB66_3
; %bb.2:
	global_load_dword v1, v[2:3], off
.LBB66_3:
	s_or_b64 exec, exec, s[6:7]
	v_or_b32_e32 v4, 0x100, v0
	v_cmp_gt_u32_e64 s[8:9], s62, v4
	v_mov_b32_e32 v4, s3
	s_and_saveexec_b64 s[6:7], s[8:9]
	s_cbranch_execz .LBB66_5
; %bb.4:
	global_load_dword v4, v[2:3], off offset:1024
.LBB66_5:
	s_or_b64 exec, exec, s[6:7]
	v_or_b32_e32 v5, 0x200, v0
	v_cmp_gt_u32_e64 s[14:15], s62, v5
	v_mov_b32_e32 v5, s3
	s_and_saveexec_b64 s[6:7], s[14:15]
	s_cbranch_execz .LBB66_7
; %bb.6:
	global_load_dword v5, v[2:3], off offset:2048
.LBB66_7:
	;; [unrolled: 9-line block ×3, first 2 shown]
	s_or_b64 exec, exec, s[6:7]
	v_or_b32_e32 v7, 0x400, v0
	v_cmp_gt_u32_e64 s[6:7], s62, v7
	v_mov_b32_e32 v7, s3
	s_and_saveexec_b64 s[12:13], s[6:7]
	s_cbranch_execz .LBB66_11
; %bb.10:
	v_add_co_u32_e32 v8, vcc, 0x1000, v2
	s_nop 1
	v_addc_co_u32_e32 v9, vcc, 0, v3, vcc
	global_load_dword v7, v[8:9], off
.LBB66_11:
	s_or_b64 exec, exec, s[12:13]
	v_or_b32_e32 v8, 0x500, v0
	v_cmp_gt_u32_e64 s[12:13], s62, v8
	v_mov_b32_e32 v8, s3
	s_and_saveexec_b64 s[16:17], s[12:13]
	s_cbranch_execz .LBB66_13
; %bb.12:
	v_add_co_u32_e32 v8, vcc, 0x1000, v2
	s_nop 1
	v_addc_co_u32_e32 v9, vcc, 0, v3, vcc
	global_load_dword v8, v[8:9], off offset:1024
.LBB66_13:
	s_or_b64 exec, exec, s[16:17]
	v_or_b32_e32 v9, 0x600, v0
	v_cmp_gt_u32_e64 s[16:17], s62, v9
	v_mov_b32_e32 v9, s3
	s_and_saveexec_b64 s[18:19], s[16:17]
	s_cbranch_execz .LBB66_15
; %bb.14:
	v_add_co_u32_e32 v10, vcc, 0x1000, v2
	s_nop 1
	v_addc_co_u32_e32 v11, vcc, 0, v3, vcc
	global_load_dword v9, v[10:11], off offset:2048
.LBB66_15:
	s_or_b64 exec, exec, s[18:19]
	v_or_b32_e32 v10, 0x700, v0
	v_cmp_gt_u32_e64 s[18:19], s62, v10
	v_mov_b32_e32 v10, s3
	s_and_saveexec_b64 s[20:21], s[18:19]
	s_cbranch_execz .LBB66_17
; %bb.16:
	v_add_co_u32_e32 v10, vcc, 0x1000, v2
	s_nop 1
	v_addc_co_u32_e32 v11, vcc, 0, v3, vcc
	global_load_dword v10, v[10:11], off offset:3072
.LBB66_17:
	s_or_b64 exec, exec, s[20:21]
	v_or_b32_e32 v11, 0x800, v0
	v_cmp_gt_u32_e64 s[20:21], s62, v11
	v_mov_b32_e32 v11, s3
	s_and_saveexec_b64 s[22:23], s[20:21]
	s_cbranch_execz .LBB66_19
; %bb.18:
	v_add_co_u32_e32 v12, vcc, 0x2000, v2
	s_nop 1
	v_addc_co_u32_e32 v13, vcc, 0, v3, vcc
	global_load_dword v11, v[12:13], off
.LBB66_19:
	s_or_b64 exec, exec, s[22:23]
	v_or_b32_e32 v12, 0x900, v0
	v_cmp_gt_u32_e64 s[22:23], s62, v12
	v_mov_b32_e32 v12, s3
	s_and_saveexec_b64 s[24:25], s[22:23]
	s_cbranch_execz .LBB66_21
; %bb.20:
	v_add_co_u32_e32 v12, vcc, 0x2000, v2
	s_nop 1
	v_addc_co_u32_e32 v13, vcc, 0, v3, vcc
	global_load_dword v12, v[12:13], off offset:1024
.LBB66_21:
	s_or_b64 exec, exec, s[24:25]
	v_or_b32_e32 v13, 0xa00, v0
	v_cmp_gt_u32_e64 s[24:25], s62, v13
	v_mov_b32_e32 v13, s3
	s_and_saveexec_b64 s[26:27], s[24:25]
	s_cbranch_execz .LBB66_23
; %bb.22:
	v_add_co_u32_e32 v14, vcc, 0x2000, v2
	s_nop 1
	v_addc_co_u32_e32 v15, vcc, 0, v3, vcc
	global_load_dword v13, v[14:15], off offset:2048
.LBB66_23:
	s_or_b64 exec, exec, s[26:27]
	v_or_b32_e32 v14, 0xb00, v0
	v_cmp_gt_u32_e64 s[26:27], s62, v14
	v_mov_b32_e32 v14, s3
	s_and_saveexec_b64 s[28:29], s[26:27]
	s_cbranch_execz .LBB66_25
; %bb.24:
	v_add_co_u32_e32 v14, vcc, 0x2000, v2
	s_nop 1
	v_addc_co_u32_e32 v15, vcc, 0, v3, vcc
	global_load_dword v14, v[14:15], off offset:3072
.LBB66_25:
	s_or_b64 exec, exec, s[28:29]
	v_or_b32_e32 v15, 0xc00, v0
	v_cmp_gt_u32_e64 s[28:29], s62, v15
	v_mov_b32_e32 v15, s3
	s_and_saveexec_b64 s[30:31], s[28:29]
	s_cbranch_execz .LBB66_27
; %bb.26:
	v_add_co_u32_e32 v16, vcc, 0x3000, v2
	s_nop 1
	v_addc_co_u32_e32 v17, vcc, 0, v3, vcc
	global_load_dword v15, v[16:17], off
.LBB66_27:
	s_or_b64 exec, exec, s[30:31]
	v_or_b32_e32 v16, 0xd00, v0
	v_cmp_gt_u32_e64 s[30:31], s62, v16
	v_mov_b32_e32 v16, s3
	s_and_saveexec_b64 s[34:35], s[30:31]
	s_cbranch_execz .LBB66_29
; %bb.28:
	v_add_co_u32_e32 v16, vcc, 0x3000, v2
	s_nop 1
	v_addc_co_u32_e32 v17, vcc, 0, v3, vcc
	global_load_dword v16, v[16:17], off offset:1024
.LBB66_29:
	s_or_b64 exec, exec, s[34:35]
	v_or_b32_e32 v17, 0xe00, v0
	v_cmp_gt_u32_e64 s[34:35], s62, v17
	v_mov_b32_e32 v17, s3
	s_and_saveexec_b64 s[36:37], s[34:35]
	s_cbranch_execz .LBB66_31
; %bb.30:
	v_add_co_u32_e32 v18, vcc, 0x3000, v2
	s_nop 1
	v_addc_co_u32_e32 v19, vcc, 0, v3, vcc
	global_load_dword v17, v[18:19], off offset:2048
.LBB66_31:
	s_or_b64 exec, exec, s[36:37]
	v_or_b32_e32 v18, 0xf00, v0
	v_cmp_gt_u32_e64 s[36:37], s62, v18
	v_mov_b32_e32 v18, s3
	s_and_saveexec_b64 s[38:39], s[36:37]
	s_cbranch_execz .LBB66_33
; %bb.32:
	v_add_co_u32_e32 v18, vcc, 0x3000, v2
	s_nop 1
	v_addc_co_u32_e32 v19, vcc, 0, v3, vcc
	global_load_dword v18, v[18:19], off offset:3072
.LBB66_33:
	s_or_b64 exec, exec, s[38:39]
	v_or_b32_e32 v19, 0x1000, v0
	v_cmp_gt_u32_e64 s[38:39], s62, v19
	v_mov_b32_e32 v19, s3
	s_and_saveexec_b64 s[40:41], s[38:39]
	s_cbranch_execz .LBB66_35
; %bb.34:
	v_add_co_u32_e32 v20, vcc, 0x4000, v2
	s_nop 1
	v_addc_co_u32_e32 v21, vcc, 0, v3, vcc
	global_load_dword v19, v[20:21], off
.LBB66_35:
	s_or_b64 exec, exec, s[40:41]
	v_or_b32_e32 v20, 0x1100, v0
	v_cmp_gt_u32_e64 s[40:41], s62, v20
	v_mov_b32_e32 v20, s3
	s_and_saveexec_b64 s[42:43], s[40:41]
	s_cbranch_execz .LBB66_37
; %bb.36:
	v_add_co_u32_e32 v20, vcc, 0x4000, v2
	s_nop 1
	v_addc_co_u32_e32 v21, vcc, 0, v3, vcc
	global_load_dword v20, v[20:21], off offset:1024
.LBB66_37:
	s_or_b64 exec, exec, s[42:43]
	v_or_b32_e32 v21, 0x1200, v0
	v_cmp_gt_u32_e64 s[42:43], s62, v21
	v_mov_b32_e32 v21, s3
	s_and_saveexec_b64 s[44:45], s[42:43]
	s_cbranch_execz .LBB66_39
; %bb.38:
	v_add_co_u32_e32 v22, vcc, 0x4000, v2
	s_nop 1
	v_addc_co_u32_e32 v23, vcc, 0, v3, vcc
	global_load_dword v21, v[22:23], off offset:2048
.LBB66_39:
	s_or_b64 exec, exec, s[44:45]
	v_or_b32_e32 v22, 0x1300, v0
	v_cmp_gt_u32_e64 s[44:45], s62, v22
	v_mov_b32_e32 v22, s3
	s_and_saveexec_b64 s[46:47], s[44:45]
	s_cbranch_execz .LBB66_41
; %bb.40:
	v_add_co_u32_e32 v22, vcc, 0x4000, v2
	s_nop 1
	v_addc_co_u32_e32 v23, vcc, 0, v3, vcc
	global_load_dword v22, v[22:23], off offset:3072
.LBB66_41:
	s_or_b64 exec, exec, s[46:47]
	v_or_b32_e32 v23, 0x1400, v0
	v_cmp_gt_u32_e64 s[46:47], s62, v23
	v_mov_b32_e32 v23, s3
	s_and_saveexec_b64 s[50:51], s[46:47]
	s_cbranch_execz .LBB66_43
; %bb.42:
	v_add_co_u32_e32 v2, vcc, 0x5000, v2
	s_nop 1
	v_addc_co_u32_e32 v3, vcc, 0, v3, vcc
	global_load_dword v23, v[2:3], off
.LBB66_43:
	s_or_b64 exec, exec, s[50:51]
	s_sub_u32 s50, 0, s2
	s_subb_u32 s51, 0, 0
	s_cmp_eq_u64 s[50:51], s[48:49]
	s_movk_i32 s3, 0x50
	s_cselect_b32 s50, 0, -4
	v_mad_u32_u24 v2, v0, s3, v82
	s_cselect_b32 s3, 0, -1
	s_add_u32 s50, s54, s50
	s_addc_u32 s51, s55, s3
	s_waitcnt vmcnt(0)
	ds_write2st64_b32 v82, v1, v4 offset1:4
	ds_write2st64_b32 v82, v5, v6 offset0:8 offset1:12
	ds_write2st64_b32 v82, v7, v8 offset0:16 offset1:20
	;; [unrolled: 1-line block ×9, first 2 shown]
	ds_write_b32 v82, v23 offset:20480
	s_waitcnt lgkmcnt(0)
	s_barrier
	s_load_dword s3, s[50:51], 0x0
	ds_read2_b32 v[32:33], v2 offset0:4 offset1:9
	s_movk_i32 s50, 0xffb0
	v_mad_i32_i24 v1, v0, s50, v2
	v_cmp_ne_u32_e32 vcc, 0, v0
	s_waitcnt lgkmcnt(0)
	v_mov_b32_e32 v68, s3
	ds_read2_b32 v[4:5], v2 offset0:19 offset1:20
	ds_read2_b32 v[8:9], v2 offset0:17 offset1:18
	;; [unrolled: 1-line block ×3, first 2 shown]
	ds_read_b32 v72, v2 offset:56
	ds_read2_b32 v[20:21], v2 offset0:12 offset1:13
	ds_read2_b32 v[24:25], v2 offset0:10 offset1:11
	;; [unrolled: 1-line block ×5, first 2 shown]
	ds_read2_b32 v[36:37], v2 offset1:1
	s_waitcnt lgkmcnt(9)
	ds_write_b32 v1, v5 offset:21504
	s_waitcnt lgkmcnt(0)
	s_barrier
	s_and_saveexec_b64 s[50:51], vcc
	s_cbranch_execz .LBB66_45
; %bb.44:
	ds_read_b32 v68, v1 offset:21500
.LBB66_45:
	s_or_b64 exec, exec, s[50:51]
	v_lshlrev_b32_e32 v2, 3, v0
	v_mov_b32_e32 v3, 0
	v_lshl_add_u64 v[6:7], s[52:53], 0, v[2:3]
	s_waitcnt lgkmcnt(0)
	s_barrier
	s_waitcnt lgkmcnt(0)
                                        ; implicit-def: $vgpr2_vgpr3
	s_and_saveexec_b64 s[50:51], s[4:5]
	s_cbranch_execz .LBB66_66
; %bb.46:
	global_load_dwordx2 v[2:3], v[6:7], off
	s_or_b64 exec, exec, s[50:51]
                                        ; implicit-def: $vgpr10_vgpr11
	s_and_saveexec_b64 s[4:5], s[8:9]
	s_cbranch_execnz .LBB66_67
.LBB66_47:
	s_or_b64 exec, exec, s[4:5]
                                        ; implicit-def: $vgpr14_vgpr15
	s_and_saveexec_b64 s[4:5], s[14:15]
	s_cbranch_execz .LBB66_68
.LBB66_48:
	v_add_co_u32_e32 v14, vcc, 0x1000, v6
	s_nop 1
	v_addc_co_u32_e32 v15, vcc, 0, v7, vcc
	global_load_dwordx2 v[14:15], v[14:15], off
	s_or_b64 exec, exec, s[4:5]
                                        ; implicit-def: $vgpr16_vgpr17
	s_and_saveexec_b64 s[4:5], s[10:11]
	s_cbranch_execnz .LBB66_69
.LBB66_49:
	s_or_b64 exec, exec, s[4:5]
                                        ; implicit-def: $vgpr18_vgpr19
	s_and_saveexec_b64 s[4:5], s[6:7]
	s_cbranch_execz .LBB66_70
.LBB66_50:
	v_add_co_u32_e32 v18, vcc, 0x2000, v6
	s_nop 1
	v_addc_co_u32_e32 v19, vcc, 0, v7, vcc
	global_load_dwordx2 v[18:19], v[18:19], off
	s_or_b64 exec, exec, s[4:5]
                                        ; implicit-def: $vgpr22_vgpr23
	s_and_saveexec_b64 s[4:5], s[12:13]
	s_cbranch_execnz .LBB66_71
.LBB66_51:
	s_or_b64 exec, exec, s[4:5]
                                        ; implicit-def: $vgpr26_vgpr27
	s_and_saveexec_b64 s[4:5], s[16:17]
	s_cbranch_execz .LBB66_72
.LBB66_52:
	v_add_co_u32_e32 v26, vcc, 0x3000, v6
	s_nop 1
	v_addc_co_u32_e32 v27, vcc, 0, v7, vcc
	global_load_dwordx2 v[26:27], v[26:27], off
	s_or_b64 exec, exec, s[4:5]
                                        ; implicit-def: $vgpr30_vgpr31
	s_and_saveexec_b64 s[4:5], s[18:19]
	s_cbranch_execnz .LBB66_73
.LBB66_53:
	s_or_b64 exec, exec, s[4:5]
                                        ; implicit-def: $vgpr34_vgpr35
	s_and_saveexec_b64 s[4:5], s[20:21]
	s_cbranch_execz .LBB66_74
.LBB66_54:
	v_add_co_u32_e32 v34, vcc, 0x4000, v6
	s_nop 1
	v_addc_co_u32_e32 v35, vcc, 0, v7, vcc
	global_load_dwordx2 v[34:35], v[34:35], off
	s_or_b64 exec, exec, s[4:5]
                                        ; implicit-def: $vgpr38_vgpr39
	s_and_saveexec_b64 s[4:5], s[22:23]
	s_cbranch_execnz .LBB66_75
.LBB66_55:
	s_or_b64 exec, exec, s[4:5]
                                        ; implicit-def: $vgpr42_vgpr43
	s_and_saveexec_b64 s[4:5], s[24:25]
	s_cbranch_execz .LBB66_76
.LBB66_56:
	v_add_co_u32_e32 v42, vcc, 0x5000, v6
	s_nop 1
	v_addc_co_u32_e32 v43, vcc, 0, v7, vcc
	global_load_dwordx2 v[42:43], v[42:43], off
	s_or_b64 exec, exec, s[4:5]
                                        ; implicit-def: $vgpr46_vgpr47
	s_and_saveexec_b64 s[4:5], s[26:27]
	s_cbranch_execnz .LBB66_77
.LBB66_57:
	s_or_b64 exec, exec, s[4:5]
                                        ; implicit-def: $vgpr48_vgpr49
	s_and_saveexec_b64 s[4:5], s[28:29]
	s_cbranch_execz .LBB66_78
.LBB66_58:
	v_add_co_u32_e32 v48, vcc, 0x6000, v6
	s_nop 1
	v_addc_co_u32_e32 v49, vcc, 0, v7, vcc
	global_load_dwordx2 v[48:49], v[48:49], off
	s_or_b64 exec, exec, s[4:5]
                                        ; implicit-def: $vgpr50_vgpr51
	s_and_saveexec_b64 s[4:5], s[30:31]
	s_cbranch_execnz .LBB66_79
.LBB66_59:
	s_or_b64 exec, exec, s[4:5]
                                        ; implicit-def: $vgpr52_vgpr53
	s_and_saveexec_b64 s[4:5], s[34:35]
	s_cbranch_execz .LBB66_80
.LBB66_60:
	v_add_co_u32_e32 v52, vcc, 0x7000, v6
	s_nop 1
	v_addc_co_u32_e32 v53, vcc, 0, v7, vcc
	global_load_dwordx2 v[52:53], v[52:53], off
	s_or_b64 exec, exec, s[4:5]
                                        ; implicit-def: $vgpr54_vgpr55
	s_and_saveexec_b64 s[4:5], s[36:37]
	s_cbranch_execnz .LBB66_81
.LBB66_61:
	s_or_b64 exec, exec, s[4:5]
                                        ; implicit-def: $vgpr56_vgpr57
	s_and_saveexec_b64 s[4:5], s[38:39]
	s_cbranch_execz .LBB66_82
.LBB66_62:
	v_add_co_u32_e32 v56, vcc, 0x8000, v6
	s_nop 1
	v_addc_co_u32_e32 v57, vcc, 0, v7, vcc
	global_load_dwordx2 v[56:57], v[56:57], off
	s_or_b64 exec, exec, s[4:5]
                                        ; implicit-def: $vgpr58_vgpr59
	s_and_saveexec_b64 s[4:5], s[40:41]
	s_cbranch_execnz .LBB66_83
.LBB66_63:
	s_or_b64 exec, exec, s[4:5]
                                        ; implicit-def: $vgpr60_vgpr61
	s_and_saveexec_b64 s[4:5], s[42:43]
	s_cbranch_execz .LBB66_84
.LBB66_64:
	v_add_co_u32_e32 v60, vcc, 0x9000, v6
	s_nop 1
	v_addc_co_u32_e32 v61, vcc, 0, v7, vcc
	global_load_dwordx2 v[60:61], v[60:61], off
	s_or_b64 exec, exec, s[4:5]
                                        ; implicit-def: $vgpr62_vgpr63
	s_and_saveexec_b64 s[4:5], s[44:45]
	s_cbranch_execz .LBB66_86
	s_branch .LBB66_85
.LBB66_65:
	s_mov_b64 s[8:9], 0
                                        ; implicit-def: $sgpr6_sgpr7
                                        ; implicit-def: $vgpr84
                                        ; implicit-def: $vgpr83
                                        ; implicit-def: $vgpr85
                                        ; implicit-def: $vgpr86
                                        ; implicit-def: $vgpr12_vgpr13
                                        ; implicit-def: $vgpr2_vgpr3
                                        ; implicit-def: $vgpr72_vgpr73
                                        ; implicit-def: $vgpr64_vgpr65
                                        ; implicit-def: $vgpr124
                                        ; implicit-def: $vgpr56_vgpr57
                                        ; implicit-def: $vgpr48_vgpr49
                                        ; implicit-def: $vgpr40_vgpr41
                                        ; implicit-def: $vgpr126
                                        ; implicit-def: $vgpr32_vgpr33
                                        ; implicit-def: $vgpr24_vgpr25
                                        ; implicit-def: $vgpr125
                                        ; implicit-def: $vgpr20_vgpr21
                                        ; implicit-def: $vgpr8_vgpr9
                                        ; implicit-def: $vgpr1
                                        ; implicit-def: $vgpr130
                                        ; implicit-def: $vgpr129
                                        ; implicit-def: $vgpr128
                                        ; implicit-def: $vgpr127
                                        ; implicit-def: $sgpr3
                                        ; implicit-def: $sgpr12_sgpr13
                                        ; implicit-def: $vgpr78_vgpr79
                                        ; implicit-def: $vgpr74_vgpr75
                                        ; implicit-def: $vgpr66_vgpr67
                                        ; implicit-def: $vgpr58_vgpr59
                                        ; implicit-def: $vgpr50_vgpr51
                                        ; implicit-def: $vgpr42_vgpr43
                                        ; implicit-def: $vgpr34_vgpr35
                                        ; implicit-def: $vgpr26_vgpr27
                                        ; implicit-def: $vgpr14_vgpr15
	s_and_b64 vcc, exec, s[10:11]
	v_cmp_ne_u32_e64 s[4:5], 0, v0
	s_cbranch_vccz .LBB66_132
	s_branch .LBB66_129
.LBB66_66:
	s_or_b64 exec, exec, s[50:51]
                                        ; implicit-def: $vgpr10_vgpr11
	s_and_saveexec_b64 s[4:5], s[8:9]
	s_cbranch_execz .LBB66_47
.LBB66_67:
	global_load_dwordx2 v[10:11], v[6:7], off offset:2048
	s_or_b64 exec, exec, s[4:5]
                                        ; implicit-def: $vgpr14_vgpr15
	s_and_saveexec_b64 s[4:5], s[14:15]
	s_cbranch_execnz .LBB66_48
.LBB66_68:
	s_or_b64 exec, exec, s[4:5]
                                        ; implicit-def: $vgpr16_vgpr17
	s_and_saveexec_b64 s[4:5], s[10:11]
	s_cbranch_execz .LBB66_49
.LBB66_69:
	v_add_co_u32_e32 v16, vcc, 0x1000, v6
	s_nop 1
	v_addc_co_u32_e32 v17, vcc, 0, v7, vcc
	global_load_dwordx2 v[16:17], v[16:17], off offset:2048
	s_or_b64 exec, exec, s[4:5]
                                        ; implicit-def: $vgpr18_vgpr19
	s_and_saveexec_b64 s[4:5], s[6:7]
	s_cbranch_execnz .LBB66_50
.LBB66_70:
	s_or_b64 exec, exec, s[4:5]
                                        ; implicit-def: $vgpr22_vgpr23
	s_and_saveexec_b64 s[4:5], s[12:13]
	s_cbranch_execz .LBB66_51
.LBB66_71:
	v_add_co_u32_e32 v22, vcc, 0x2000, v6
	s_nop 1
	v_addc_co_u32_e32 v23, vcc, 0, v7, vcc
	global_load_dwordx2 v[22:23], v[22:23], off offset:2048
	s_or_b64 exec, exec, s[4:5]
                                        ; implicit-def: $vgpr26_vgpr27
	s_and_saveexec_b64 s[4:5], s[16:17]
	s_cbranch_execnz .LBB66_52
.LBB66_72:
	s_or_b64 exec, exec, s[4:5]
                                        ; implicit-def: $vgpr30_vgpr31
	s_and_saveexec_b64 s[4:5], s[18:19]
	s_cbranch_execz .LBB66_53
.LBB66_73:
	v_add_co_u32_e32 v30, vcc, 0x3000, v6
	s_nop 1
	v_addc_co_u32_e32 v31, vcc, 0, v7, vcc
	global_load_dwordx2 v[30:31], v[30:31], off offset:2048
	s_or_b64 exec, exec, s[4:5]
                                        ; implicit-def: $vgpr34_vgpr35
	s_and_saveexec_b64 s[4:5], s[20:21]
	s_cbranch_execnz .LBB66_54
.LBB66_74:
	s_or_b64 exec, exec, s[4:5]
                                        ; implicit-def: $vgpr38_vgpr39
	s_and_saveexec_b64 s[4:5], s[22:23]
	s_cbranch_execz .LBB66_55
.LBB66_75:
	v_add_co_u32_e32 v38, vcc, 0x4000, v6
	s_nop 1
	v_addc_co_u32_e32 v39, vcc, 0, v7, vcc
	global_load_dwordx2 v[38:39], v[38:39], off offset:2048
	s_or_b64 exec, exec, s[4:5]
                                        ; implicit-def: $vgpr42_vgpr43
	s_and_saveexec_b64 s[4:5], s[24:25]
	s_cbranch_execnz .LBB66_56
.LBB66_76:
	s_or_b64 exec, exec, s[4:5]
                                        ; implicit-def: $vgpr46_vgpr47
	s_and_saveexec_b64 s[4:5], s[26:27]
	s_cbranch_execz .LBB66_57
.LBB66_77:
	v_add_co_u32_e32 v46, vcc, 0x5000, v6
	s_nop 1
	v_addc_co_u32_e32 v47, vcc, 0, v7, vcc
	global_load_dwordx2 v[46:47], v[46:47], off offset:2048
	s_or_b64 exec, exec, s[4:5]
                                        ; implicit-def: $vgpr48_vgpr49
	s_and_saveexec_b64 s[4:5], s[28:29]
	s_cbranch_execnz .LBB66_58
.LBB66_78:
	s_or_b64 exec, exec, s[4:5]
                                        ; implicit-def: $vgpr50_vgpr51
	s_and_saveexec_b64 s[4:5], s[30:31]
	s_cbranch_execz .LBB66_59
.LBB66_79:
	v_add_co_u32_e32 v50, vcc, 0x6000, v6
	s_nop 1
	v_addc_co_u32_e32 v51, vcc, 0, v7, vcc
	global_load_dwordx2 v[50:51], v[50:51], off offset:2048
	s_or_b64 exec, exec, s[4:5]
                                        ; implicit-def: $vgpr52_vgpr53
	s_and_saveexec_b64 s[4:5], s[34:35]
	s_cbranch_execnz .LBB66_60
.LBB66_80:
	s_or_b64 exec, exec, s[4:5]
                                        ; implicit-def: $vgpr54_vgpr55
	s_and_saveexec_b64 s[4:5], s[36:37]
	s_cbranch_execz .LBB66_61
.LBB66_81:
	v_add_co_u32_e32 v54, vcc, 0x7000, v6
	s_nop 1
	v_addc_co_u32_e32 v55, vcc, 0, v7, vcc
	global_load_dwordx2 v[54:55], v[54:55], off offset:2048
	s_or_b64 exec, exec, s[4:5]
                                        ; implicit-def: $vgpr56_vgpr57
	s_and_saveexec_b64 s[4:5], s[38:39]
	s_cbranch_execnz .LBB66_62
.LBB66_82:
	s_or_b64 exec, exec, s[4:5]
                                        ; implicit-def: $vgpr58_vgpr59
	s_and_saveexec_b64 s[4:5], s[40:41]
	s_cbranch_execz .LBB66_63
.LBB66_83:
	v_add_co_u32_e32 v58, vcc, 0x8000, v6
	s_nop 1
	v_addc_co_u32_e32 v59, vcc, 0, v7, vcc
	global_load_dwordx2 v[58:59], v[58:59], off offset:2048
	s_or_b64 exec, exec, s[4:5]
                                        ; implicit-def: $vgpr60_vgpr61
	s_and_saveexec_b64 s[4:5], s[42:43]
	s_cbranch_execnz .LBB66_64
.LBB66_84:
	s_or_b64 exec, exec, s[4:5]
                                        ; implicit-def: $vgpr62_vgpr63
	s_and_saveexec_b64 s[4:5], s[44:45]
	s_cbranch_execz .LBB66_86
.LBB66_85:
	v_add_co_u32_e32 v62, vcc, 0x9000, v6
	s_nop 1
	v_addc_co_u32_e32 v63, vcc, 0, v7, vcc
	global_load_dwordx2 v[62:63], v[62:63], off offset:2048
.LBB66_86:
	s_or_b64 exec, exec, s[4:5]
	v_mul_u32_u24_e32 v73, 21, v0
                                        ; implicit-def: $vgpr64_vgpr65
	s_and_saveexec_b64 s[4:5], s[46:47]
	s_cbranch_execz .LBB66_88
; %bb.87:
	v_add_co_u32_e32 v6, vcc, 0xa000, v6
	s_nop 1
	v_addc_co_u32_e32 v7, vcc, 0, v7, vcc
	global_load_dwordx2 v[64:65], v[6:7], off
.LBB66_88:
	s_or_b64 exec, exec, s[4:5]
	v_lshl_add_u32 v69, v0, 2, v1
	s_waitcnt vmcnt(0)
	ds_write2st64_b64 v69, v[2:3], v[10:11] offset1:4
	ds_write2st64_b64 v69, v[14:15], v[16:17] offset0:8 offset1:12
	ds_write2st64_b64 v69, v[18:19], v[22:23] offset0:16 offset1:20
	;; [unrolled: 1-line block ×9, first 2 shown]
	ds_write_b64 v69, v[64:65] offset:40960
	v_mov_b64_e32 v[2:3], 0
	v_cmp_gt_u32_e32 vcc, s62, v73
	s_mov_b64 s[8:9], 0
	s_mov_b64 s[10:11], 0
	s_mov_b32 s3, 0
	v_mov_b32_e32 v130, 0
	v_mov_b32_e32 v124, 0
	;; [unrolled: 1-line block ×5, first 2 shown]
	v_mov_b64_e32 v[10:11], v[2:3]
	v_mov_b64_e32 v[70:71], v[2:3]
	;; [unrolled: 1-line block ×9, first 2 shown]
	v_mov_b32_e32 v126, 0
	v_mov_b64_e32 v[38:39], v[2:3]
	v_mov_b64_e32 v[50:51], v[2:3]
	;; [unrolled: 1-line block ×5, first 2 shown]
	v_mov_b32_e32 v125, 0
	v_mov_b64_e32 v[34:35], v[2:3]
	v_mov_b64_e32 v[18:19], v[2:3]
	;; [unrolled: 1-line block ×5, first 2 shown]
	v_mov_b32_e32 v1, 0
	s_waitcnt lgkmcnt(0)
	s_barrier
	s_waitcnt lgkmcnt(0)
                                        ; implicit-def: $sgpr6_sgpr7
                                        ; implicit-def: $vgpr84
                                        ; implicit-def: $vgpr83
                                        ; implicit-def: $vgpr85
                                        ; implicit-def: $vgpr86
	s_and_saveexec_b64 s[12:13], vcc
	s_cbranch_execz .LBB66_128
; %bb.89:
	s_movk_i32 s4, 0xa0
	v_mad_u32_u24 v2, v0, s4, v69
	ds_read_b64 v[2:3], v2
	v_cmp_ne_u32_e32 vcc, v68, v36
	v_add_u32_e32 v6, 1, v73
	v_mov_b64_e32 v[10:11], 0
	v_cndmask_b32_e64 v1, 0, 1, vcc
	v_cmp_gt_u32_e32 vcc, s62, v6
	s_mov_b64 s[4:5], 0
	s_mov_b64 s[18:19], 0
	v_mov_b32_e32 v130, 0
	v_mov_b32_e32 v124, 0
	;; [unrolled: 1-line block ×5, first 2 shown]
	v_mov_b64_e32 v[70:71], v[10:11]
	v_mov_b64_e32 v[78:79], v[10:11]
	;; [unrolled: 1-line block ×8, first 2 shown]
	v_mov_b32_e32 v126, 0
	v_mov_b64_e32 v[38:39], v[10:11]
	v_mov_b64_e32 v[50:51], v[10:11]
	;; [unrolled: 1-line block ×5, first 2 shown]
	v_mov_b32_e32 v125, 0
	v_mov_b64_e32 v[34:35], v[10:11]
	v_mov_b64_e32 v[18:19], v[10:11]
	;; [unrolled: 1-line block ×5, first 2 shown]
                                        ; implicit-def: $sgpr6_sgpr7
                                        ; implicit-def: $vgpr84
                                        ; implicit-def: $vgpr83
                                        ; implicit-def: $vgpr85
                                        ; implicit-def: $vgpr86
	s_and_saveexec_b64 s[14:15], vcc
	s_cbranch_execz .LBB66_127
; %bb.90:
	v_mul_u32_u24_e32 v6, 0xa0, v0
	v_add_u32_e32 v48, v69, v6
	ds_read2_b64 v[14:17], v48 offset0:1 offset1:2
	v_add_u32_e32 v6, 2, v73
	v_cmp_ne_u32_e64 s[8:9], v36, v37
	v_mov_b64_e32 v[10:11], 0
	v_cmp_ne_u32_e32 vcc, v28, v29
	v_cmp_ne_u32_e64 s[4:5], v29, v32
	v_cmp_ne_u32_e64 s[6:7], v37, v28
	v_cndmask_b32_e64 v130, 0, 1, s[8:9]
	v_cmp_gt_u32_e64 s[8:9], s62, v6
	s_mov_b64 s[20:21], 0
	v_mov_b32_e32 v129, 0
	v_mov_b32_e32 v124, 0
	;; [unrolled: 1-line block ×4, first 2 shown]
	v_mov_b64_e32 v[70:71], v[10:11]
	v_mov_b64_e32 v[78:79], v[10:11]
	;; [unrolled: 1-line block ×8, first 2 shown]
	v_mov_b32_e32 v126, 0
	v_mov_b64_e32 v[38:39], v[10:11]
	v_mov_b64_e32 v[50:51], v[10:11]
	v_mov_b64_e32 v[30:31], v[10:11]
	v_mov_b64_e32 v[42:43], v[10:11]
	v_mov_b64_e32 v[22:23], v[10:11]
	v_mov_b32_e32 v125, 0
	v_mov_b64_e32 v[34:35], v[10:11]
	v_mov_b64_e32 v[18:19], v[10:11]
	;; [unrolled: 1-line block ×4, first 2 shown]
                                        ; implicit-def: $sgpr22_sgpr23
                                        ; implicit-def: $vgpr84
                                        ; implicit-def: $vgpr83
                                        ; implicit-def: $vgpr85
                                        ; implicit-def: $vgpr86
	s_and_saveexec_b64 s[16:17], s[8:9]
	s_cbranch_execz .LBB66_126
; %bb.91:
	v_cndmask_b32_e64 v6, 0, 1, s[6:7]
	v_cndmask_b32_e64 v7, 0, 1, s[4:5]
	v_lshlrev_b16_e32 v6, 8, v6
	v_lshlrev_b16_e32 v7, 8, v7
	v_cndmask_b32_e64 v10, 0, 1, vcc
	v_or_b32_e32 v6, v130, v6
	v_or_b32_sdwa v7, v10, v7 dst_sel:WORD_1 dst_unused:UNUSED_PAD src0_sel:DWORD src1_sel:DWORD
	v_add_u32_e32 v10, 3, v73
	v_or_b32_sdwa v84, v6, v7 dst_sel:DWORD dst_unused:UNUSED_PAD src0_sel:WORD_0 src1_sel:DWORD
	v_cmp_gt_u32_e32 vcc, s62, v10
	v_mov_b64_e32 v[10:11], 0
	v_and_b32_e32 v130, 0xffff, v84
	s_waitcnt lgkmcnt(0)
	v_mov_b32_e32 v6, v16
	v_mov_b32_e32 v7, v17
	s_mov_b64 s[4:5], 0
	v_mov_b32_e32 v129, 0
	v_mov_b32_e32 v124, 0
	;; [unrolled: 1-line block ×4, first 2 shown]
	v_mov_b64_e32 v[70:71], v[10:11]
	v_mov_b64_e32 v[78:79], v[10:11]
	;; [unrolled: 1-line block ×8, first 2 shown]
	v_mov_b32_e32 v126, 0
	v_mov_b64_e32 v[38:39], v[10:11]
	v_mov_b64_e32 v[50:51], v[10:11]
	;; [unrolled: 1-line block ×5, first 2 shown]
	v_mov_b32_e32 v125, 0
	v_mov_b64_e32 v[34:35], v[10:11]
	v_mov_b64_e32 v[18:19], v[10:11]
	;; [unrolled: 1-line block ×3, first 2 shown]
                                        ; implicit-def: $sgpr6_sgpr7
                                        ; implicit-def: $vgpr83
                                        ; implicit-def: $vgpr85
                                        ; implicit-def: $vgpr86
	s_and_saveexec_b64 s[18:19], vcc
	s_cbranch_execz .LBB66_125
; %bb.92:
	ds_read2_b64 v[26:29], v48 offset0:3 offset1:4
	v_add_u32_e32 v10, 4, v73
	v_cmp_gt_u32_e32 vcc, s62, v10
	v_mov_b64_e32 v[10:11], 0
	v_and_b32_e32 v130, 0xffffff, v84
	s_mov_b64 s[6:7], 0
	v_mov_b32_e32 v129, 0
	v_mov_b32_e32 v124, 0
	;; [unrolled: 1-line block ×4, first 2 shown]
	v_mov_b64_e32 v[70:71], v[10:11]
	v_mov_b64_e32 v[78:79], v[10:11]
	;; [unrolled: 1-line block ×8, first 2 shown]
	v_mov_b32_e32 v126, 0
	v_mov_b64_e32 v[38:39], v[10:11]
	v_mov_b64_e32 v[50:51], v[10:11]
	;; [unrolled: 1-line block ×5, first 2 shown]
	v_mov_b32_e32 v125, 0
	v_mov_b64_e32 v[34:35], v[10:11]
	v_mov_b64_e32 v[18:19], v[10:11]
                                        ; implicit-def: $sgpr8_sgpr9
                                        ; implicit-def: $vgpr83
                                        ; implicit-def: $vgpr85
                                        ; implicit-def: $vgpr86
	s_and_saveexec_b64 s[20:21], vcc
	s_cbranch_execz .LBB66_124
; %bb.93:
	v_add_u32_e32 v10, 5, v73
	v_cmp_gt_u32_e32 vcc, s62, v10
	v_mov_b64_e32 v[10:11], 0
	s_waitcnt lgkmcnt(0)
	v_mov_b32_e32 v18, v28
	v_mov_b32_e32 v19, v29
	;; [unrolled: 1-line block ×6, first 2 shown]
	v_mov_b64_e32 v[70:71], v[10:11]
	v_mov_b64_e32 v[78:79], v[10:11]
	;; [unrolled: 1-line block ×8, first 2 shown]
	v_mov_b32_e32 v126, 0
	v_mov_b64_e32 v[38:39], v[10:11]
	v_mov_b64_e32 v[50:51], v[10:11]
	;; [unrolled: 1-line block ×5, first 2 shown]
	v_mov_b32_e32 v125, 0
	v_mov_b64_e32 v[34:35], v[10:11]
                                        ; implicit-def: $sgpr8_sgpr9
                                        ; implicit-def: $vgpr83
                                        ; implicit-def: $vgpr85
                                        ; implicit-def: $vgpr86
	s_and_saveexec_b64 s[22:23], vcc
	s_cbranch_execz .LBB66_123
; %bb.94:
	ds_read2_b64 v[34:37], v48 offset0:5 offset1:6
	v_add_u32_e32 v10, 6, v73
	v_cmp_ne_u32_e32 vcc, v32, v44
	s_mov_b64 s[28:29], 0
	v_mov_b32_e32 v129, 0
	v_cndmask_b32_e64 v125, 0, 1, vcc
	v_cmp_gt_u32_e32 vcc, s62, v10
	v_mov_b64_e32 v[10:11], 0
	v_mov_b32_e32 v124, 0
	v_mov_b32_e32 v128, 0
	;; [unrolled: 1-line block ×3, first 2 shown]
	v_mov_b64_e32 v[70:71], v[10:11]
	v_mov_b64_e32 v[78:79], v[10:11]
	;; [unrolled: 1-line block ×8, first 2 shown]
	v_mov_b32_e32 v126, 0
	v_mov_b64_e32 v[38:39], v[10:11]
	v_mov_b64_e32 v[50:51], v[10:11]
	;; [unrolled: 1-line block ×5, first 2 shown]
                                        ; implicit-def: $sgpr6_sgpr7
                                        ; implicit-def: $vgpr83
                                        ; implicit-def: $vgpr85
                                        ; implicit-def: $vgpr86
	s_and_saveexec_b64 s[24:25], vcc
	s_cbranch_execz .LBB66_122
; %bb.95:
	v_add_u32_e32 v10, 7, v73
	v_cmp_ne_u32_e64 s[8:9], v44, v45
	s_waitcnt lgkmcnt(0)
	v_mov_b32_e32 v22, v36
	v_mov_b32_e32 v23, v37
	v_cndmask_b32_e64 v129, 0, 1, s[8:9]
	v_cmp_gt_u32_e64 s[8:9], s62, v10
	v_mov_b64_e32 v[10:11], 0
	v_cmp_ne_u32_e32 vcc, v40, v41
	v_cmp_ne_u32_e64 s[4:5], v41, v33
	v_cmp_ne_u32_e64 s[6:7], v45, v40
	s_mov_b64 s[30:31], 0
	v_mov_b32_e32 v128, 0
	v_mov_b32_e32 v124, 0
	;; [unrolled: 1-line block ×3, first 2 shown]
	v_mov_b64_e32 v[70:71], v[10:11]
	v_mov_b64_e32 v[78:79], v[10:11]
	;; [unrolled: 1-line block ×8, first 2 shown]
	v_mov_b32_e32 v126, 0
	v_mov_b64_e32 v[38:39], v[10:11]
	v_mov_b64_e32 v[50:51], v[10:11]
	;; [unrolled: 1-line block ×4, first 2 shown]
                                        ; implicit-def: $sgpr34_sgpr35
                                        ; implicit-def: $vgpr83
                                        ; implicit-def: $vgpr85
                                        ; implicit-def: $vgpr86
	s_and_saveexec_b64 s[26:27], s[8:9]
	s_cbranch_execz .LBB66_121
; %bb.96:
	v_cndmask_b32_e64 v10, 0, 1, s[6:7]
	v_cndmask_b32_e64 v11, 0, 1, s[4:5]
	v_lshlrev_b16_e32 v10, 8, v10
	v_lshlrev_b16_e32 v11, 8, v11
	v_cndmask_b32_e64 v16, 0, 1, vcc
	ds_read2_b64 v[42:45], v48 offset0:7 offset1:8
	v_or_b32_e32 v10, v129, v10
	v_or_b32_sdwa v11, v16, v11 dst_sel:WORD_1 dst_unused:UNUSED_PAD src0_sel:DWORD src1_sel:DWORD
	s_mov_b64 s[4:5], 0
	v_or_b32_sdwa v83, v10, v11 dst_sel:DWORD dst_unused:UNUSED_PAD src0_sel:WORD_0 src1_sel:DWORD
	v_add_u32_e32 v10, 8, v73
	v_cmp_gt_u32_e32 vcc, s62, v10
	v_mov_b64_e32 v[10:11], 0
	v_and_b32_e32 v129, 0xffff, v83
	v_mov_b32_e32 v128, 0
	v_mov_b32_e32 v124, 0
	;; [unrolled: 1-line block ×3, first 2 shown]
	v_mov_b64_e32 v[70:71], v[10:11]
	v_mov_b64_e32 v[78:79], v[10:11]
	;; [unrolled: 1-line block ×8, first 2 shown]
	v_mov_b32_e32 v126, 0
	v_mov_b64_e32 v[38:39], v[10:11]
	v_mov_b64_e32 v[50:51], v[10:11]
	;; [unrolled: 1-line block ×3, first 2 shown]
                                        ; implicit-def: $sgpr6_sgpr7
                                        ; implicit-def: $vgpr85
                                        ; implicit-def: $vgpr86
	s_and_saveexec_b64 s[28:29], vcc
	s_cbranch_execz .LBB66_120
; %bb.97:
	v_add_u32_e32 v10, 9, v73
	v_cmp_gt_u32_e32 vcc, s62, v10
	v_mov_b64_e32 v[10:11], 0
	s_waitcnt lgkmcnt(0)
	v_mov_b32_e32 v30, v44
	v_mov_b32_e32 v31, v45
	v_and_b32_e32 v129, 0xffffff, v83
	s_mov_b64 s[6:7], 0
	v_mov_b32_e32 v128, 0
	v_mov_b32_e32 v124, 0
	;; [unrolled: 1-line block ×3, first 2 shown]
	v_mov_b64_e32 v[70:71], v[10:11]
	v_mov_b64_e32 v[78:79], v[10:11]
	v_mov_b64_e32 v[62:63], v[10:11]
	v_mov_b64_e32 v[74:75], v[10:11]
	v_mov_b64_e32 v[54:55], v[10:11]
	v_mov_b64_e32 v[66:67], v[10:11]
	v_mov_b64_e32 v[46:47], v[10:11]
	v_mov_b64_e32 v[58:59], v[10:11]
	v_mov_b32_e32 v126, 0
	v_mov_b64_e32 v[38:39], v[10:11]
	v_mov_b64_e32 v[50:51], v[10:11]
                                        ; implicit-def: $sgpr8_sgpr9
                                        ; implicit-def: $vgpr85
                                        ; implicit-def: $vgpr86
	s_and_saveexec_b64 s[30:31], vcc
	s_cbranch_execz .LBB66_119
; %bb.98:
	ds_read2_b64 v[50:53], v48 offset0:9 offset1:10
	v_add_u32_e32 v10, 10, v73
	v_cmp_gt_u32_e32 vcc, s62, v10
	v_mov_b64_e32 v[10:11], 0
	v_mov_b32_e32 v128, 0
	v_mov_b32_e32 v124, 0
	;; [unrolled: 1-line block ×3, first 2 shown]
	v_mov_b64_e32 v[70:71], v[10:11]
	v_mov_b64_e32 v[78:79], v[10:11]
	;; [unrolled: 1-line block ×8, first 2 shown]
	v_mov_b32_e32 v126, 0
	v_mov_b64_e32 v[38:39], v[10:11]
                                        ; implicit-def: $sgpr8_sgpr9
                                        ; implicit-def: $vgpr85
                                        ; implicit-def: $vgpr86
	s_and_saveexec_b64 s[34:35], vcc
	s_cbranch_execz .LBB66_118
; %bb.99:
	v_add_u32_e32 v10, 11, v73
	v_cmp_ne_u32_e32 vcc, v33, v24
	s_waitcnt lgkmcnt(0)
	v_mov_b32_e32 v38, v52
	v_mov_b32_e32 v39, v53
	v_cndmask_b32_e64 v126, 0, 1, vcc
	v_cmp_gt_u32_e32 vcc, s62, v10
	v_mov_b64_e32 v[10:11], 0
	s_mov_b64 s[40:41], 0
	v_mov_b32_e32 v128, 0
	v_mov_b32_e32 v124, 0
	;; [unrolled: 1-line block ×3, first 2 shown]
	v_mov_b64_e32 v[70:71], v[10:11]
	v_mov_b64_e32 v[78:79], v[10:11]
	;; [unrolled: 1-line block ×8, first 2 shown]
                                        ; implicit-def: $sgpr6_sgpr7
                                        ; implicit-def: $vgpr85
                                        ; implicit-def: $vgpr86
	s_and_saveexec_b64 s[36:37], vcc
	s_cbranch_execz .LBB66_117
; %bb.100:
	ds_read2_b64 v[58:61], v48 offset0:11 offset1:12
	v_add_u32_e32 v10, 12, v73
	v_cmp_ne_u32_e64 s[8:9], v24, v25
	v_cmp_ne_u32_e32 vcc, v20, v21
	v_cmp_ne_u32_e64 s[4:5], v21, v72
	v_cndmask_b32_e64 v128, 0, 1, s[8:9]
	v_cmp_gt_u32_e64 s[8:9], s62, v10
	v_mov_b64_e32 v[10:11], 0
	v_cmp_ne_u32_e64 s[6:7], v25, v20
	s_mov_b64 s[42:43], 0
	v_mov_b32_e32 v127, 0
	v_mov_b32_e32 v124, 0
	v_mov_b64_e32 v[70:71], v[10:11]
	v_mov_b64_e32 v[78:79], v[10:11]
	;; [unrolled: 1-line block ×7, first 2 shown]
                                        ; implicit-def: $sgpr44_sgpr45
                                        ; implicit-def: $vgpr85
                                        ; implicit-def: $vgpr86
	s_and_saveexec_b64 s[38:39], s[8:9]
	s_cbranch_execz .LBB66_116
; %bb.101:
	v_cndmask_b32_e64 v10, 0, 1, s[6:7]
	v_cndmask_b32_e64 v11, 0, 1, s[4:5]
	v_lshlrev_b16_e32 v10, 8, v10
	v_lshlrev_b16_e32 v11, 8, v11
	v_cndmask_b32_e64 v16, 0, 1, vcc
	v_or_b32_e32 v10, v128, v10
	v_or_b32_sdwa v11, v16, v11 dst_sel:WORD_1 dst_unused:UNUSED_PAD src0_sel:DWORD src1_sel:DWORD
	s_waitcnt lgkmcnt(0)
	v_mov_b32_e32 v46, v60
	v_or_b32_sdwa v85, v10, v11 dst_sel:DWORD dst_unused:UNUSED_PAD src0_sel:WORD_0 src1_sel:DWORD
	v_add_u32_e32 v10, 13, v73
	v_cmp_gt_u32_e32 vcc, s62, v10
	v_mov_b64_e32 v[10:11], 0
	v_and_b32_e32 v128, 0xffff, v85
	v_mov_b32_e32 v47, v61
	s_mov_b64 s[4:5], 0
	v_mov_b32_e32 v127, 0
	v_mov_b32_e32 v124, 0
	v_mov_b64_e32 v[70:71], v[10:11]
	v_mov_b64_e32 v[78:79], v[10:11]
	;; [unrolled: 1-line block ×6, first 2 shown]
                                        ; implicit-def: $sgpr6_sgpr7
                                        ; implicit-def: $vgpr86
	s_and_saveexec_b64 s[40:41], vcc
	s_cbranch_execz .LBB66_115
; %bb.102:
	ds_read2_b64 v[66:69], v48 offset0:13 offset1:14
	v_add_u32_e32 v10, 14, v73
	v_cmp_gt_u32_e32 vcc, s62, v10
	v_mov_b64_e32 v[10:11], 0
	v_and_b32_e32 v128, 0xffffff, v85
	s_mov_b64 s[6:7], 0
	v_mov_b32_e32 v127, 0
	v_mov_b32_e32 v124, 0
	v_mov_b64_e32 v[70:71], v[10:11]
	v_mov_b64_e32 v[78:79], v[10:11]
	v_mov_b64_e32 v[62:63], v[10:11]
	v_mov_b64_e32 v[74:75], v[10:11]
	v_mov_b64_e32 v[54:55], v[10:11]
                                        ; implicit-def: $sgpr8_sgpr9
                                        ; implicit-def: $vgpr86
	s_and_saveexec_b64 s[42:43], vcc
	s_cbranch_execz .LBB66_114
; %bb.103:
	v_add_u32_e32 v10, 15, v73
	v_cmp_gt_u32_e32 vcc, s62, v10
	v_mov_b64_e32 v[10:11], 0
	s_waitcnt lgkmcnt(0)
	v_mov_b32_e32 v54, v68
	v_mov_b32_e32 v55, v69
	;; [unrolled: 1-line block ×4, first 2 shown]
	v_mov_b64_e32 v[70:71], v[10:11]
	v_mov_b64_e32 v[78:79], v[10:11]
	;; [unrolled: 1-line block ×4, first 2 shown]
                                        ; implicit-def: $sgpr8_sgpr9
                                        ; implicit-def: $vgpr86
	s_and_saveexec_b64 s[44:45], vcc
	s_cbranch_execz .LBB66_113
; %bb.104:
	ds_read2_b64 v[74:77], v48 offset0:15 offset1:16
	v_add_u32_e32 v10, 16, v73
	v_cmp_ne_u32_e32 vcc, v72, v12
	s_mov_b64 s[56:57], 0
	v_mov_b32_e32 v127, 0
	v_cndmask_b32_e64 v124, 0, 1, vcc
	v_cmp_gt_u32_e32 vcc, s62, v10
	v_mov_b64_e32 v[10:11], 0
	v_mov_b64_e32 v[70:71], v[10:11]
	;; [unrolled: 1-line block ×4, first 2 shown]
                                        ; implicit-def: $sgpr6_sgpr7
                                        ; implicit-def: $vgpr86
	s_and_saveexec_b64 s[46:47], vcc
	s_cbranch_execz .LBB66_112
; %bb.105:
	v_add_u32_e32 v10, 17, v73
	v_cmp_ne_u32_e64 s[8:9], v12, v13
	s_waitcnt lgkmcnt(0)
	v_mov_b32_e32 v62, v76
	v_mov_b32_e32 v63, v77
	v_cndmask_b32_e64 v127, 0, 1, s[8:9]
	v_cmp_gt_u32_e64 s[8:9], s62, v10
	v_mov_b64_e32 v[10:11], 0
	v_cmp_ne_u32_e32 vcc, v8, v9
	v_cmp_ne_u32_e64 s[4:5], v9, v4
	v_cmp_ne_u32_e64 s[6:7], v13, v8
	s_mov_b64 s[58:59], 0
	v_mov_b64_e32 v[70:71], v[10:11]
	v_mov_b64_e32 v[78:79], v[10:11]
                                        ; implicit-def: $sgpr60_sgpr61
                                        ; implicit-def: $vgpr86
	s_and_saveexec_b64 s[50:51], s[8:9]
	s_cbranch_execz .LBB66_111
; %bb.106:
	v_cndmask_b32_e64 v8, 0, 1, s[6:7]
	v_cndmask_b32_e64 v9, 0, 1, s[4:5]
	ds_read2_b64 v[78:81], v48 offset0:17 offset1:18
	v_lshlrev_b16_e32 v8, 8, v8
	v_lshlrev_b16_e32 v9, 8, v9
	v_cndmask_b32_e64 v10, 0, 1, vcc
	v_or_b32_e32 v8, v127, v8
	v_or_b32_sdwa v9, v10, v9 dst_sel:WORD_1 dst_unused:UNUSED_PAD src0_sel:DWORD src1_sel:DWORD
	v_mov_b64_e32 v[10:11], 0
	v_or_b32_sdwa v86, v8, v9 dst_sel:DWORD dst_unused:UNUSED_PAD src0_sel:WORD_0 src1_sel:DWORD
	v_add_u32_e32 v8, 18, v73
	v_and_b32_e32 v127, 0xffff, v86
	v_cmp_gt_u32_e32 vcc, s62, v8
	s_mov_b64 s[4:5], 0
	v_mov_b64_e32 v[70:71], v[10:11]
                                        ; implicit-def: $sgpr8_sgpr9
	s_and_saveexec_b64 s[6:7], vcc
	s_cbranch_execz .LBB66_110
; %bb.107:
	v_add_u32_e32 v8, 19, v73
	s_waitcnt lgkmcnt(0)
	v_mov_b32_e32 v70, v80
	v_mov_b32_e32 v71, v81
	v_cmp_gt_u32_e32 vcc, s62, v8
	v_and_b32_e32 v127, 0xffffff, v86
	v_mov_b64_e32 v[10:11], 0
                                        ; implicit-def: $sgpr8_sgpr9
	s_and_saveexec_b64 s[56:57], vcc
	s_xor_b64 s[56:57], exec, s[56:57]
	s_cbranch_execz .LBB66_109
; %bb.108:
	ds_read2_b64 v[10:13], v48 offset0:19 offset1:20
	v_add_u32_e32 v8, 20, v73
	v_cmp_ne_u32_e32 vcc, v4, v5
	v_cmp_gt_u32_e64 s[4:5], s62, v8
	s_and_b64 s[8:9], vcc, exec
	s_and_b64 s[4:5], s[4:5], exec
	s_waitcnt lgkmcnt(0)
	v_mov_b64_e32 v[72:73], v[10:11]
	v_mov_b32_e32 v127, v86
.LBB66_109:
	s_or_b64 exec, exec, s[56:57]
	s_and_b64 s[8:9], s[8:9], exec
	s_and_b64 s[58:59], s[4:5], exec
.LBB66_110:
	s_or_b64 exec, exec, s[6:7]
	s_and_b64 s[60:61], s[8:9], exec
	s_and_b64 s[56:57], s[58:59], exec
	s_waitcnt lgkmcnt(0)
	v_mov_b64_e32 v[64:65], v[78:79]
	v_mov_b64_e32 v[56:57], v[74:75]
	v_mov_b64_e32 v[48:49], v[66:67]
	v_mov_b64_e32 v[40:41], v[58:59]
	v_mov_b64_e32 v[32:33], v[50:51]
	v_mov_b64_e32 v[24:25], v[42:43]
	v_mov_b64_e32 v[20:21], v[34:35]
	v_mov_b64_e32 v[8:9], v[26:27]
	v_mov_b64_e32 v[4:5], v[14:15]
.LBB66_111:
	s_or_b64 exec, exec, s[50:51]
	s_and_b64 s[6:7], s[60:61], exec
	s_and_b64 s[4:5], s[56:57], exec
.LBB66_112:
	s_or_b64 exec, exec, s[46:47]
	s_and_b64 s[8:9], s[6:7], exec
	s_and_b64 s[6:7], s[4:5], exec
.LBB66_113:
	s_or_b64 exec, exec, s[44:45]
	s_and_b64 s[8:9], s[8:9], exec
	s_and_b64 s[4:5], s[6:7], exec
	v_mov_b32_e32 v128, v85
.LBB66_114:
	s_or_b64 exec, exec, s[42:43]
	s_and_b64 s[6:7], s[8:9], exec
	s_and_b64 s[42:43], s[4:5], exec
.LBB66_115:
	s_or_b64 exec, exec, s[40:41]
	s_and_b64 s[44:45], s[6:7], exec
	s_and_b64 s[40:41], s[42:43], exec
.LBB66_116:
	s_or_b64 exec, exec, s[38:39]
	s_and_b64 s[6:7], s[44:45], exec
	s_and_b64 s[4:5], s[40:41], exec
.LBB66_117:
	s_or_b64 exec, exec, s[36:37]
	s_and_b64 s[8:9], s[6:7], exec
	s_and_b64 s[6:7], s[4:5], exec
.LBB66_118:
	s_or_b64 exec, exec, s[34:35]
	s_and_b64 s[8:9], s[8:9], exec
	s_and_b64 s[4:5], s[6:7], exec
	v_mov_b32_e32 v129, v83
.LBB66_119:
	s_or_b64 exec, exec, s[30:31]
	s_and_b64 s[6:7], s[8:9], exec
	s_and_b64 s[30:31], s[4:5], exec
.LBB66_120:
	s_or_b64 exec, exec, s[28:29]
	s_and_b64 s[34:35], s[6:7], exec
	s_and_b64 s[28:29], s[30:31], exec
.LBB66_121:
	s_or_b64 exec, exec, s[26:27]
	s_and_b64 s[6:7], s[34:35], exec
	s_and_b64 s[4:5], s[28:29], exec
.LBB66_122:
	s_or_b64 exec, exec, s[24:25]
	s_and_b64 s[8:9], s[6:7], exec
	s_and_b64 s[6:7], s[4:5], exec
.LBB66_123:
	s_or_b64 exec, exec, s[22:23]
	s_and_b64 s[8:9], s[8:9], exec
	s_and_b64 s[4:5], s[6:7], exec
	v_mov_b32_e32 v130, v84
.LBB66_124:
	s_or_b64 exec, exec, s[20:21]
	s_and_b64 s[6:7], s[8:9], exec
	s_and_b64 s[20:21], s[4:5], exec
.LBB66_125:
	s_or_b64 exec, exec, s[18:19]
	s_and_b64 s[22:23], s[6:7], exec
	s_and_b64 s[18:19], s[20:21], exec
.LBB66_126:
	s_or_b64 exec, exec, s[16:17]
	s_and_b64 s[6:7], s[22:23], exec
	s_and_b64 s[4:5], s[18:19], exec
.LBB66_127:
	s_or_b64 exec, exec, s[14:15]
	s_and_b64 s[6:7], s[6:7], exec
	s_and_b64 s[8:9], s[4:5], exec
.LBB66_128:
	s_or_b64 exec, exec, s[12:13]
	s_mov_b64 s[12:13], 0
	s_and_b64 vcc, exec, s[10:11]
	v_cmp_ne_u32_e64 s[4:5], 0, v0
	s_cbranch_vccz .LBB66_132
.LBB66_129:
	v_mov_b32_e32 v83, 0
	s_waitcnt lgkmcnt(0)
	v_lshl_add_u64 v[2:3], s[54:55], 0, v[82:83]
	v_add_co_u32_e32 v4, vcc, 0x1000, v2
	global_load_dword v1, v82, s[54:55]
	global_load_dword v8, v82, s[54:55] offset:1024
	global_load_dword v9, v82, s[54:55] offset:2048
	;; [unrolled: 1-line block ×3, first 2 shown]
	v_addc_co_u32_e32 v5, vcc, 0, v3, vcc
	v_add_co_u32_e32 v6, vcc, 0x2000, v2
	s_movk_i32 s7, 0x50
	s_nop 0
	v_addc_co_u32_e32 v7, vcc, 0, v3, vcc
	global_load_dword v11, v[4:5], off
	global_load_dword v12, v[4:5], off offset:1024
	global_load_dword v13, v[4:5], off offset:2048
	;; [unrolled: 1-line block ×3, first 2 shown]
	global_load_dword v15, v[6:7], off
	global_load_dword v16, v[6:7], off offset:1024
	global_load_dword v17, v[6:7], off offset:2048
	;; [unrolled: 1-line block ×3, first 2 shown]
	v_add_co_u32_e32 v4, vcc, 0x3000, v2
	s_sub_u32 s6, 0, s2
	s_nop 0
	v_addc_co_u32_e32 v5, vcc, 0, v3, vcc
	v_add_co_u32_e32 v6, vcc, 0x4000, v2
	v_mad_u32_u24 v28, v0, s7, v82
	s_nop 0
	v_addc_co_u32_e32 v7, vcc, 0, v3, vcc
	global_load_dword v19, v[4:5], off
	global_load_dword v20, v[4:5], off offset:1024
	global_load_dword v21, v[4:5], off offset:2048
	;; [unrolled: 1-line block ×3, first 2 shown]
	global_load_dword v24, v[6:7], off
	global_load_dword v25, v[6:7], off offset:1024
	global_load_dword v26, v[6:7], off offset:2048
	;; [unrolled: 1-line block ×3, first 2 shown]
	v_add_co_u32_e32 v2, vcc, 0x5000, v2
	s_subb_u32 s7, 0, 0
	s_nop 0
	v_addc_co_u32_e32 v3, vcc, 0, v3, vcc
	global_load_dword v2, v[2:3], off
	s_cmp_eq_u64 s[6:7], s[48:49]
	s_cselect_b32 s6, 0, -4
	s_cselect_b32 s7, 0, -1
	s_add_u32 s6, s54, s6
	s_addc_u32 s7, s55, s7
	s_movk_i32 s12, 0xffb0
	s_movk_i32 s11, 0x1000
	;; [unrolled: 1-line block ×6, first 2 shown]
	v_mad_i32_i24 v22, v0, s12, v28
	s_waitcnt vmcnt(19)
	ds_write2st64_b32 v82, v1, v8 offset1:4
	s_waitcnt vmcnt(17)
	ds_write2st64_b32 v82, v9, v10 offset0:8 offset1:12
	s_waitcnt vmcnt(15)
	ds_write2st64_b32 v82, v11, v12 offset0:16 offset1:20
	;; [unrolled: 2-line block ×9, first 2 shown]
	s_waitcnt vmcnt(0)
	ds_write_b32 v82, v2 offset:20480
	s_waitcnt lgkmcnt(0)
	s_barrier
	s_load_dword s6, s[6:7], 0x0
	ds_read2_b32 v[2:3], v28 offset0:4 offset1:9
	ds_read2_b32 v[20:21], v28 offset0:19 offset1:20
	;; [unrolled: 1-line block ×4, first 2 shown]
	ds_read_b32 v23, v28 offset:56
	ds_read2_b32 v[14:15], v28 offset0:12 offset1:13
	ds_read2_b32 v[12:13], v28 offset0:10 offset1:11
	;; [unrolled: 1-line block ×5, first 2 shown]
	ds_read2_b32 v[10:11], v28 offset1:1
	s_waitcnt lgkmcnt(0)
	ds_write_b32 v22, v21 offset:21504
	s_waitcnt lgkmcnt(0)
	v_mov_b32_e32 v1, s6
	s_barrier
	s_and_saveexec_b64 s[6:7], s[4:5]
	s_cbranch_execz .LBB66_131
; %bb.130:
	ds_read_b32 v1, v22 offset:21500
.LBB66_131:
	s_or_b64 exec, exec, s[6:7]
	v_lshlrev_b32_e32 v82, 3, v0
	v_lshl_add_u64 v[24:25], s[52:53], 0, v[82:83]
	v_add_co_u32_e32 v26, vcc, s11, v24
	s_waitcnt lgkmcnt(0)
	s_nop 0
	v_addc_co_u32_e32 v27, vcc, 0, v25, vcc
	v_add_co_u32_e32 v28, vcc, s10, v24
	s_barrier
	s_nop 0
	v_addc_co_u32_e32 v29, vcc, 0, v25, vcc
	v_add_co_u32_e32 v36, vcc, s9, v24
	s_nop 1
	v_addc_co_u32_e32 v37, vcc, 0, v25, vcc
	v_add_co_u32_e32 v38, vcc, s8, v24
	global_load_dwordx2 v[30:31], v82, s[52:53]
	global_load_dwordx2 v[32:33], v82, s[52:53] offset:2048
	global_load_dwordx2 v[34:35], v[28:29], off offset:-4096
	v_addc_co_u32_e32 v39, vcc, 0, v25, vcc
	global_load_dwordx2 v[40:41], v[28:29], off
	global_load_dwordx2 v[42:43], v[28:29], off offset:2048
	global_load_dwordx2 v[44:45], v[38:39], off offset:-4096
	global_load_dwordx2 v[46:47], v[38:39], off
	v_add_co_u32_e32 v28, vcc, s3, v24
	s_movk_i32 s3, 0x6000
	s_nop 0
	v_addc_co_u32_e32 v29, vcc, 0, v25, vcc
	v_add_co_u32_e32 v48, vcc, s3, v24
	s_movk_i32 s3, 0x7000
	s_nop 0
	v_addc_co_u32_e32 v49, vcc, 0, v25, vcc
	global_load_dwordx2 v[50:51], v[38:39], off offset:2048
	global_load_dwordx2 v[52:53], v[48:49], off offset:-4096
	global_load_dwordx2 v[54:55], v[48:49], off
	global_load_dwordx2 v[56:57], v[48:49], off offset:2048
	v_add_co_u32_e32 v38, vcc, s3, v24
	s_mov_b32 s3, 0x8000
	s_nop 0
	v_addc_co_u32_e32 v39, vcc, 0, v25, vcc
	v_add_co_u32_e32 v48, vcc, s3, v24
	s_mov_b32 s3, 0x9000
	s_nop 0
	v_addc_co_u32_e32 v49, vcc, 0, v25, vcc
	global_load_dwordx2 v[58:59], v[26:27], off offset:2048
	global_load_dwordx2 v[60:61], v[36:37], off offset:2048
	;; [unrolled: 1-line block ×4, first 2 shown]
	v_add_co_u32_e32 v26, vcc, s3, v24
	s_mov_b32 s3, 0xa000
	s_nop 0
	v_addc_co_u32_e32 v27, vcc, 0, v25, vcc
	v_add_co_u32_e32 v24, vcc, s3, v24
	v_cmp_ne_u32_e64 s[6:7], v20, v21
	s_nop 0
	v_addc_co_u32_e32 v25, vcc, 0, v25, vcc
	global_load_dwordx2 v[28:29], v[48:49], off offset:-4096
	global_load_dwordx2 v[36:37], v[48:49], off
	global_load_dwordx2 v[38:39], v[48:49], off offset:2048
	global_load_dwordx2 v[66:67], v[24:25], off offset:-4096
	global_load_dwordx2 v[68:69], v[26:27], off offset:2048
	global_load_dwordx2 v[70:71], v[24:25], off
	v_cmp_ne_u32_e32 vcc, v17, v18
	s_movk_i32 s3, 0xa0
	s_mov_b64 s[8:9], -1
	v_cndmask_b32_e64 v21, 0, 1, vcc
	v_cmp_ne_u32_e32 vcc, v16, v17
	v_lshlrev_b16_e32 v21, 8, v21
                                        ; implicit-def: $vgpr130
                                        ; implicit-def: $vgpr129
                                        ; implicit-def: $vgpr128
                                        ; implicit-def: $vgpr127
                                        ; implicit-def: $sgpr12_sgpr13
                                        ; implicit-def: $vgpr78_vgpr79
                                        ; implicit-def: $vgpr74_vgpr75
                                        ; implicit-def: $vgpr26_vgpr27
	s_nop 0
	v_cndmask_b32_e64 v17, 0, 1, vcc
	v_cmp_ne_u32_e32 vcc, v19, v20
	v_or_b32_e32 v17, v17, v21
	s_nop 0
	v_cndmask_b32_e64 v20, 0, 1, vcc
	v_cmp_ne_u32_e32 vcc, v18, v19
	v_lshlrev_b16_e32 v20, 8, v20
	s_nop 0
	v_cndmask_b32_e64 v18, 0, 1, vcc
	v_cmp_ne_u32_e32 vcc, v23, v16
	v_or_b32_sdwa v18, v18, v20 dst_sel:WORD_1 dst_unused:UNUSED_PAD src0_sel:DWORD src1_sel:DWORD
	s_nop 0
	v_cndmask_b32_e64 v124, 0, 1, vcc
	v_cmp_ne_u32_e32 vcc, v13, v14
	v_or_b32_sdwa v86, v17, v18 dst_sel:DWORD dst_unused:UNUSED_PAD src0_sel:WORD_0 src1_sel:DWORD
	s_nop 0
	v_cndmask_b32_e64 v16, 0, 1, vcc
	v_cmp_ne_u32_e32 vcc, v12, v13
	v_lshlrev_b16_e32 v16, 8, v16
	s_nop 0
	v_cndmask_b32_e64 v13, 0, 1, vcc
	v_cmp_ne_u32_e32 vcc, v15, v23
	v_or_b32_e32 v13, v13, v16
	s_nop 0
	v_cndmask_b32_e64 v16, 0, 1, vcc
	v_cmp_ne_u32_e32 vcc, v14, v15
	v_lshlrev_b16_e32 v16, 8, v16
	s_nop 0
	v_cndmask_b32_e64 v14, 0, 1, vcc
	v_cmp_ne_u32_e32 vcc, v3, v12
	v_or_b32_sdwa v14, v14, v16 dst_sel:WORD_1 dst_unused:UNUSED_PAD src0_sel:DWORD src1_sel:DWORD
	s_nop 0
	v_cndmask_b32_e64 v126, 0, 1, vcc
	v_cmp_ne_u32_e32 vcc, v7, v8
	v_or_b32_sdwa v85, v13, v14 dst_sel:DWORD dst_unused:UNUSED_PAD src0_sel:WORD_0 src1_sel:DWORD
	s_nop 0
	v_cndmask_b32_e64 v12, 0, 1, vcc
	v_cmp_ne_u32_e32 vcc, v6, v7
	v_lshlrev_b16_e32 v12, 8, v12
	;; [unrolled: 20-line block ×3, first 2 shown]
	s_nop 0
	v_cndmask_b32_e64 v6, 0, 1, vcc
	v_cmp_ne_u32_e32 vcc, v5, v2
	v_or_b32_e32 v11, v6, v3
	s_nop 0
	v_cndmask_b32_e64 v2, 0, 1, vcc
	v_cmp_ne_u32_e32 vcc, v4, v5
	v_lshlrev_b16_e32 v2, 8, v2
	s_nop 0
	v_cndmask_b32_e64 v3, 0, 1, vcc
	v_or_b32_sdwa v14, v3, v2 dst_sel:WORD_1 dst_unused:UNUSED_PAD src0_sel:DWORD src1_sel:DWORD
	v_lshl_add_u32 v2, v0, 2, v22
	v_mad_u32_u24 v12, v0, s3, v2
	s_waitcnt vmcnt(19)
	ds_write2st64_b64 v2, v[30:31], v[32:33] offset1:4
	s_waitcnt vmcnt(9)
	ds_write2st64_b64 v2, v[34:35], v[58:59] offset0:8 offset1:12
	ds_write2st64_b64 v2, v[40:41], v[42:43] offset0:16 offset1:20
	s_waitcnt vmcnt(8)
	ds_write2st64_b64 v2, v[44:45], v[60:61] offset0:24 offset1:28
	ds_write2st64_b64 v2, v[46:47], v[50:51] offset0:32 offset1:36
	;; [unrolled: 3-line block ×3, first 2 shown]
	s_waitcnt vmcnt(5)
	ds_write2st64_b64 v2, v[28:29], v[64:65] offset0:56 offset1:60
	s_waitcnt vmcnt(3)
	ds_write2st64_b64 v2, v[36:37], v[38:39] offset0:64 offset1:68
	;; [unrolled: 2-line block ×3, first 2 shown]
	s_waitcnt vmcnt(0)
	ds_write_b64 v2, v[70:71] offset:40960
	s_waitcnt lgkmcnt(0)
	s_barrier
	ds_read2_b64 v[2:5], v12 offset1:1
	ds_read2_b64 v[6:9], v12 offset0:2 offset1:3
	ds_read2_b64 v[18:21], v12 offset0:4 offset1:5
	;; [unrolled: 1-line block ×9, first 2 shown]
	ds_read_b64 v[12:13], v12 offset:160
	v_cmp_ne_u32_e32 vcc, v1, v10
	v_or_b32_sdwa v84, v11, v14 dst_sel:DWORD dst_unused:UNUSED_PAD src0_sel:WORD_0 src1_sel:DWORD
                                        ; implicit-def: $sgpr3
                                        ; implicit-def: $vgpr66_vgpr67
                                        ; implicit-def: $vgpr58_vgpr59
                                        ; implicit-def: $vgpr50_vgpr51
                                        ; implicit-def: $vgpr42_vgpr43
                                        ; implicit-def: $vgpr34_vgpr35
                                        ; implicit-def: $vgpr14_vgpr15
	s_nop 0
	v_cndmask_b32_e64 v1, 0, 1, vcc
.LBB66_132:
	s_waitcnt lgkmcnt(0)
	v_mov_b64_e32 v[16:17], s[12:13]
	v_mov_b32_e32 v28, s3
	s_and_saveexec_b64 s[4:5], s[8:9]
	s_cbranch_execz .LBB66_134
; %bb.133:
	v_cndmask_b32_e64 v28, 0, 1, s[6:7]
	v_mov_b64_e32 v[14:15], v[4:5]
	v_mov_b64_e32 v[26:27], v[8:9]
	;; [unrolled: 1-line block ×11, first 2 shown]
	v_mov_b32_e32 v127, v86
	v_mov_b32_e32 v128, v85
	;; [unrolled: 1-line block ×4, first 2 shown]
.LBB66_134:
	s_or_b64 exec, exec, s[4:5]
	v_and_b32_e32 v131, 1, v125
	v_and_b32_e32 v37, 1, v126
	;; [unrolled: 1-line block ×4, first 2 shown]
	s_cmp_lg_u32 s2, 0
	v_lshrrev_b32_e32 v132, 8, v130
	v_cmp_eq_u32_e32 vcc, 1, v131
	v_lshrrev_b32_e32 v41, 8, v129
	v_cmp_eq_u32_e64 s[48:49], 1, v37
	v_lshrrev_b32_e32 v40, 8, v128
	v_cmp_eq_u32_e64 s[50:51], 1, v33
	;; [unrolled: 2-line block ×3, first 2 shown]
	v_mbcnt_lo_u32_b32 v29, -1, 0
	s_barrier
	s_cbranch_scc0 .LBB66_203
; %bb.135:
	v_mov_b32_e32 v8, 0
	v_and_b32_e32 v9, 1, v130
	v_and_b32_e32 v4, 1, v1
	s_movk_i32 s3, 0xff
	v_cmp_eq_u16_sdwa s[4:5], v130, v8 src0_sel:BYTE_0 src1_sel:DWORD
	v_cmp_eq_u32_e64 s[52:53], 1, v9
	v_and_b32_e32 v9, 0x100, v130
	v_cmp_eq_u32_e64 s[12:13], 1, v4
	v_cndmask_b32_e64 v5, 0, v3, s[4:5]
	v_cndmask_b32_e64 v4, 0, v2, s[4:5]
	v_cmp_ne_u32_e64 s[56:57], 0, v9
	v_and_b32_sdwa v9, v130, s3 dst_sel:DWORD dst_unused:UNUSED_PAD src0_sel:WORD_1 src1_sel:DWORD
	v_lshl_add_u64 v[4:5], v[4:5], 0, v[14:15]
	v_cmp_eq_u16_sdwa s[6:7], v132, v8 src0_sel:BYTE_0 src1_sel:DWORD
	v_cmp_eq_u16_e64 s[8:9], 0, v9
	v_and_b32_e32 v9, 0x10000, v130
	v_cndmask_b32_e64 v5, 0, v5, s[6:7]
	v_cndmask_b32_e64 v4, 0, v4, s[6:7]
	v_cmp_ne_u32_e64 s[58:59], 0, v9
	v_and_b32_e32 v9, 0x1000000, v130
	v_lshl_add_u64 v[4:5], v[4:5], 0, v[6:7]
	v_cmp_ne_u32_e64 s[60:61], 0, v9
	v_and_b32_e32 v9, 1, v129
	v_cndmask_b32_e64 v5, 0, v5, s[8:9]
	v_cndmask_b32_e64 v4, 0, v4, s[8:9]
	v_cmp_eq_u32_e64 s[62:63], 1, v9
	v_and_b32_e32 v9, 0x100, v129
	v_lshl_add_u64 v[4:5], v[4:5], 0, v[26:27]
	v_cmp_eq_u16_sdwa s[10:11], v130, v8 src0_sel:BYTE_3 src1_sel:DWORD
	v_cmp_ne_u32_e64 s[64:65], 0, v9
	v_and_b32_sdwa v9, v129, s3 dst_sel:DWORD dst_unused:UNUSED_PAD src0_sel:WORD_1 src1_sel:DWORD
	v_cndmask_b32_e64 v5, 0, v5, s[10:11]
	v_cndmask_b32_e64 v4, 0, v4, s[10:11]
	v_cmp_eq_u16_e64 s[20:21], 0, v9
	v_and_b32_e32 v9, 0x10000, v129
	v_lshl_add_u64 v[4:5], v[4:5], 0, v[18:19]
	v_cmp_eq_u16_sdwa s[14:15], v125, v8 src0_sel:BYTE_0 src1_sel:DWORD
	v_cmp_ne_u32_e64 s[66:67], 0, v9
	v_and_b32_e32 v9, 0x1000000, v129
	v_cndmask_b32_e64 v5, 0, v5, s[14:15]
	v_cndmask_b32_e64 v4, 0, v4, s[14:15]
	v_cmp_ne_u32_e64 s[70:71], 0, v9
	v_and_b32_e32 v9, 1, v128
	v_lshl_add_u64 v[4:5], v[4:5], 0, v[34:35]
	v_cmp_eq_u16_sdwa s[16:17], v129, v8 src0_sel:BYTE_0 src1_sel:DWORD
	v_cmp_eq_u32_e64 s[72:73], 1, v9
	v_and_b32_e32 v9, 0x100, v128
	v_cndmask_b32_e64 v5, 0, v5, s[16:17]
	v_cndmask_b32_e64 v4, 0, v4, s[16:17]
	v_cmp_ne_u32_e64 s[74:75], 0, v9
	v_and_b32_sdwa v9, v128, s3 dst_sel:DWORD dst_unused:UNUSED_PAD src0_sel:WORD_1 src1_sel:DWORD
	v_lshl_add_u64 v[4:5], v[4:5], 0, v[22:23]
	v_cmp_eq_u16_sdwa s[18:19], v41, v8 src0_sel:BYTE_0 src1_sel:DWORD
	v_cmp_eq_u16_e64 s[30:31], 0, v9
	v_and_b32_e32 v9, 0x10000, v128
	v_cndmask_b32_e64 v5, 0, v5, s[18:19]
	v_cndmask_b32_e64 v4, 0, v4, s[18:19]
	v_cmp_ne_u32_e64 s[76:77], 0, v9
	v_and_b32_e32 v9, 0x1000000, v128
	v_lshl_add_u64 v[4:5], v[4:5], 0, v[42:43]
	v_cmp_ne_u32_e64 s[78:79], 0, v9
	v_and_b32_e32 v9, 1, v127
	v_cndmask_b32_e64 v5, 0, v5, s[20:21]
	v_cndmask_b32_e64 v4, 0, v4, s[20:21]
	v_cmp_eq_u32_e64 s[80:81], 1, v9
	v_and_b32_e32 v9, 0x100, v127
	v_lshl_add_u64 v[4:5], v[4:5], 0, v[30:31]
	v_cmp_eq_u16_sdwa s[22:23], v129, v8 src0_sel:BYTE_3 src1_sel:DWORD
	v_cmp_ne_u32_e64 s[82:83], 0, v9
	v_and_b32_sdwa v9, v127, s3 dst_sel:DWORD dst_unused:UNUSED_PAD src0_sel:WORD_1 src1_sel:DWORD
	v_cndmask_b32_e64 v5, 0, v5, s[22:23]
	v_cndmask_b32_e64 v4, 0, v4, s[22:23]
	v_cmp_eq_u16_e64 s[42:43], 0, v9
	v_and_b32_e32 v9, 0x10000, v127
	v_lshl_add_u64 v[4:5], v[4:5], 0, v[50:51]
	v_cmp_eq_u16_sdwa s[24:25], v126, v8 src0_sel:BYTE_0 src1_sel:DWORD
	v_cmp_ne_u32_e64 s[84:85], 0, v9
	v_and_b32_e32 v9, 0x1000000, v127
	v_cndmask_b32_e64 v5, 0, v5, s[24:25]
	v_cndmask_b32_e64 v4, 0, v4, s[24:25]
	v_cmp_ne_u32_e64 s[86:87], 0, v9
	v_lshl_add_u64 v[4:5], v[4:5], 0, v[38:39]
	v_cmp_eq_u16_sdwa s[26:27], v128, v8 src0_sel:BYTE_0 src1_sel:DWORD
	s_or_b64 s[54:55], s[54:55], s[86:87]
	s_or_b64 s[54:55], s[54:55], s[84:85]
	v_cndmask_b32_e64 v5, 0, v5, s[26:27]
	v_cndmask_b32_e64 v4, 0, v4, s[26:27]
	v_lshl_add_u64 v[4:5], v[4:5], 0, v[58:59]
	v_cmp_eq_u16_sdwa s[28:29], v40, v8 src0_sel:BYTE_0 src1_sel:DWORD
	s_or_b64 s[54:55], s[54:55], s[82:83]
	s_or_b64 s[54:55], s[54:55], s[80:81]
	v_cndmask_b32_e64 v5, 0, v5, s[28:29]
	v_cndmask_b32_e64 v4, 0, v4, s[28:29]
	v_lshl_add_u64 v[4:5], v[4:5], 0, v[46:47]
	s_or_b64 s[50:51], s[54:55], s[50:51]
	v_cndmask_b32_e64 v5, 0, v5, s[30:31]
	v_cndmask_b32_e64 v4, 0, v4, s[30:31]
	s_or_b64 s[50:51], s[50:51], s[78:79]
	v_lshl_add_u64 v[4:5], v[4:5], 0, v[66:67]
	v_cmp_eq_u16_sdwa s[34:35], v128, v8 src0_sel:BYTE_3 src1_sel:DWORD
	s_or_b64 s[50:51], s[50:51], s[76:77]
	s_or_b64 s[50:51], s[50:51], s[74:75]
	v_cndmask_b32_e64 v5, 0, v5, s[34:35]
	v_cndmask_b32_e64 v4, 0, v4, s[34:35]
	v_lshl_add_u64 v[4:5], v[4:5], 0, v[54:55]
	v_cmp_eq_u16_sdwa s[36:37], v124, v8 src0_sel:BYTE_0 src1_sel:DWORD
	s_or_b64 s[50:51], s[50:51], s[72:73]
	s_or_b64 s[48:49], s[50:51], s[48:49]
	v_cndmask_b32_e64 v5, 0, v5, s[36:37]
	v_cndmask_b32_e64 v4, 0, v4, s[36:37]
	v_lshl_add_u64 v[4:5], v[4:5], 0, v[74:75]
	v_cmp_eq_u16_sdwa s[38:39], v127, v8 src0_sel:BYTE_0 src1_sel:DWORD
	;; [unrolled: 6-line block ×3, first 2 shown]
	s_or_b64 s[48:49], s[48:49], s[64:65]
	s_or_b64 s[48:49], s[48:49], s[62:63]
	v_cndmask_b32_e64 v5, 0, v5, s[40:41]
	v_cndmask_b32_e64 v4, 0, v4, s[40:41]
	v_lshl_add_u64 v[4:5], v[4:5], 0, v[78:79]
	s_or_b64 s[48:49], s[48:49], vcc
	v_cndmask_b32_e64 v5, 0, v5, s[42:43]
	v_cndmask_b32_e64 v4, 0, v4, s[42:43]
	s_or_b64 s[48:49], s[48:49], s[60:61]
	v_lshl_add_u64 v[4:5], v[4:5], 0, v[70:71]
	v_cmp_eq_u16_sdwa s[44:45], v127, v8 src0_sel:BYTE_3 src1_sel:DWORD
	s_or_b64 s[48:49], s[48:49], s[58:59]
	s_or_b64 s[48:49], s[48:49], s[56:57]
	v_cndmask_b32_e64 v5, 0, v5, s[44:45]
	v_cndmask_b32_e64 v4, 0, v4, s[44:45]
	v_lshl_add_u64 v[4:5], v[4:5], 0, v[10:11]
	v_cmp_eq_u16_sdwa s[46:47], v28, v8 src0_sel:BYTE_0 src1_sel:DWORD
	s_or_b64 s[48:49], s[48:49], s[52:53]
	s_or_b64 s[48:49], s[48:49], s[12:13]
	v_cndmask_b32_e64 v5, 0, v5, s[46:47]
	v_cndmask_b32_e64 v4, 0, v4, s[46:47]
	v_mbcnt_hi_u32_b32 v52, -1, v29
	v_lshl_add_u64 v[8:9], v[4:5], 0, v[16:17]
	v_and_b32_e32 v5, 15, v52
	v_cndmask_b32_e64 v4, 0, 1, s[48:49]
	v_cndmask_b32_e64 v12, 0, 1, s[48:49]
	v_mov_b32_dpp v13, v8 row_shr:1 row_mask:0xf bank_mask:0xf
	v_mov_b32_dpp v20, v9 row_shr:1 row_mask:0xf bank_mask:0xf
	;; [unrolled: 1-line block ×3, first 2 shown]
	v_cmp_ne_u32_e32 vcc, 0, v5
	s_and_saveexec_b64 s[50:51], vcc
; %bb.136:
	v_and_b32_e32 v4, 1, v21
	v_or_b32_e32 v12, v4, v12
	v_cndmask_b32_e64 v21, v20, 0, s[48:49]
	v_cndmask_b32_e64 v20, v13, 0, s[48:49]
	v_lshl_add_u64 v[8:9], v[20:21], 0, v[8:9]
	v_and_b32_e32 v4, 0xffff, v12
; %bb.137:
	s_or_b64 exec, exec, s[50:51]
	v_mov_b32_dpp v13, v8 row_shr:2 row_mask:0xf bank_mask:0xf
	v_mov_b32_dpp v20, v9 row_shr:2 row_mask:0xf bank_mask:0xf
	;; [unrolled: 1-line block ×3, first 2 shown]
	v_cmp_lt_u32_e32 vcc, 1, v5
	s_and_saveexec_b64 s[50:51], vcc
	s_cbranch_execz .LBB66_139
; %bb.138:
	v_and_b32_e32 v4, 1, v12
	v_cmp_eq_u32_e32 vcc, 1, v4
	v_and_b32_e32 v4, 1, v21
	v_cmp_eq_u32_e64 s[48:49], 1, v4
	s_or_b64 s[48:49], vcc, s[48:49]
	v_cmp_eq_u16_e32 vcc, 0, v12
	v_cndmask_b32_e64 v24, 0, 1, s[48:49]
	v_cndmask_b32_e64 v4, 0, 1, s[48:49]
	v_cndmask_b32_e32 v21, 0, v20, vcc
	v_cndmask_b32_e32 v20, 0, v13, vcc
	v_lshl_add_u64 v[8:9], v[20:21], 0, v[8:9]
	v_mov_b32_e32 v12, v24
.LBB66_139:
	s_or_b64 exec, exec, s[50:51]
	v_mov_b32_dpp v13, v8 row_shr:4 row_mask:0xf bank_mask:0xf
	v_mov_b32_dpp v20, v9 row_shr:4 row_mask:0xf bank_mask:0xf
	;; [unrolled: 1-line block ×3, first 2 shown]
	v_cmp_lt_u32_e32 vcc, 3, v5
	s_and_saveexec_b64 s[50:51], vcc
	s_cbranch_execz .LBB66_141
; %bb.140:
	v_and_b32_e32 v4, 1, v12
	v_cmp_eq_u32_e32 vcc, 1, v4
	v_and_b32_e32 v4, 1, v21
	v_cmp_eq_u32_e64 s[48:49], 1, v4
	s_or_b64 s[48:49], vcc, s[48:49]
	v_cmp_eq_u16_e32 vcc, 0, v12
	v_cndmask_b32_e64 v24, 0, 1, s[48:49]
	v_cndmask_b32_e64 v4, 0, 1, s[48:49]
	v_cndmask_b32_e32 v21, 0, v20, vcc
	v_cndmask_b32_e32 v20, 0, v13, vcc
	v_lshl_add_u64 v[8:9], v[20:21], 0, v[8:9]
	v_mov_b32_e32 v12, v24
.LBB66_141:
	s_or_b64 exec, exec, s[50:51]
	v_mov_b32_dpp v13, v8 row_shr:8 row_mask:0xf bank_mask:0xf
	v_mov_b32_dpp v20, v9 row_shr:8 row_mask:0xf bank_mask:0xf
	;; [unrolled: 1-line block ×3, first 2 shown]
	v_cmp_lt_u32_e32 vcc, 7, v5
	s_and_saveexec_b64 s[50:51], vcc
	s_cbranch_execz .LBB66_143
; %bb.142:
	v_and_b32_e32 v4, 1, v12
	v_cmp_eq_u32_e32 vcc, 1, v4
	v_and_b32_e32 v4, 1, v21
	v_cmp_eq_u32_e64 s[48:49], 1, v4
	s_or_b64 s[48:49], vcc, s[48:49]
	v_cmp_eq_u16_e32 vcc, 0, v12
	v_cndmask_b32_e64 v21, 0, 1, s[48:49]
	v_mov_b32_e32 v12, v21
	v_cndmask_b32_e32 v5, 0, v20, vcc
	v_cndmask_b32_e32 v4, 0, v13, vcc
	v_lshl_add_u64 v[8:9], v[4:5], 0, v[8:9]
	v_cndmask_b32_e64 v4, 0, 1, s[48:49]
.LBB66_143:
	s_or_b64 exec, exec, s[50:51]
	v_and_b32_e32 v21, 16, v52
	v_mov_b32_dpp v5, v8 row_bcast:15 row_mask:0xf bank_mask:0xf
	v_mov_b32_dpp v13, v9 row_bcast:15 row_mask:0xf bank_mask:0xf
	;; [unrolled: 1-line block ×3, first 2 shown]
	v_cmp_ne_u32_e32 vcc, 0, v21
	s_and_saveexec_b64 s[50:51], vcc
	s_cbranch_execz .LBB66_145
; %bb.144:
	v_and_b32_e32 v4, 1, v12
	v_cmp_eq_u32_e32 vcc, 1, v4
	v_and_b32_e32 v4, 1, v20
	v_cmp_eq_u32_e64 s[48:49], 1, v4
	s_or_b64 s[48:49], vcc, s[48:49]
	v_cmp_eq_u16_e32 vcc, 0, v12
	v_cndmask_b32_e64 v20, 0, 1, s[48:49]
	v_cndmask_b32_e64 v4, 0, 1, s[48:49]
	v_cndmask_b32_e32 v13, 0, v13, vcc
	v_cndmask_b32_e32 v12, 0, v5, vcc
	v_lshl_add_u64 v[8:9], v[12:13], 0, v[8:9]
	v_mov_b32_e32 v12, v20
.LBB66_145:
	s_or_b64 exec, exec, s[50:51]
	v_mov_b32_dpp v5, v8 row_bcast:31 row_mask:0xf bank_mask:0xf
	v_mov_b32_dpp v13, v9 row_bcast:31 row_mask:0xf bank_mask:0xf
	;; [unrolled: 1-line block ×3, first 2 shown]
	v_cmp_lt_u32_e32 vcc, 31, v52
	s_and_saveexec_b64 s[50:51], vcc
; %bb.146:
	v_and_b32_e32 v20, 1, v12
	v_and_b32_e32 v4, 1, v4
	v_cmp_eq_u32_e32 vcc, 1, v20
	v_cmp_eq_u32_e64 s[48:49], 1, v4
	s_or_b64 s[48:49], vcc, s[48:49]
	v_cmp_eq_u16_e32 vcc, 0, v12
	v_cndmask_b32_e64 v4, 0, 1, s[48:49]
	s_nop 0
	v_cndmask_b32_e32 v13, 0, v13, vcc
	v_cndmask_b32_e32 v12, 0, v5, vcc
	v_lshl_add_u64 v[8:9], v[12:13], 0, v[8:9]
	v_mov_b32_e32 v12, v4
; %bb.147:
	s_or_b64 exec, exec, s[50:51]
	v_or_b32_e32 v4, 63, v0
	v_lshrrev_b32_e32 v13, 6, v0
	v_cmp_eq_u32_e32 vcc, v4, v0
	s_and_saveexec_b64 s[48:49], vcc
	s_cbranch_execz .LBB66_149
; %bb.148:
	v_lshlrev_b32_e32 v4, 4, v13
	ds_write_b64 v4, v[8:9]
	ds_write_b8 v4, v12 offset:8
.LBB66_149:
	s_or_b64 exec, exec, s[48:49]
	v_cmp_gt_u32_e32 vcc, 4, v0
	s_waitcnt lgkmcnt(0)
	s_barrier
	s_and_saveexec_b64 s[50:51], vcc
	s_cbranch_execz .LBB66_155
; %bb.150:
	v_lshlrev_b32_e32 v20, 4, v0
	ds_read_b64 v[4:5], v20
	ds_read_b32 v24, v20 offset:8
	v_and_b32_e32 v25, 3, v52
	v_cmp_ne_u32_e32 vcc, 0, v25
	s_waitcnt lgkmcnt(1)
	v_mov_b32_dpp v45, v4 row_shr:1 row_mask:0xf bank_mask:0xf
	v_mov_b32_dpp v48, v5 row_shr:1 row_mask:0xf bank_mask:0xf
	s_waitcnt lgkmcnt(0)
	v_mov_b32_dpp v49, v24 row_shr:1 row_mask:0xf bank_mask:0xf
	v_mov_b32_e32 v21, v24
	v_mov_b32_e32 v44, v24
	s_and_saveexec_b64 s[48:49], vcc
; %bb.151:
	v_or_b32_e32 v44, v49, v24
	v_mov_b32_e32 v49, 0
	v_cmp_eq_u16_sdwa vcc, v24, v49 src0_sel:BYTE_0 src1_sel:DWORD
	v_and_b32_e32 v21, 1, v44
	v_and_b32_e32 v44, 1, v44
	v_cndmask_b32_e32 v49, 0, v48, vcc
	v_cndmask_b32_e32 v48, 0, v45, vcc
	s_movk_i32 s3, 0xff00
	v_lshl_add_u64 v[4:5], v[48:49], 0, v[4:5]
	v_and_or_b32 v24, v24, s3, v44
; %bb.152:
	s_or_b64 exec, exec, s[48:49]
	v_mov_b32_dpp v45, v4 row_shr:2 row_mask:0xf bank_mask:0xf
	v_mov_b32_dpp v48, v5 row_shr:2 row_mask:0xf bank_mask:0xf
	;; [unrolled: 1-line block ×3, first 2 shown]
	v_cmp_lt_u32_e32 vcc, 1, v25
	s_and_saveexec_b64 s[52:53], vcc
; %bb.153:
	v_and_b32_e32 v21, 1, v44
	v_cmp_eq_u32_e32 vcc, 1, v21
	v_and_b32_e32 v21, 1, v24
	v_cmp_eq_u32_e64 s[48:49], 1, v21
	v_mov_b32_e32 v24, 0
	s_or_b64 s[48:49], vcc, s[48:49]
	v_cmp_eq_u16_sdwa vcc, v44, v24 src0_sel:BYTE_0 src1_sel:DWORD
	v_cndmask_b32_e64 v21, 0, 1, s[48:49]
	s_nop 0
	v_cndmask_b32_e32 v25, 0, v48, vcc
	v_cndmask_b32_e32 v24, 0, v45, vcc
	v_lshl_add_u64 v[4:5], v[24:25], 0, v[4:5]
; %bb.154:
	s_or_b64 exec, exec, s[52:53]
	ds_write_b64 v20, v[4:5]
	ds_write_b8 v20, v21 offset:8
.LBB66_155:
	s_or_b64 exec, exec, s[50:51]
	v_cmp_gt_u32_e32 vcc, 64, v0
	v_cmp_lt_u32_e64 s[48:49], 63, v0
	v_mov_b32_e32 v44, 0
	v_mov_b64_e32 v[4:5], 0
	s_waitcnt lgkmcnt(0)
	s_barrier
	s_and_saveexec_b64 s[50:51], s[48:49]
	s_cbranch_execz .LBB66_157
; %bb.156:
	v_lshl_add_u32 v13, v13, 4, -16
	ds_read_b64 v[4:5], v13
	ds_read_u8 v44, v13 offset:8
	v_cmp_eq_u16_e64 s[48:49], 0, v12
	s_waitcnt lgkmcnt(0)
	v_or_b32_e32 v12, v12, v44
	v_cndmask_b32_e64 v21, 0, v5, s[48:49]
	v_cndmask_b32_e64 v20, 0, v4, s[48:49]
	v_lshl_add_u64 v[8:9], v[8:9], 0, v[20:21]
	v_and_b32_e32 v12, 1, v12
.LBB66_157:
	s_or_b64 exec, exec, s[50:51]
	v_add_u32_e32 v13, -1, v52
	v_and_b32_e32 v20, 64, v52
	v_cmp_lt_i32_e64 s[48:49], v13, v20
	s_nop 1
	v_cndmask_b32_e64 v13, v13, v52, s[48:49]
	v_lshlrev_b32_e32 v13, 2, v13
	ds_bpermute_b32 v45, v13, v8
	v_and_b32_e32 v8, 0xffff, v12
	ds_bpermute_b32 v48, v13, v9
	ds_bpermute_b32 v49, v13, v8
	v_cmp_eq_u32_e64 s[48:49], 0, v52
	s_and_saveexec_b64 s[52:53], vcc
	s_cbranch_execz .LBB66_200
; %bb.158:
	v_mov_b32_e32 v13, 0
	ds_read2_b64 v[80:83], v13 offset0:6 offset1:7
	s_and_saveexec_b64 s[50:51], s[48:49]
	s_cbranch_execz .LBB66_160
; %bb.159:
	s_add_i32 s54, s2, 64
	s_mov_b32 s55, 0
	s_lshl_b64 s[56:57], s[54:55], 4
	s_add_u32 s56, s88, s56
	s_addc_u32 s57, s89, s57
	v_mov_b32_e32 v8, s54
	v_mov_b32_e32 v9, 1
	s_waitcnt lgkmcnt(0)
	global_store_dword v13, v80, s[56:57] sc1
	global_store_dword v13, v81, s[56:57] offset:4 sc1
	global_store_dword v13, v82, s[56:57] offset:8 sc1
	;; [unrolled: 1-line block ×3, first 2 shown]
	s_waitcnt vmcnt(0)
	global_store_byte v8, v9, s[92:93] sc1
.LBB66_160:
	s_or_b64 exec, exec, s[50:51]
	v_xad_u32 v8, v52, -1, s2
	v_add_u32_e32 v12, 64, v8
	global_load_ubyte v53, v12, s[92:93] sc1
	s_waitcnt vmcnt(0)
	v_cmp_eq_u16_e32 vcc, 0, v53
	s_and_saveexec_b64 s[50:51], vcc
	s_cbranch_execz .LBB66_164
; %bb.161:
	v_lshl_add_u64 v[20:21], s[92:93], 0, v[12:13]
	s_mov_b64 s[54:55], 0
.LBB66_162:                             ; =>This Inner Loop Header: Depth=1
	global_load_ubyte v53, v[20:21], off sc1
	s_waitcnt vmcnt(0)
	v_cmp_ne_u16_e32 vcc, 0, v53
	s_or_b64 s[54:55], vcc, s[54:55]
	s_andn2_b64 exec, exec, s[54:55]
	s_cbranch_execnz .LBB66_162
; %bb.163:
	s_or_b64 exec, exec, s[54:55]
.LBB66_164:
	s_or_b64 exec, exec, s[50:51]
	v_mov_b32_e32 v9, s91
	v_mov_b32_e32 v20, s89
	v_cmp_eq_u16_e32 vcc, 1, v53
	s_waitcnt lgkmcnt(0)
	s_nop 0
	v_cndmask_b32_e32 v21, v9, v20, vcc
	v_mov_b32_e32 v9, s90
	v_mov_b32_e32 v20, s88
	v_cndmask_b32_e32 v20, v9, v20, vcc
	v_lshl_add_u64 v[12:13], v[12:13], 4, v[20:21]
	global_load_dword v24, v[12:13], off sc1
	global_load_dword v25, v[12:13], off offset:4 sc1
	global_load_dword v84, v[12:13], off offset:8 sc1
	;; [unrolled: 1-line block ×3, first 2 shown]
	v_cmp_eq_u16_e32 vcc, 2, v53
	v_lshlrev_b64 v[12:13], v52, -1
	s_waitcnt vmcnt(0)
	v_and_b32_e32 v9, 63, v52
	v_and_b32_e32 v20, vcc_hi, v13
	v_and_b32_e32 v57, vcc_lo, v12
	v_cmp_ne_u32_e32 vcc, 63, v9
	v_or_b32_e32 v20, 0x80000000, v20
	v_ffbl_b32_e32 v20, v20
	v_addc_co_u32_e32 v21, vcc, 0, v52, vcc
	v_lshlrev_b32_e32 v56, 2, v21
	v_add_u32_e32 v20, 32, v20
	v_ffbl_b32_e32 v57, v57
	v_min_u32_e32 v20, v57, v20
	v_add_u32_e32 v57, 1, v52
	v_cmp_le_u32_e32 vcc, v57, v20
	ds_bpermute_b32 v61, v56, v24
	ds_bpermute_b32 v64, v56, v25
	v_and_b32_e32 v21, 0xff, v84
	ds_bpermute_b32 v60, v56, v21
	s_and_saveexec_b64 s[50:51], vcc
	s_cbranch_execz .LBB66_166
; %bb.165:
	v_mov_b32_e32 v21, 0
	v_cmp_eq_u16_sdwa vcc, v84, v21 src0_sel:BYTE_0 src1_sel:DWORD
	s_waitcnt lgkmcnt(0)
	v_or_b32_e32 v21, v60, v84
	v_and_b32_e32 v84, 1, v21
	v_cndmask_b32_e32 v65, 0, v64, vcc
	v_cndmask_b32_e32 v64, 0, v61, vcc
	v_lshl_add_u64 v[24:25], v[64:65], 0, v[24:25]
	v_and_b32_e32 v21, 1, v21
.LBB66_166:
	s_or_b64 exec, exec, s[50:51]
	v_cmp_gt_u32_e32 vcc, 62, v9
	s_waitcnt lgkmcnt(2)
	v_add_u32_e32 v61, 2, v52
	s_waitcnt lgkmcnt(0)
	v_cndmask_b32_e64 v60, 0, 1, vcc
	v_lshlrev_b32_e32 v60, 1, v60
	v_add_lshl_u32 v60, v60, v52, 2
	ds_bpermute_b32 v65, v60, v24
	ds_bpermute_b32 v68, v60, v25
	ds_bpermute_b32 v64, v60, v21
	v_cmp_le_u32_e32 vcc, v61, v20
	s_and_saveexec_b64 s[54:55], vcc
	s_cbranch_execz .LBB66_168
; %bb.167:
	v_mov_b32_e32 v21, 0
	v_cmp_eq_u16_sdwa vcc, v84, v21 src0_sel:BYTE_0 src1_sel:DWORD
	v_and_b32_e32 v21, 1, v84
	s_waitcnt lgkmcnt(1)
	v_cndmask_b32_e32 v69, 0, v68, vcc
	v_cndmask_b32_e32 v68, 0, v65, vcc
	v_cmp_eq_u32_e32 vcc, 1, v21
	s_waitcnt lgkmcnt(0)
	v_and_b32_e32 v21, 1, v64
	v_cmp_eq_u32_e64 s[50:51], 1, v21
	s_or_b64 s[50:51], vcc, s[50:51]
	v_lshl_add_u64 v[24:25], v[68:69], 0, v[24:25]
	v_cndmask_b32_e64 v84, 0, 1, s[50:51]
	v_cndmask_b32_e64 v21, 0, 1, s[50:51]
.LBB66_168:
	s_or_b64 exec, exec, s[54:55]
	v_cmp_gt_u32_e32 vcc, 60, v9
	s_waitcnt lgkmcnt(2)
	v_add_u32_e32 v65, 4, v52
	s_waitcnt lgkmcnt(0)
	v_cndmask_b32_e64 v64, 0, 1, vcc
	v_lshlrev_b32_e32 v64, 2, v64
	v_add_lshl_u32 v64, v64, v52, 2
	ds_bpermute_b32 v69, v64, v24
	ds_bpermute_b32 v72, v64, v25
	ds_bpermute_b32 v68, v64, v21
	v_cmp_le_u32_e32 vcc, v65, v20
	s_and_saveexec_b64 s[54:55], vcc
	s_cbranch_execz .LBB66_170
; %bb.169:
	v_mov_b32_e32 v21, 0
	v_cmp_eq_u16_sdwa vcc, v84, v21 src0_sel:BYTE_0 src1_sel:DWORD
	v_and_b32_e32 v21, 1, v84
	s_waitcnt lgkmcnt(1)
	v_cndmask_b32_e32 v73, 0, v72, vcc
	v_cndmask_b32_e32 v72, 0, v69, vcc
	v_cmp_eq_u32_e32 vcc, 1, v21
	s_waitcnt lgkmcnt(0)
	v_and_b32_e32 v21, 1, v68
	v_cmp_eq_u32_e64 s[50:51], 1, v21
	s_or_b64 s[50:51], vcc, s[50:51]
	v_lshl_add_u64 v[24:25], v[72:73], 0, v[24:25]
	v_cndmask_b32_e64 v84, 0, 1, s[50:51]
	v_cndmask_b32_e64 v21, 0, 1, s[50:51]
.LBB66_170:
	;; [unrolled: 30-line block ×4, first 2 shown]
	s_or_b64 exec, exec, s[54:55]
	v_cmp_gt_u32_e32 vcc, 32, v9
	s_waitcnt lgkmcnt(2)
	v_add_u32_e32 v77, 32, v52
	v_cndmask_b32_e64 v9, 0, 1, vcc
	v_lshlrev_b32_e32 v9, 5, v9
	s_waitcnt lgkmcnt(0)
	v_add_lshl_u32 v76, v9, v52, 2
	ds_bpermute_b32 v83, v76, v24
	ds_bpermute_b32 v85, v76, v25
	;; [unrolled: 1-line block ×3, first 2 shown]
	v_cmp_le_u32_e32 vcc, v77, v20
	s_and_saveexec_b64 s[54:55], vcc
	s_cbranch_execz .LBB66_176
; %bb.175:
	v_mov_b32_e32 v20, 0
	v_cmp_eq_u16_sdwa vcc, v84, v20 src0_sel:BYTE_0 src1_sel:DWORD
	s_waitcnt lgkmcnt(0)
	v_and_b32_e32 v9, 1, v9
	v_cmp_eq_u32_e64 s[50:51], 1, v9
	v_cndmask_b32_e32 v21, 0, v85, vcc
	v_cndmask_b32_e32 v20, 0, v83, vcc
	v_lshl_add_u64 v[24:25], v[20:21], 0, v[24:25]
	v_and_b32_e32 v20, 1, v84
	v_cmp_eq_u32_e32 vcc, 1, v20
	s_or_b64 s[50:51], vcc, s[50:51]
	v_cndmask_b32_e64 v84, 0, 1, s[50:51]
.LBB66_176:
	s_or_b64 exec, exec, s[54:55]
	s_waitcnt lgkmcnt(0)
	v_mov_b32_e32 v9, 0
	v_mov_b32_e32 v83, 2
	s_branch .LBB66_178
.LBB66_177:                             ;   in Loop: Header=BB66_178 Depth=1
	s_or_b64 exec, exec, s[56:57]
	v_cmp_eq_u16_sdwa vcc, v52, v9 src0_sel:BYTE_0 src1_sel:DWORD
	v_and_b32_e32 v84, 1, v52
	v_subrev_u32_e32 v8, 64, v8
	v_cndmask_b32_e32 v25, 0, v25, vcc
	v_cndmask_b32_e32 v24, 0, v24, vcc
	v_cmp_eq_u32_e32 vcc, 1, v84
	s_or_b64 s[50:51], vcc, s[54:55]
	v_lshl_add_u64 v[24:25], v[24:25], 0, v[20:21]
	v_cndmask_b32_e64 v84, 0, 1, s[50:51]
.LBB66_178:                             ; =>This Loop Header: Depth=1
                                        ;     Child Loop BB66_181 Depth 2
	v_cmp_ne_u16_sdwa s[50:51], v53, v83 src0_sel:BYTE_0 src1_sel:DWORD
	v_mov_b32_e32 v52, v84
	s_nop 0
	v_cndmask_b32_e64 v20, 0, 1, s[50:51]
	;;#ASMSTART
	;;#ASMEND
	s_nop 0
	v_cmp_ne_u32_e32 vcc, 0, v20
	s_cmp_lg_u64 vcc, exec
	v_mov_b64_e32 v[20:21], v[24:25]
	s_cbranch_scc1 .LBB66_195
; %bb.179:                              ;   in Loop: Header=BB66_178 Depth=1
	global_load_ubyte v53, v8, s[92:93] sc1
	s_waitcnt vmcnt(0)
	v_cmp_eq_u16_e32 vcc, 0, v53
	s_and_saveexec_b64 s[50:51], vcc
	s_cbranch_execz .LBB66_183
; %bb.180:                              ;   in Loop: Header=BB66_178 Depth=1
	v_lshl_add_u64 v[24:25], s[92:93], 0, v[8:9]
	s_mov_b64 s[54:55], 0
.LBB66_181:                             ;   Parent Loop BB66_178 Depth=1
                                        ; =>  This Inner Loop Header: Depth=2
	global_load_ubyte v53, v[24:25], off sc1
	s_waitcnt vmcnt(0)
	v_cmp_ne_u16_e32 vcc, 0, v53
	s_or_b64 s[54:55], vcc, s[54:55]
	s_andn2_b64 exec, exec, s[54:55]
	s_cbranch_execnz .LBB66_181
; %bb.182:                              ;   in Loop: Header=BB66_178 Depth=1
	s_or_b64 exec, exec, s[54:55]
.LBB66_183:                             ;   in Loop: Header=BB66_178 Depth=1
	s_or_b64 exec, exec, s[50:51]
	v_mov_b32_e32 v24, s91
	v_mov_b32_e32 v25, s89
	v_cmp_eq_u16_e32 vcc, 1, v53
	v_mov_b32_e32 v84, s88
	s_nop 0
	v_cndmask_b32_e32 v25, v24, v25, vcc
	v_mov_b32_e32 v24, s90
	v_cndmask_b32_e32 v24, v24, v84, vcc
	v_lshl_add_u64 v[84:85], v[8:9], 4, v[24:25]
	global_load_dword v24, v[84:85], off sc1
	global_load_dword v25, v[84:85], off offset:4 sc1
	s_waitcnt lgkmcnt(2)
	global_load_dword v87, v[84:85], off offset:8 sc1
	s_nop 0
	global_load_dword v84, v[84:85], off offset:12 sc1
	v_cmp_eq_u16_e32 vcc, 2, v53
	s_waitcnt vmcnt(3)
	ds_bpermute_b32 v89, v56, v24
	s_waitcnt vmcnt(0)
	v_and_b32_e32 v84, vcc_hi, v13
	s_waitcnt lgkmcnt(1)
	v_and_b32_e32 v86, 0xff, v87
	v_or_b32_e32 v84, 0x80000000, v84
	ds_bpermute_b32 v90, v56, v25
	ds_bpermute_b32 v88, v56, v86
	v_and_b32_e32 v85, vcc_lo, v12
	v_ffbl_b32_e32 v84, v84
	v_add_u32_e32 v84, 32, v84
	v_ffbl_b32_e32 v85, v85
	v_min_u32_e32 v84, v85, v84
	v_cmp_le_u32_e32 vcc, v57, v84
	v_mov_b32_e32 v85, v87
	s_and_saveexec_b64 s[50:51], vcc
	s_cbranch_execz .LBB66_185
; %bb.184:                              ;   in Loop: Header=BB66_178 Depth=1
	v_cmp_eq_u16_sdwa vcc, v87, v9 src0_sel:BYTE_0 src1_sel:DWORD
	s_waitcnt lgkmcnt(0)
	v_or_b32_e32 v87, v88, v87
	v_and_b32_e32 v85, 1, v87
	v_cndmask_b32_e32 v91, 0, v90, vcc
	v_cndmask_b32_e32 v90, 0, v89, vcc
	v_lshl_add_u64 v[24:25], v[90:91], 0, v[24:25]
	v_and_b32_e32 v86, 1, v87
.LBB66_185:                             ;   in Loop: Header=BB66_178 Depth=1
	s_or_b64 exec, exec, s[50:51]
	s_waitcnt lgkmcnt(2)
	ds_bpermute_b32 v89, v60, v24
	s_waitcnt lgkmcnt(2)
	ds_bpermute_b32 v90, v60, v25
	;; [unrolled: 2-line block ×3, first 2 shown]
	v_and_b32_e32 v87, 1, v87
	v_cmp_eq_u32_e64 s[54:55], 1, v87
	v_cmp_le_u32_e32 vcc, v61, v84
	s_and_saveexec_b64 s[56:57], vcc
	s_cbranch_execz .LBB66_187
; %bb.186:                              ;   in Loop: Header=BB66_178 Depth=1
	v_cmp_eq_u16_sdwa vcc, v85, v9 src0_sel:BYTE_0 src1_sel:DWORD
	v_and_b32_e32 v85, 1, v85
	s_andn2_b64 s[54:55], s[54:55], exec
	s_waitcnt lgkmcnt(1)
	v_cndmask_b32_e32 v87, 0, v90, vcc
	v_cndmask_b32_e32 v86, 0, v89, vcc
	v_cmp_eq_u32_e32 vcc, 1, v85
	s_waitcnt lgkmcnt(0)
	v_and_b32_e32 v85, 1, v88
	v_cmp_eq_u32_e64 s[50:51], 1, v85
	s_or_b64 s[50:51], vcc, s[50:51]
	v_lshl_add_u64 v[24:25], v[86:87], 0, v[24:25]
	v_cndmask_b32_e64 v85, 0, 1, s[50:51]
	v_cndmask_b32_e64 v86, 0, 1, s[50:51]
	s_and_b64 s[50:51], s[50:51], exec
	s_or_b64 s[54:55], s[54:55], s[50:51]
.LBB66_187:                             ;   in Loop: Header=BB66_178 Depth=1
	s_or_b64 exec, exec, s[56:57]
	s_waitcnt lgkmcnt(0)
	ds_bpermute_b32 v88, v64, v24
	ds_bpermute_b32 v89, v64, v25
	;; [unrolled: 1-line block ×3, first 2 shown]
	v_cmp_le_u32_e32 vcc, v65, v84
	s_and_saveexec_b64 s[56:57], vcc
	s_cbranch_execz .LBB66_189
; %bb.188:                              ;   in Loop: Header=BB66_178 Depth=1
	v_cmp_eq_u16_sdwa vcc, v85, v9 src0_sel:BYTE_0 src1_sel:DWORD
	v_and_b32_e32 v85, 1, v85
	s_andn2_b64 s[54:55], s[54:55], exec
	s_waitcnt lgkmcnt(1)
	v_cndmask_b32_e32 v89, 0, v89, vcc
	v_cndmask_b32_e32 v88, 0, v88, vcc
	v_cmp_eq_u32_e32 vcc, 1, v85
	s_waitcnt lgkmcnt(0)
	v_and_b32_e32 v85, 1, v87
	v_cmp_eq_u32_e64 s[50:51], 1, v85
	s_or_b64 s[50:51], vcc, s[50:51]
	v_lshl_add_u64 v[24:25], v[88:89], 0, v[24:25]
	v_cndmask_b32_e64 v85, 0, 1, s[50:51]
	v_cndmask_b32_e64 v86, 0, 1, s[50:51]
	s_and_b64 s[50:51], s[50:51], exec
	s_or_b64 s[54:55], s[54:55], s[50:51]
.LBB66_189:                             ;   in Loop: Header=BB66_178 Depth=1
	s_or_b64 exec, exec, s[56:57]
	s_waitcnt lgkmcnt(2)
	ds_bpermute_b32 v88, v68, v24
	s_waitcnt lgkmcnt(2)
	ds_bpermute_b32 v89, v68, v25
	;; [unrolled: 2-line block ×3, first 2 shown]
	v_cmp_le_u32_e32 vcc, v69, v84
	s_and_saveexec_b64 s[56:57], vcc
	s_cbranch_execz .LBB66_191
; %bb.190:                              ;   in Loop: Header=BB66_178 Depth=1
	v_cmp_eq_u16_sdwa vcc, v85, v9 src0_sel:BYTE_0 src1_sel:DWORD
	v_and_b32_e32 v85, 1, v85
	s_andn2_b64 s[54:55], s[54:55], exec
	s_waitcnt lgkmcnt(1)
	v_cndmask_b32_e32 v89, 0, v89, vcc
	v_cndmask_b32_e32 v88, 0, v88, vcc
	v_cmp_eq_u32_e32 vcc, 1, v85
	s_waitcnt lgkmcnt(0)
	v_and_b32_e32 v85, 1, v87
	v_cmp_eq_u32_e64 s[50:51], 1, v85
	s_or_b64 s[50:51], vcc, s[50:51]
	v_lshl_add_u64 v[24:25], v[88:89], 0, v[24:25]
	v_cndmask_b32_e64 v85, 0, 1, s[50:51]
	v_cndmask_b32_e64 v86, 0, 1, s[50:51]
	s_and_b64 s[50:51], s[50:51], exec
	s_or_b64 s[54:55], s[54:55], s[50:51]
.LBB66_191:                             ;   in Loop: Header=BB66_178 Depth=1
	s_or_b64 exec, exec, s[56:57]
	s_waitcnt lgkmcnt(2)
	ds_bpermute_b32 v88, v72, v24
	s_waitcnt lgkmcnt(2)
	ds_bpermute_b32 v89, v72, v25
	;; [unrolled: 2-line block ×3, first 2 shown]
	v_cmp_le_u32_e32 vcc, v73, v84
	s_and_saveexec_b64 s[56:57], vcc
	s_cbranch_execz .LBB66_193
; %bb.192:                              ;   in Loop: Header=BB66_178 Depth=1
	v_cmp_eq_u16_sdwa vcc, v85, v9 src0_sel:BYTE_0 src1_sel:DWORD
	v_and_b32_e32 v85, 1, v85
	s_andn2_b64 s[54:55], s[54:55], exec
	s_waitcnt lgkmcnt(1)
	v_cndmask_b32_e32 v89, 0, v89, vcc
	v_cndmask_b32_e32 v88, 0, v88, vcc
	v_cmp_eq_u32_e32 vcc, 1, v85
	s_waitcnt lgkmcnt(0)
	v_and_b32_e32 v85, 1, v87
	v_cmp_eq_u32_e64 s[50:51], 1, v85
	s_or_b64 s[50:51], vcc, s[50:51]
	v_lshl_add_u64 v[24:25], v[88:89], 0, v[24:25]
	v_cndmask_b32_e64 v85, 0, 1, s[50:51]
	v_cndmask_b32_e64 v86, 0, 1, s[50:51]
	s_and_b64 s[50:51], s[50:51], exec
	s_or_b64 s[54:55], s[54:55], s[50:51]
.LBB66_193:                             ;   in Loop: Header=BB66_178 Depth=1
	s_or_b64 exec, exec, s[56:57]
	s_waitcnt lgkmcnt(0)
	ds_bpermute_b32 v87, v76, v24
	ds_bpermute_b32 v88, v76, v25
	;; [unrolled: 1-line block ×3, first 2 shown]
	v_cmp_le_u32_e32 vcc, v77, v84
	s_and_saveexec_b64 s[56:57], vcc
	s_cbranch_execz .LBB66_177
; %bb.194:                              ;   in Loop: Header=BB66_178 Depth=1
	v_cmp_eq_u16_sdwa vcc, v85, v9 src0_sel:BYTE_0 src1_sel:DWORD
	v_and_b32_e32 v84, 1, v85
	s_andn2_b64 s[54:55], s[54:55], exec
	s_waitcnt lgkmcnt(1)
	v_cndmask_b32_e32 v89, 0, v88, vcc
	v_cndmask_b32_e32 v88, 0, v87, vcc
	v_cmp_eq_u32_e32 vcc, 1, v84
	s_waitcnt lgkmcnt(0)
	v_and_b32_e32 v84, 1, v86
	v_cmp_eq_u32_e64 s[50:51], 1, v84
	s_or_b64 s[50:51], vcc, s[50:51]
	s_and_b64 s[50:51], s[50:51], exec
	v_lshl_add_u64 v[24:25], v[88:89], 0, v[24:25]
	s_or_b64 s[54:55], s[54:55], s[50:51]
	s_branch .LBB66_177
.LBB66_195:                             ;   in Loop: Header=BB66_178 Depth=1
                                        ; implicit-def: $vgpr84
                                        ; implicit-def: $vgpr24_vgpr25
                                        ; implicit-def: $vgpr53
	s_cbranch_execz .LBB66_178
; %bb.196:
	s_and_saveexec_b64 s[50:51], s[48:49]
	s_cbranch_execz .LBB66_198
; %bb.197:
	s_mov_b32 s3, 0
	v_mov_b32_e32 v12, 0
	s_add_i32 s2, s2, 64
	v_cmp_eq_u32_sdwa vcc, v82, v12 src0_sel:BYTE_0 src1_sel:DWORD
	s_lshl_b64 s[54:55], s[2:3], 4
	v_and_b32_e32 v13, 1, v82
	v_cndmask_b32_e32 v9, 0, v21, vcc
	v_cndmask_b32_e32 v8, 0, v20, vcc
	s_add_u32 s54, s90, s54
	v_lshl_add_u64 v[8:9], v[8:9], 0, v[80:81]
	v_and_b32_e32 v24, 1, v52
	v_cmp_eq_u32_e32 vcc, 1, v13
	s_addc_u32 s55, s91, s55
	s_nop 0
	v_cndmask_b32_e64 v13, v24, 1, vcc
	global_store_dword v12, v8, s[54:55] sc1
	global_store_dword v12, v9, s[54:55] offset:4 sc1
	global_store_dword v12, v13, s[54:55] offset:8 sc1
	;; [unrolled: 1-line block ×3, first 2 shown]
	v_mov_b32_e32 v8, s2
	v_mov_b32_e32 v9, 2
	s_waitcnt vmcnt(0) lgkmcnt(0)
	global_store_byte v8, v9, s[92:93] sc1
.LBB66_198:
	s_or_b64 exec, exec, s[50:51]
	v_cmp_eq_u32_e32 vcc, 0, v0
	s_and_b64 exec, exec, vcc
	s_cbranch_execz .LBB66_200
; %bb.199:
	v_mov_b32_e32 v8, 0
	ds_write_b64 v8, v[20:21] offset:48
	ds_write_b8 v8, v52 offset:56
.LBB66_200:
	s_or_b64 exec, exec, s[52:53]
	v_mov_b32_e32 v20, 0
	s_waitcnt lgkmcnt(0)
	s_barrier
	ds_read_b64 v[8:9], v20 offset:48
	v_cmp_ne_u32_e32 vcc, 0, v0
	v_mov_b32_e32 v21, v1
	v_mov_b64_e32 v[12:13], v[2:3]
	s_and_saveexec_b64 s[2:3], vcc
; %bb.201:
	v_cndmask_b32_e64 v4, v45, v4, s[48:49]
	v_cndmask_b32_e64 v5, v48, v5, s[48:49]
	v_cmp_eq_u16_sdwa vcc, v1, v20 src0_sel:BYTE_0 src1_sel:DWORD
	v_cndmask_b32_e64 v21, v49, v44, s[48:49]
	s_nop 0
	v_cndmask_b32_e32 v5, 0, v5, vcc
	v_cndmask_b32_e32 v4, 0, v4, vcc
	v_lshl_add_u64 v[12:13], v[4:5], 0, v[2:3]
	v_and_b32_e32 v4, 1, v21
	v_cmp_eq_u32_e32 vcc, 1, v4
	s_or_b64 s[12:13], s[12:13], vcc
	v_cndmask_b32_e64 v21, 0, 1, s[12:13]
; %bb.202:
	s_or_b64 exec, exec, s[2:3]
	v_cmp_eq_u16_sdwa vcc, v21, v20 src0_sel:BYTE_0 src1_sel:DWORD
	s_waitcnt lgkmcnt(0)
	s_nop 0
	v_cndmask_b32_e32 v5, 0, v9, vcc
	v_cndmask_b32_e32 v4, 0, v8, vcc
	v_lshl_add_u64 v[122:123], v[4:5], 0, v[12:13]
	v_cndmask_b32_e64 v5, 0, v123, s[4:5]
	v_cndmask_b32_e64 v4, 0, v122, s[4:5]
	v_lshl_add_u64 v[82:83], v[4:5], 0, v[14:15]
	v_cndmask_b32_e64 v5, 0, v83, s[6:7]
	v_cndmask_b32_e64 v4, 0, v82, s[6:7]
	;; [unrolled: 3-line block ×20, first 2 shown]
	v_lshl_add_u64 v[120:121], v[4:5], 0, v[16:17]
	s_branch .LBB66_233
.LBB66_203:
                                        ; implicit-def: $vgpr122_vgpr123
                                        ; implicit-def: $vgpr120_vgpr121
                                        ; implicit-def: $vgpr76_vgpr77
                                        ; implicit-def: $vgpr72_vgpr73
                                        ; implicit-def: $vgpr68_vgpr69
                                        ; implicit-def: $vgpr64_vgpr65
                                        ; implicit-def: $vgpr60_vgpr61
                                        ; implicit-def: $vgpr56_vgpr57
                                        ; implicit-def: $vgpr52_vgpr53
                                        ; implicit-def: $vgpr48_vgpr49
                                        ; implicit-def: $vgpr44_vgpr45
                                        ; implicit-def: $vgpr116_vgpr117_vgpr118_vgpr119
                                        ; implicit-def: $vgpr112_vgpr113_vgpr114_vgpr115
                                        ; implicit-def: $vgpr108_vgpr109_vgpr110_vgpr111
                                        ; implicit-def: $vgpr104_vgpr105_vgpr106_vgpr107
                                        ; implicit-def: $vgpr100_vgpr101_vgpr102_vgpr103
                                        ; implicit-def: $vgpr96_vgpr97_vgpr98_vgpr99
                                        ; implicit-def: $vgpr92_vgpr93_vgpr94_vgpr95
                                        ; implicit-def: $vgpr88_vgpr89_vgpr90_vgpr91
                                        ; implicit-def: $vgpr84_vgpr85_vgpr86_vgpr87
                                        ; implicit-def: $vgpr80_vgpr81_vgpr82_vgpr83
	s_cbranch_execz .LBB66_233
; %bb.204:
	s_cmp_lg_u64 s[98:99], 0
	s_cselect_b64 s[2:3], -1, 0
	v_cmp_eq_u32_e32 vcc, 0, v0
	v_cmp_ne_u32_e64 s[4:5], 0, v0
	s_and_b64 s[2:3], vcc, s[2:3]
	s_and_saveexec_b64 s[6:7], s[2:3]
	s_cbranch_execz .LBB66_206
; %bb.205:
	v_mov_b32_e32 v4, 0
	global_load_ubyte v8, v4, s[98:99] offset:8
	s_load_dwordx2 s[8:9], s[98:99], 0x0
	v_cmp_eq_u16_sdwa s[2:3], v1, v4 src0_sel:BYTE_0 src1_sel:DWORD
	s_waitcnt lgkmcnt(0)
	v_mov_b32_e32 v5, s9
	v_mov_b32_e32 v4, s8
	v_cndmask_b32_e64 v5, 0, v5, s[2:3]
	v_cndmask_b32_e64 v4, 0, v4, s[2:3]
	v_lshl_add_u64 v[2:3], v[4:5], 0, v[2:3]
	s_waitcnt vmcnt(0)
	v_or_b32_e32 v1, v1, v8
	v_and_b32_e32 v1, 1, v1
.LBB66_206:
	s_or_b64 exec, exec, s[6:7]
	v_mov_b32_e32 v8, 0
	v_and_b32_e32 v4, 1, v1
	v_cmp_eq_u16_sdwa s[6:7], v130, v8 src0_sel:BYTE_0 src1_sel:DWORD
	v_cmp_eq_u32_e64 s[48:49], 1, v4
	v_cmp_eq_u16_sdwa s[8:9], v132, v8 src0_sel:BYTE_0 src1_sel:DWORD
	v_cndmask_b32_e64 v5, 0, v3, s[6:7]
	v_cndmask_b32_e64 v4, 0, v2, s[6:7]
	v_lshl_add_u64 v[82:83], v[4:5], 0, v[14:15]
	s_movk_i32 s42, 0xff
	v_cndmask_b32_e64 v5, 0, v83, s[8:9]
	v_cndmask_b32_e64 v4, 0, v82, s[8:9]
	v_lshl_add_u64 v[84:85], v[4:5], 0, v[6:7]
	v_and_b32_sdwa v4, v130, s42 dst_sel:DWORD dst_unused:UNUSED_PAD src0_sel:WORD_1 src1_sel:DWORD
	v_cmp_eq_u16_e64 s[10:11], 0, v4
	v_cmp_eq_u16_sdwa s[12:13], v130, v8 src0_sel:BYTE_3 src1_sel:DWORD
	v_cmp_eq_u16_sdwa s[14:15], v125, v8 src0_sel:BYTE_0 src1_sel:DWORD
	v_cndmask_b32_e64 v5, 0, v85, s[10:11]
	v_cndmask_b32_e64 v4, 0, v84, s[10:11]
	v_lshl_add_u64 v[44:45], v[4:5], 0, v[26:27]
	v_cndmask_b32_e64 v5, 0, v45, s[12:13]
	v_cndmask_b32_e64 v4, 0, v44, s[12:13]
	v_lshl_add_u64 v[88:89], v[4:5], 0, v[18:19]
	;; [unrolled: 3-line block ×3, first 2 shown]
	v_cmp_eq_u16_sdwa s[16:17], v129, v8 src0_sel:BYTE_0 src1_sel:DWORD
	v_cmp_eq_u16_sdwa s[18:19], v41, v8 src0_sel:BYTE_0 src1_sel:DWORD
	v_cmp_eq_u16_sdwa s[22:23], v129, v8 src0_sel:BYTE_3 src1_sel:DWORD
	v_cndmask_b32_e64 v5, 0, v49, s[16:17]
	v_cndmask_b32_e64 v4, 0, v48, s[16:17]
	v_lshl_add_u64 v[92:93], v[4:5], 0, v[22:23]
	v_cndmask_b32_e64 v5, 0, v93, s[18:19]
	v_cndmask_b32_e64 v4, 0, v92, s[18:19]
	v_lshl_add_u64 v[52:53], v[4:5], 0, v[42:43]
	v_and_b32_sdwa v4, v129, s42 dst_sel:DWORD dst_unused:UNUSED_PAD src0_sel:WORD_1 src1_sel:DWORD
	v_cmp_eq_u16_e64 s[20:21], 0, v4
	v_cmp_eq_u16_sdwa s[24:25], v126, v8 src0_sel:BYTE_0 src1_sel:DWORD
	v_cmp_eq_u16_sdwa s[26:27], v128, v8 src0_sel:BYTE_0 src1_sel:DWORD
	v_cndmask_b32_e64 v5, 0, v53, s[20:21]
	v_cndmask_b32_e64 v4, 0, v52, s[20:21]
	v_lshl_add_u64 v[96:97], v[4:5], 0, v[30:31]
	v_cndmask_b32_e64 v5, 0, v97, s[22:23]
	v_cndmask_b32_e64 v4, 0, v96, s[22:23]
	v_lshl_add_u64 v[56:57], v[4:5], 0, v[50:51]
	;; [unrolled: 3-line block ×4, first 2 shown]
	v_cmp_eq_u16_sdwa s[28:29], v40, v8 src0_sel:BYTE_0 src1_sel:DWORD
	v_cmp_eq_u16_sdwa s[34:35], v128, v8 src0_sel:BYTE_3 src1_sel:DWORD
	v_cmp_eq_u16_sdwa s[36:37], v124, v8 src0_sel:BYTE_0 src1_sel:DWORD
	v_cndmask_b32_e64 v5, 0, v61, s[28:29]
	v_cndmask_b32_e64 v4, 0, v60, s[28:29]
	v_lshl_add_u64 v[104:105], v[4:5], 0, v[46:47]
	v_and_b32_sdwa v4, v128, s42 dst_sel:DWORD dst_unused:UNUSED_PAD src0_sel:WORD_1 src1_sel:DWORD
	v_cmp_eq_u16_e64 s[30:31], 0, v4
	v_cmp_eq_u16_sdwa s[38:39], v127, v8 src0_sel:BYTE_0 src1_sel:DWORD
	v_cmp_eq_u16_sdwa s[40:41], v36, v8 src0_sel:BYTE_0 src1_sel:DWORD
	v_cndmask_b32_e64 v5, 0, v105, s[30:31]
	v_cndmask_b32_e64 v4, 0, v104, s[30:31]
	v_lshl_add_u64 v[64:65], v[4:5], 0, v[66:67]
	v_cndmask_b32_e64 v5, 0, v65, s[34:35]
	v_cndmask_b32_e64 v4, 0, v64, s[34:35]
	v_lshl_add_u64 v[108:109], v[4:5], 0, v[54:55]
	;; [unrolled: 3-line block ×5, first 2 shown]
	v_and_b32_sdwa v4, v127, s42 dst_sel:DWORD dst_unused:UNUSED_PAD src0_sel:WORD_1 src1_sel:DWORD
	v_cmp_eq_u16_e64 s[42:43], 0, v4
	v_cmp_eq_u16_sdwa s[44:45], v127, v8 src0_sel:BYTE_3 src1_sel:DWORD
	v_cmp_eq_u16_sdwa s[46:47], v28, v8 src0_sel:BYTE_0 src1_sel:DWORD
	v_cndmask_b32_e64 v5, 0, v73, s[42:43]
	v_cndmask_b32_e64 v4, 0, v72, s[42:43]
	v_lshl_add_u64 v[116:117], v[4:5], 0, v[70:71]
	v_cndmask_b32_e64 v5, 0, v117, s[44:45]
	v_cndmask_b32_e64 v4, 0, v116, s[44:45]
	v_lshl_add_u64 v[76:77], v[4:5], 0, v[10:11]
	;; [unrolled: 3-line block ×3, first 2 shown]
	v_or_b32_e32 v4, v127, v128
	v_or3_b32 v4, v4, v129, v130
	v_lshrrev_b16_e32 v8, 7, v4
	v_and_b32_e32 v5, 1, v4
	v_and_b32_e32 v8, 2, v8
	v_or_b32_e32 v5, v5, v8
	v_lshrrev_b32_e32 v8, 23, v4
	v_mov_b32_e32 v9, 1
	v_and_b32_e32 v8, 2, v8
	v_and_b32_sdwa v4, v4, v9 dst_sel:DWORD dst_unused:UNUSED_PAD src0_sel:WORD_1 src1_sel:DWORD
	v_or_b32_e32 v4, v4, v8
	v_lshlrev_b16_e32 v4, 2, v4
	v_or_b32_e32 v4, v5, v4
	v_cmp_eq_u32_e64 s[54:55], 1, v32
	v_cmp_ne_u16_e64 s[56:57], 0, v4
	v_cmp_eq_u32_e64 s[52:53], 1, v33
	s_or_b64 s[54:55], s[56:57], s[54:55]
	v_cmp_eq_u32_e64 s[2:3], 1, v37
	s_or_b64 s[52:53], s[54:55], s[52:53]
	;; [unrolled: 2-line block ×3, first 2 shown]
	s_or_b64 s[2:3], s[2:3], s[50:51]
	s_or_b64 s[48:49], s[2:3], s[48:49]
	v_mbcnt_hi_u32_b32 v12, -1, v29
	v_and_b32_e32 v21, 15, v12
	v_cndmask_b32_e64 v20, 0, 1, s[48:49]
	v_cndmask_b32_e64 v13, 0, 1, s[48:49]
	v_mov_b32_dpp v24, v120 row_shr:1 row_mask:0xf bank_mask:0xf
	v_mov_b32_dpp v25, v121 row_shr:1 row_mask:0xf bank_mask:0xf
	v_mov_b32_dpp v28, v20 row_shr:1 row_mask:0xf bank_mask:0xf
	v_cmp_ne_u32_e64 s[2:3], 0, v21
	v_mov_b32_e32 v4, v120
	v_mov_b32_e32 v5, v121
	v_mov_b64_e32 v[8:9], v[120:121]
	s_and_saveexec_b64 s[50:51], s[2:3]
; %bb.207:
	v_and_b32_e32 v4, 1, v28
	v_or_b32_e32 v13, v4, v13
	v_cndmask_b32_e64 v5, v25, 0, s[48:49]
	v_cndmask_b32_e64 v4, v24, 0, s[48:49]
	v_lshl_add_u64 v[4:5], v[120:121], 0, v[4:5]
	v_and_b32_e32 v20, 0xffff, v13
	v_mov_b64_e32 v[8:9], v[4:5]
; %bb.208:
	s_or_b64 exec, exec, s[50:51]
	v_mov_b32_dpp v24, v4 row_shr:2 row_mask:0xf bank_mask:0xf
	v_mov_b32_dpp v25, v5 row_shr:2 row_mask:0xf bank_mask:0xf
	v_mov_b32_dpp v28, v20 row_shr:2 row_mask:0xf bank_mask:0xf
	v_cmp_lt_u32_e64 s[2:3], 1, v21
	s_and_saveexec_b64 s[50:51], s[2:3]
	s_cbranch_execz .LBB66_210
; %bb.209:
	v_and_b32_e32 v4, 1, v13
	v_cmp_eq_u32_e64 s[2:3], 1, v4
	v_and_b32_e32 v4, 1, v28
	v_cmp_eq_u32_e64 s[48:49], 1, v4
	s_or_b64 s[48:49], s[2:3], s[48:49]
	v_cmp_eq_u16_e64 s[2:3], 0, v13
	v_cndmask_b32_e64 v28, 0, 1, s[48:49]
	v_cndmask_b32_e64 v20, 0, 1, s[48:49]
	v_cndmask_b32_e64 v5, 0, v25, s[2:3]
	v_cndmask_b32_e64 v4, 0, v24, s[2:3]
	v_lshl_add_u64 v[4:5], v[4:5], 0, v[8:9]
	v_mov_b32_e32 v13, v28
	v_mov_b64_e32 v[8:9], v[4:5]
.LBB66_210:
	s_or_b64 exec, exec, s[50:51]
	v_mov_b32_dpp v24, v4 row_shr:4 row_mask:0xf bank_mask:0xf
	v_mov_b32_dpp v25, v5 row_shr:4 row_mask:0xf bank_mask:0xf
	v_mov_b32_dpp v28, v20 row_shr:4 row_mask:0xf bank_mask:0xf
	v_cmp_lt_u32_e64 s[2:3], 3, v21
	s_and_saveexec_b64 s[50:51], s[2:3]
	s_cbranch_execz .LBB66_212
; %bb.211:
	v_and_b32_e32 v4, 1, v13
	v_cmp_eq_u32_e64 s[2:3], 1, v4
	v_and_b32_e32 v4, 1, v28
	v_cmp_eq_u32_e64 s[48:49], 1, v4
	s_or_b64 s[48:49], s[2:3], s[48:49]
	v_cmp_eq_u16_e64 s[2:3], 0, v13
	v_cndmask_b32_e64 v28, 0, 1, s[48:49]
	v_cndmask_b32_e64 v20, 0, 1, s[48:49]
	v_cndmask_b32_e64 v5, 0, v25, s[2:3]
	v_cndmask_b32_e64 v4, 0, v24, s[2:3]
	v_lshl_add_u64 v[4:5], v[4:5], 0, v[8:9]
	v_mov_b32_e32 v13, v28
	v_mov_b64_e32 v[8:9], v[4:5]
.LBB66_212:
	;; [unrolled: 22-line block ×3, first 2 shown]
	s_or_b64 exec, exec, s[50:51]
	v_and_b32_e32 v28, 16, v12
	v_mov_b32_dpp v21, v4 row_bcast:15 row_mask:0xf bank_mask:0xf
	v_mov_b32_dpp v24, v5 row_bcast:15 row_mask:0xf bank_mask:0xf
	;; [unrolled: 1-line block ×3, first 2 shown]
	v_cmp_ne_u32_e64 s[2:3], 0, v28
	s_and_saveexec_b64 s[50:51], s[2:3]
	s_cbranch_execz .LBB66_216
; %bb.215:
	v_and_b32_e32 v4, 1, v13
	v_cmp_eq_u32_e64 s[2:3], 1, v4
	v_and_b32_e32 v4, 1, v25
	v_cmp_eq_u32_e64 s[48:49], 1, v4
	s_or_b64 s[48:49], s[2:3], s[48:49]
	v_cmp_eq_u16_e64 s[2:3], 0, v13
	v_cndmask_b32_e64 v25, 0, 1, s[48:49]
	v_cndmask_b32_e64 v20, 0, 1, s[48:49]
	v_cndmask_b32_e64 v5, 0, v24, s[2:3]
	v_cndmask_b32_e64 v4, 0, v21, s[2:3]
	v_lshl_add_u64 v[4:5], v[4:5], 0, v[8:9]
	v_mov_b32_e32 v13, v25
	v_mov_b64_e32 v[8:9], v[4:5]
.LBB66_216:
	s_or_b64 exec, exec, s[50:51]
	v_mov_b32_dpp v21, v4 row_bcast:31 row_mask:0xf bank_mask:0xf
	v_mov_b32_dpp v24, v5 row_bcast:31 row_mask:0xf bank_mask:0xf
	;; [unrolled: 1-line block ×3, first 2 shown]
	v_cmp_lt_u32_e64 s[2:3], 31, v12
	s_and_saveexec_b64 s[50:51], s[2:3]
	s_cbranch_execz .LBB66_218
; %bb.217:
	v_and_b32_e32 v4, 1, v13
	v_cmp_eq_u32_e64 s[2:3], 1, v4
	v_and_b32_e32 v4, 1, v20
	v_cmp_eq_u32_e64 s[48:49], 1, v4
	s_or_b64 s[2:3], s[2:3], s[48:49]
	v_cndmask_b32_e64 v20, 0, 1, s[2:3]
	v_cmp_eq_u16_e64 s[2:3], 0, v13
	v_mov_b32_e32 v13, v20
	s_nop 0
	v_cndmask_b32_e64 v5, 0, v24, s[2:3]
	v_cndmask_b32_e64 v4, 0, v21, s[2:3]
	v_lshl_add_u64 v[4:5], v[4:5], 0, v[8:9]
	v_mov_b64_e32 v[8:9], v[4:5]
.LBB66_218:
	s_or_b64 exec, exec, s[50:51]
	v_or_b32_e32 v21, 63, v0
	v_lshrrev_b32_e32 v20, 6, v0
	v_cmp_eq_u32_e64 s[2:3], v21, v0
	s_and_saveexec_b64 s[48:49], s[2:3]
	s_cbranch_execz .LBB66_220
; %bb.219:
	v_lshlrev_b32_e32 v21, 4, v20
	ds_write_b64 v21, v[8:9]
	ds_write_b8 v21, v13 offset:8
.LBB66_220:
	s_or_b64 exec, exec, s[48:49]
	v_cmp_gt_u32_e64 s[2:3], 4, v0
	s_waitcnt lgkmcnt(0)
	s_barrier
	s_and_saveexec_b64 s[50:51], s[2:3]
	s_cbranch_execz .LBB66_226
; %bb.221:
	v_lshlrev_b32_e32 v21, 4, v0
	ds_read_b64 v[8:9], v21
	ds_read_b32 v25, v21 offset:8
	v_and_b32_e32 v28, 3, v12
	v_cmp_ne_u32_e64 s[2:3], 0, v28
	s_waitcnt lgkmcnt(1)
	v_mov_b32_dpp v32, v8 row_shr:1 row_mask:0xf bank_mask:0xf
	v_mov_b32_dpp v33, v9 row_shr:1 row_mask:0xf bank_mask:0xf
	s_waitcnt lgkmcnt(0)
	v_mov_b32_dpp v36, v25 row_shr:1 row_mask:0xf bank_mask:0xf
	v_mov_b32_e32 v24, v25
	v_mov_b32_e32 v29, v25
	s_and_saveexec_b64 s[48:49], s[2:3]
; %bb.222:
	v_or_b32_e32 v29, v36, v25
	v_mov_b32_e32 v36, 0
	v_cmp_eq_u16_sdwa s[2:3], v25, v36 src0_sel:BYTE_0 src1_sel:DWORD
	v_and_b32_e32 v24, 1, v29
	v_and_b32_e32 v29, 1, v29
	v_cndmask_b32_e64 v33, 0, v33, s[2:3]
	v_cndmask_b32_e64 v32, 0, v32, s[2:3]
	s_movk_i32 s2, 0xff00
	v_lshl_add_u64 v[8:9], v[32:33], 0, v[8:9]
	v_and_or_b32 v25, v25, s2, v29
; %bb.223:
	s_or_b64 exec, exec, s[48:49]
	v_mov_b32_dpp v32, v8 row_shr:2 row_mask:0xf bank_mask:0xf
	v_mov_b32_dpp v33, v9 row_shr:2 row_mask:0xf bank_mask:0xf
	;; [unrolled: 1-line block ×3, first 2 shown]
	v_cmp_lt_u32_e64 s[2:3], 1, v28
	s_and_saveexec_b64 s[52:53], s[2:3]
; %bb.224:
	v_and_b32_e32 v24, 1, v29
	v_cmp_eq_u32_e64 s[2:3], 1, v24
	v_and_b32_e32 v24, 1, v25
	v_cmp_eq_u32_e64 s[48:49], 1, v24
	s_or_b64 s[2:3], s[2:3], s[48:49]
	v_mov_b32_e32 v25, 0
	v_cndmask_b32_e64 v24, 0, 1, s[2:3]
	v_cmp_eq_u16_sdwa s[2:3], v29, v25 src0_sel:BYTE_0 src1_sel:DWORD
	s_nop 1
	v_cndmask_b32_e64 v29, 0, v33, s[2:3]
	v_cndmask_b32_e64 v28, 0, v32, s[2:3]
	v_lshl_add_u64 v[8:9], v[28:29], 0, v[8:9]
; %bb.225:
	s_or_b64 exec, exec, s[52:53]
	ds_write_b64 v21, v[8:9]
	ds_write_b8 v21, v24 offset:8
.LBB66_226:
	s_or_b64 exec, exec, s[50:51]
	v_cmp_lt_u32_e64 s[2:3], 63, v0
	v_mov_b64_e32 v[8:9], 0
	s_waitcnt lgkmcnt(0)
	s_barrier
	s_and_saveexec_b64 s[48:49], s[2:3]
	s_cbranch_execz .LBB66_228
; %bb.227:
	v_lshl_add_u32 v8, v20, 4, -16
	ds_read_b64 v[8:9], v8
	v_cmp_eq_u16_e64 s[2:3], 0, v13
	s_waitcnt lgkmcnt(0)
	s_nop 0
	v_cndmask_b32_e64 v21, 0, v9, s[2:3]
	v_cndmask_b32_e64 v20, 0, v8, s[2:3]
	v_lshl_add_u64 v[4:5], v[4:5], 0, v[20:21]
.LBB66_228:
	s_or_b64 exec, exec, s[48:49]
	v_add_u32_e32 v13, -1, v12
	v_and_b32_e32 v20, 64, v12
	v_cmp_lt_i32_e64 s[2:3], v13, v20
	s_nop 1
	v_cndmask_b32_e64 v13, v13, v12, s[2:3]
	v_lshlrev_b32_e32 v13, 2, v13
	ds_bpermute_b32 v4, v13, v4
	ds_bpermute_b32 v5, v13, v5
	s_and_saveexec_b64 s[48:49], s[4:5]
	s_cbranch_execz .LBB66_230
; %bb.229:
	v_cmp_eq_u32_e64 s[2:3], 0, v12
	s_waitcnt lgkmcnt(1)
	s_nop 0
	v_cndmask_b32_e64 v4, v4, v8, s[2:3]
	v_mov_b32_e32 v8, 0
	s_waitcnt lgkmcnt(0)
	v_cndmask_b32_e64 v5, v5, v9, s[2:3]
	v_cmp_eq_u16_sdwa s[2:3], v1, v8 src0_sel:BYTE_0 src1_sel:DWORD
	s_nop 1
	v_cndmask_b32_e64 v5, 0, v5, s[2:3]
	v_cndmask_b32_e64 v4, 0, v4, s[2:3]
	v_lshl_add_u64 v[2:3], v[4:5], 0, v[2:3]
	v_cndmask_b32_e64 v5, 0, v3, s[6:7]
	v_cndmask_b32_e64 v4, 0, v2, s[6:7]
	v_lshl_add_u64 v[82:83], v[4:5], 0, v[14:15]
	;; [unrolled: 3-line block ×21, first 2 shown]
.LBB66_230:
	s_or_b64 exec, exec, s[48:49]
	s_and_saveexec_b64 s[2:3], vcc
	s_cbranch_execz .LBB66_232
; %bb.231:
	v_mov_b32_e32 v1, 0
	s_waitcnt lgkmcnt(0)
	ds_read_b64 v[4:5], v1 offset:48
	ds_read_u8 v6, v1 offset:56
	s_waitcnt lgkmcnt(1)
	global_store_dword v1, v4, s[90:91] offset:1024 sc1
	global_store_dword v1, v5, s[90:91] offset:1028 sc1
	s_waitcnt lgkmcnt(0)
	global_store_dword v1, v6, s[90:91] offset:1032 sc1
	global_store_dword v1, v1, s[90:91] offset:1036 sc1
	v_mov_b32_e32 v4, 2
	s_waitcnt vmcnt(0)
	global_store_byte v1, v4, s[92:93] offset:64 sc1
.LBB66_232:
	s_or_b64 exec, exec, s[2:3]
	v_mov_b64_e32 v[122:123], v[2:3]
.LBB66_233:
	s_load_dwordx2 s[0:1], s[0:1], 0x18
	v_lshlrev_b32_e32 v42, 3, v0
	s_waitcnt lgkmcnt(0)
	s_add_u32 s0, s0, s96
	s_addc_u32 s1, s1, s97
	s_and_b64 vcc, exec, s[68:69]
	s_cbranch_vccz .LBB66_275
; %bb.234:
	s_movk_i32 s2, 0xa8
	v_mul_i32_i24_e32 v50, 0xffffff60, v0
	v_mul_u32_u24_e32 v1, 0xa8, v0
	v_mad_u32_u24 v2, v0, s2, v50
	s_barrier
	ds_write2_b64 v1, v[122:123], v[82:83] offset1:1
	ds_write2_b64 v1, v[84:85], v[44:45] offset0:2 offset1:3
	ds_write2_b64 v1, v[88:89], v[48:49] offset0:4 offset1:5
	;; [unrolled: 1-line block ×9, first 2 shown]
	ds_write_b64 v1, v[120:121] offset:160
	s_waitcnt lgkmcnt(0)
	s_barrier
	ds_read2st64_b64 v[38:41], v2 offset0:4 offset1:8
	ds_read2st64_b64 v[34:37], v2 offset0:12 offset1:16
	;; [unrolled: 1-line block ×10, first 2 shown]
	s_add_i32 s33, s33, s94
	v_mov_b32_e32 v43, 0
	v_lshl_add_u64 v[46:47], s[0:1], 0, v[42:43]
	v_cmp_gt_u32_e32 vcc, s33, v0
	s_and_saveexec_b64 s[2:3], vcc
	s_cbranch_execz .LBB66_236
; %bb.235:
	v_add_u32_e32 v1, v1, v50
	ds_read_b64 v[50:51], v1
	s_waitcnt lgkmcnt(0)
	global_store_dwordx2 v[46:47], v[50:51], off
.LBB66_236:
	s_or_b64 exec, exec, s[2:3]
	v_or_b32_e32 v1, 0x100, v0
	v_cmp_gt_u32_e32 vcc, s33, v1
	s_and_saveexec_b64 s[2:3], vcc
	s_cbranch_execz .LBB66_238
; %bb.237:
	s_waitcnt lgkmcnt(9)
	global_store_dwordx2 v[46:47], v[38:39], off offset:2048
.LBB66_238:
	s_or_b64 exec, exec, s[2:3]
	v_or_b32_e32 v1, 0x200, v0
	v_cmp_gt_u32_e32 vcc, s33, v1
	s_and_saveexec_b64 s[2:3], vcc
	s_cbranch_execz .LBB66_240
; %bb.239:
	s_waitcnt lgkmcnt(9)
	v_add_co_u32_e32 v38, vcc, 0x1000, v46
	s_nop 1
	v_addc_co_u32_e32 v39, vcc, 0, v47, vcc
	global_store_dwordx2 v[38:39], v[40:41], off
.LBB66_240:
	s_or_b64 exec, exec, s[2:3]
	v_or_b32_e32 v1, 0x300, v0
	v_cmp_gt_u32_e32 vcc, s33, v1
	s_and_saveexec_b64 s[2:3], vcc
	s_cbranch_execz .LBB66_242
; %bb.241:
	s_waitcnt lgkmcnt(9)
	v_add_co_u32_e32 v38, vcc, 0x1000, v46
	s_nop 1
	v_addc_co_u32_e32 v39, vcc, 0, v47, vcc
	s_waitcnt lgkmcnt(8)
	global_store_dwordx2 v[38:39], v[34:35], off offset:2048
.LBB66_242:
	s_or_b64 exec, exec, s[2:3]
	v_or_b32_e32 v1, 0x400, v0
	v_cmp_gt_u32_e32 vcc, s33, v1
	s_and_saveexec_b64 s[2:3], vcc
	s_cbranch_execz .LBB66_244
; %bb.243:
	s_waitcnt lgkmcnt(8)
	v_add_co_u32_e32 v34, vcc, 0x2000, v46
	s_nop 1
	v_addc_co_u32_e32 v35, vcc, 0, v47, vcc
	global_store_dwordx2 v[34:35], v[36:37], off
.LBB66_244:
	s_or_b64 exec, exec, s[2:3]
	v_or_b32_e32 v1, 0x500, v0
	v_cmp_gt_u32_e32 vcc, s33, v1
	s_and_saveexec_b64 s[2:3], vcc
	s_cbranch_execz .LBB66_246
; %bb.245:
	s_waitcnt lgkmcnt(8)
	v_add_co_u32_e32 v34, vcc, 0x2000, v46
	s_nop 1
	v_addc_co_u32_e32 v35, vcc, 0, v47, vcc
	s_waitcnt lgkmcnt(7)
	global_store_dwordx2 v[34:35], v[30:31], off offset:2048
.LBB66_246:
	;; [unrolled: 25-line block ×9, first 2 shown]
	s_or_b64 exec, exec, s[2:3]
	s_waitcnt lgkmcnt(0)
	v_or_b32_e32 v2, 0x1400, v0
	v_mov_b32_e32 v1, v43
	v_cmp_gt_u32_e64 s[2:3], s33, v2
	s_branch .LBB66_277
.LBB66_275:
	s_mov_b64 s[2:3], 0
                                        ; implicit-def: $vgpr4_vgpr5
	s_cbranch_execz .LBB66_277
; %bb.276:
	v_mul_u32_u24_e32 v1, 0xa8, v0
	s_barrier
	s_movk_i32 s4, 0xa8
	ds_write2_b64 v1, v[122:123], v[82:83] offset1:1
	ds_write2_b64 v1, v[84:85], v[44:45] offset0:2 offset1:3
	ds_write2_b64 v1, v[88:89], v[48:49] offset0:4 offset1:5
	;; [unrolled: 1-line block ×9, first 2 shown]
	ds_write_b64 v1, v[120:121] offset:160
	v_mov_b32_e32 v1, 0
	v_mul_i32_i24_e32 v2, 0xffffff60, v0
	v_mad_u32_u24 v2, v0, s4, v2
	v_mov_b32_e32 v43, v1
	s_waitcnt lgkmcnt(0)
	s_barrier
	ds_read2st64_b64 v[6:9], v2 offset1:4
	ds_read2st64_b64 v[10:13], v2 offset0:8 offset1:12
	ds_read2st64_b64 v[14:17], v2 offset0:16 offset1:20
	;; [unrolled: 1-line block ×9, first 2 shown]
	ds_read_b64 v[4:5], v2 offset:40960
	v_lshl_add_u64 v[2:3], s[0:1], 0, v[42:43]
	s_movk_i32 s4, 0x1000
	s_waitcnt lgkmcnt(10)
	global_store_dwordx2 v42, v[6:7], s[0:1]
	global_store_dwordx2 v42, v[8:9], s[0:1] offset:2048
	v_add_co_u32_e32 v6, vcc, s4, v2
	s_movk_i32 s4, 0x2000
	s_nop 0
	v_addc_co_u32_e32 v7, vcc, 0, v3, vcc
	v_add_co_u32_e32 v8, vcc, s4, v2
	s_movk_i32 s4, 0x3000
	s_nop 0
	v_addc_co_u32_e32 v9, vcc, 0, v3, vcc
	s_waitcnt lgkmcnt(9)
	global_store_dwordx2 v[8:9], v[10:11], off offset:-4096
	global_store_dwordx2 v[6:7], v[12:13], off offset:2048
	s_waitcnt lgkmcnt(8)
	global_store_dwordx2 v[8:9], v[14:15], off
	global_store_dwordx2 v[8:9], v[16:17], off offset:2048
	v_add_co_u32_e32 v6, vcc, s4, v2
	s_movk_i32 s4, 0x4000
	s_nop 0
	v_addc_co_u32_e32 v7, vcc, 0, v3, vcc
	v_add_co_u32_e32 v8, vcc, s4, v2
	s_movk_i32 s4, 0x5000
	s_nop 0
	v_addc_co_u32_e32 v9, vcc, 0, v3, vcc
	s_waitcnt lgkmcnt(7)
	global_store_dwordx2 v[8:9], v[18:19], off offset:-4096
	global_store_dwordx2 v[6:7], v[20:21], off offset:2048
	s_waitcnt lgkmcnt(6)
	global_store_dwordx2 v[8:9], v[22:23], off
	global_store_dwordx2 v[8:9], v[24:25], off offset:2048
	;; [unrolled: 14-line block ×3, first 2 shown]
	v_add_co_u32_e32 v6, vcc, s4, v2
	s_or_b64 s[2:3], s[2:3], exec
	s_nop 0
	v_addc_co_u32_e32 v7, vcc, 0, v3, vcc
	s_waitcnt lgkmcnt(3)
	global_store_dwordx2 v[6:7], v[34:35], off
	global_store_dwordx2 v[6:7], v[36:37], off offset:2048
	v_add_co_u32_e32 v6, vcc, 0x8000, v2
	s_nop 1
	v_addc_co_u32_e32 v7, vcc, 0, v3, vcc
	v_add_co_u32_e32 v2, vcc, 0x9000, v2
	s_waitcnt lgkmcnt(2)
	global_store_dwordx2 v[6:7], v[38:39], off
	global_store_dwordx2 v[6:7], v[40:41], off offset:2048
	v_addc_co_u32_e32 v3, vcc, 0, v3, vcc
	s_waitcnt lgkmcnt(1)
	global_store_dwordx2 v[2:3], v[44:45], off
	global_store_dwordx2 v[2:3], v[46:47], off offset:2048
.LBB66_277:
	s_and_saveexec_b64 s[4:5], s[2:3]
	s_cbranch_execz .LBB66_279
; %bb.278:
	v_lshl_add_u64 v[0:1], v[0:1], 3, s[0:1]
	v_add_co_u32_e32 v0, vcc, 0xa000, v0
	s_nop 1
	v_addc_co_u32_e32 v1, vcc, 0, v1, vcc
	s_waitcnt lgkmcnt(0)
	global_store_dwordx2 v[0:1], v[4:5], off
	s_endpgm
.LBB66_279:
	s_endpgm
	.section	.rodata,"a",@progbits
	.p2align	6, 0x0
	.amdhsa_kernel _ZN7rocprim6detail25device_scan_by_key_kernelILNS0_25lookback_scan_determinismE0ELb0ENS0_26wrapped_scan_by_key_configINS_14default_configEimEEPiN6hipcub22TransformInputIteratorImNS7_6CastOpImEEPmlEESB_mNS7_8EqualityENS7_3SumENS0_19lookback_scan_stateINS_5tupleIJmbEEELb0ELb0EEEmEEvT2_T3_T4_T5_T6_T7_T8_mmmPKNSG_IJT9_bEEE
		.amdhsa_group_segment_fixed_size 43008
		.amdhsa_private_segment_fixed_size 0
		.amdhsa_kernarg_size 104
		.amdhsa_user_sgpr_count 2
		.amdhsa_user_sgpr_dispatch_ptr 0
		.amdhsa_user_sgpr_queue_ptr 0
		.amdhsa_user_sgpr_kernarg_segment_ptr 1
		.amdhsa_user_sgpr_dispatch_id 0
		.amdhsa_user_sgpr_kernarg_preload_length 0
		.amdhsa_user_sgpr_kernarg_preload_offset 0
		.amdhsa_user_sgpr_private_segment_size 0
		.amdhsa_uses_dynamic_stack 0
		.amdhsa_enable_private_segment 0
		.amdhsa_system_sgpr_workgroup_id_x 1
		.amdhsa_system_sgpr_workgroup_id_y 0
		.amdhsa_system_sgpr_workgroup_id_z 0
		.amdhsa_system_sgpr_workgroup_info 0
		.amdhsa_system_vgpr_workitem_id 0
		.amdhsa_next_free_vgpr 133
		.amdhsa_next_free_sgpr 100
		.amdhsa_accum_offset 136
		.amdhsa_reserve_vcc 1
		.amdhsa_float_round_mode_32 0
		.amdhsa_float_round_mode_16_64 0
		.amdhsa_float_denorm_mode_32 3
		.amdhsa_float_denorm_mode_16_64 3
		.amdhsa_dx10_clamp 1
		.amdhsa_ieee_mode 1
		.amdhsa_fp16_overflow 0
		.amdhsa_tg_split 0
		.amdhsa_exception_fp_ieee_invalid_op 0
		.amdhsa_exception_fp_denorm_src 0
		.amdhsa_exception_fp_ieee_div_zero 0
		.amdhsa_exception_fp_ieee_overflow 0
		.amdhsa_exception_fp_ieee_underflow 0
		.amdhsa_exception_fp_ieee_inexact 0
		.amdhsa_exception_int_div_zero 0
	.end_amdhsa_kernel
	.section	.text._ZN7rocprim6detail25device_scan_by_key_kernelILNS0_25lookback_scan_determinismE0ELb0ENS0_26wrapped_scan_by_key_configINS_14default_configEimEEPiN6hipcub22TransformInputIteratorImNS7_6CastOpImEEPmlEESB_mNS7_8EqualityENS7_3SumENS0_19lookback_scan_stateINS_5tupleIJmbEEELb0ELb0EEEmEEvT2_T3_T4_T5_T6_T7_T8_mmmPKNSG_IJT9_bEEE,"axG",@progbits,_ZN7rocprim6detail25device_scan_by_key_kernelILNS0_25lookback_scan_determinismE0ELb0ENS0_26wrapped_scan_by_key_configINS_14default_configEimEEPiN6hipcub22TransformInputIteratorImNS7_6CastOpImEEPmlEESB_mNS7_8EqualityENS7_3SumENS0_19lookback_scan_stateINS_5tupleIJmbEEELb0ELb0EEEmEEvT2_T3_T4_T5_T6_T7_T8_mmmPKNSG_IJT9_bEEE,comdat
.Lfunc_end66:
	.size	_ZN7rocprim6detail25device_scan_by_key_kernelILNS0_25lookback_scan_determinismE0ELb0ENS0_26wrapped_scan_by_key_configINS_14default_configEimEEPiN6hipcub22TransformInputIteratorImNS7_6CastOpImEEPmlEESB_mNS7_8EqualityENS7_3SumENS0_19lookback_scan_stateINS_5tupleIJmbEEELb0ELb0EEEmEEvT2_T3_T4_T5_T6_T7_T8_mmmPKNSG_IJT9_bEEE, .Lfunc_end66-_ZN7rocprim6detail25device_scan_by_key_kernelILNS0_25lookback_scan_determinismE0ELb0ENS0_26wrapped_scan_by_key_configINS_14default_configEimEEPiN6hipcub22TransformInputIteratorImNS7_6CastOpImEEPmlEESB_mNS7_8EqualityENS7_3SumENS0_19lookback_scan_stateINS_5tupleIJmbEEELb0ELb0EEEmEEvT2_T3_T4_T5_T6_T7_T8_mmmPKNSG_IJT9_bEEE
                                        ; -- End function
	.section	.AMDGPU.csdata,"",@progbits
; Kernel info:
; codeLenInByte = 17016
; NumSgprs: 106
; NumVgprs: 133
; NumAgprs: 0
; TotalNumVgprs: 133
; ScratchSize: 0
; MemoryBound: 0
; FloatMode: 240
; IeeeMode: 1
; LDSByteSize: 43008 bytes/workgroup (compile time only)
; SGPRBlocks: 13
; VGPRBlocks: 16
; NumSGPRsForWavesPerEU: 106
; NumVGPRsForWavesPerEU: 133
; AccumOffset: 136
; Occupancy: 1
; WaveLimiterHint : 1
; COMPUTE_PGM_RSRC2:SCRATCH_EN: 0
; COMPUTE_PGM_RSRC2:USER_SGPR: 2
; COMPUTE_PGM_RSRC2:TRAP_HANDLER: 0
; COMPUTE_PGM_RSRC2:TGID_X_EN: 1
; COMPUTE_PGM_RSRC2:TGID_Y_EN: 0
; COMPUTE_PGM_RSRC2:TGID_Z_EN: 0
; COMPUTE_PGM_RSRC2:TIDIG_COMP_CNT: 0
; COMPUTE_PGM_RSRC3_GFX90A:ACCUM_OFFSET: 33
; COMPUTE_PGM_RSRC3_GFX90A:TG_SPLIT: 0
	.section	.text._ZN7rocprim6detail31init_lookback_scan_state_kernelINS0_19lookback_scan_stateINS_5tupleIJybEEELb1ELb0EEEEEvT_jjPNS6_10value_typeE,"axG",@progbits,_ZN7rocprim6detail31init_lookback_scan_state_kernelINS0_19lookback_scan_stateINS_5tupleIJybEEELb1ELb0EEEEEvT_jjPNS6_10value_typeE,comdat
	.protected	_ZN7rocprim6detail31init_lookback_scan_state_kernelINS0_19lookback_scan_stateINS_5tupleIJybEEELb1ELb0EEEEEvT_jjPNS6_10value_typeE ; -- Begin function _ZN7rocprim6detail31init_lookback_scan_state_kernelINS0_19lookback_scan_stateINS_5tupleIJybEEELb1ELb0EEEEEvT_jjPNS6_10value_typeE
	.globl	_ZN7rocprim6detail31init_lookback_scan_state_kernelINS0_19lookback_scan_stateINS_5tupleIJybEEELb1ELb0EEEEEvT_jjPNS6_10value_typeE
	.p2align	8
	.type	_ZN7rocprim6detail31init_lookback_scan_state_kernelINS0_19lookback_scan_stateINS_5tupleIJybEEELb1ELb0EEEEEvT_jjPNS6_10value_typeE,@function
_ZN7rocprim6detail31init_lookback_scan_state_kernelINS0_19lookback_scan_stateINS_5tupleIJybEEELb1ELb0EEEEEvT_jjPNS6_10value_typeE: ; @_ZN7rocprim6detail31init_lookback_scan_state_kernelINS0_19lookback_scan_stateINS_5tupleIJybEEELb1ELb0EEEEEvT_jjPNS6_10value_typeE
; %bb.0:
	s_load_dword s3, s[0:1], 0x34
	s_load_dwordx2 s[8:9], s[0:1], 0x20
	s_load_dwordx4 s[4:7], s[0:1], 0x10
	s_waitcnt lgkmcnt(0)
	s_and_b32 s3, s3, 0xffff
	s_mul_i32 s2, s2, s3
	s_cmp_eq_u64 s[8:9], 0
	v_add_u32_e32 v0, s2, v0
	s_cbranch_scc1 .LBB67_11
; %bb.1:
	s_cmp_lt_u32 s7, s6
	s_cselect_b32 s2, s7, 0
	s_mov_b32 s13, 0
	v_cmp_eq_u32_e32 vcc, s2, v0
	s_and_saveexec_b64 s[10:11], vcc
	s_cbranch_execz .LBB67_10
; %bb.2:
	s_add_i32 s12, s7, 64
	v_mov_b32_e32 v1, s12
	global_load_ubyte v1, v1, s[4:5] sc1
	s_load_dwordx4 s[0:3], s[0:1], 0x0
	s_add_u32 s14, s4, s12
	s_addc_u32 s15, s5, 0
	s_waitcnt vmcnt(0)
	v_cmp_ne_u16_e32 vcc, 0, v1
	v_readfirstlane_b32 s7, v1
	s_cbranch_vccz .LBB67_4
; %bb.3:
	s_and_b32 s7, 0xffff, s7
	s_branch .LBB67_9
.LBB67_4:
	s_mov_b32 s7, 1
	v_mov_b32_e32 v1, 0
.LBB67_5:                               ; =>This Loop Header: Depth=1
                                        ;     Child Loop BB67_6 Depth 2
	s_max_u32 s16, s7, 1
.LBB67_6:                               ;   Parent Loop BB67_5 Depth=1
                                        ; =>  This Inner Loop Header: Depth=2
	s_add_i32 s16, s16, -1
	s_cmp_eq_u32 s16, 0
	s_sleep 1
	s_cbranch_scc0 .LBB67_6
; %bb.7:                                ;   in Loop: Header=BB67_5 Depth=1
	global_load_ubyte v2, v1, s[14:15] sc1
	s_cmp_lt_u32 s7, 32
	s_cselect_b64 s[16:17], -1, 0
	s_cmp_lg_u64 s[16:17], 0
	s_addc_u32 s7, s7, 0
	s_waitcnt vmcnt(0)
	v_cmp_ne_u16_e32 vcc, 0, v2
	v_readfirstlane_b32 s16, v2
	s_cbranch_vccz .LBB67_5
; %bb.8:
	s_and_b32 s7, 0xffff, s16
.LBB67_9:
	s_cmp_eq_u32 s7, 1
	s_waitcnt lgkmcnt(0)
	s_cselect_b32 s3, s1, s3
	s_cselect_b32 s2, s0, s2
	s_lshl_b64 s[0:1], s[12:13], 4
	s_add_u32 s0, s2, s0
	s_addc_u32 s1, s3, s1
	v_mov_b32_e32 v1, 0
	global_load_dword v2, v1, s[0:1] sc1
	global_load_dword v3, v1, s[0:1] offset:4 sc1
	global_load_dword v4, v1, s[0:1] offset:8 sc1
	;; [unrolled: 1-line block ×3, first 2 shown]
	s_waitcnt vmcnt(2)
	global_store_dwordx2 v1, v[2:3], s[8:9]
	s_waitcnt vmcnt(2)
	global_store_byte v1, v4, s[8:9] offset:8
.LBB67_10:
	s_or_b64 exec, exec, s[10:11]
.LBB67_11:
	v_cmp_gt_u32_e32 vcc, s6, v0
	s_and_saveexec_b64 s[0:1], vcc
	s_cbranch_execnz .LBB67_14
; %bb.12:
	s_or_b64 exec, exec, s[0:1]
	v_cmp_gt_u32_e32 vcc, 64, v0
	s_and_saveexec_b64 s[0:1], vcc
	s_cbranch_execnz .LBB67_15
.LBB67_13:
	s_endpgm
.LBB67_14:
	v_add_u32_e32 v1, 64, v0
	v_mov_b32_e32 v2, 0
	global_store_byte v1, v2, s[4:5]
	s_or_b64 exec, exec, s[0:1]
	v_cmp_gt_u32_e32 vcc, 64, v0
	s_and_saveexec_b64 s[0:1], vcc
	s_cbranch_execz .LBB67_13
.LBB67_15:
	v_mov_b32_e32 v1, 0xff
	global_store_byte v0, v1, s[4:5]
	s_endpgm
	.section	.rodata,"a",@progbits
	.p2align	6, 0x0
	.amdhsa_kernel _ZN7rocprim6detail31init_lookback_scan_state_kernelINS0_19lookback_scan_stateINS_5tupleIJybEEELb1ELb0EEEEEvT_jjPNS6_10value_typeE
		.amdhsa_group_segment_fixed_size 0
		.amdhsa_private_segment_fixed_size 0
		.amdhsa_kernarg_size 296
		.amdhsa_user_sgpr_count 2
		.amdhsa_user_sgpr_dispatch_ptr 0
		.amdhsa_user_sgpr_queue_ptr 0
		.amdhsa_user_sgpr_kernarg_segment_ptr 1
		.amdhsa_user_sgpr_dispatch_id 0
		.amdhsa_user_sgpr_kernarg_preload_length 0
		.amdhsa_user_sgpr_kernarg_preload_offset 0
		.amdhsa_user_sgpr_private_segment_size 0
		.amdhsa_uses_dynamic_stack 0
		.amdhsa_enable_private_segment 0
		.amdhsa_system_sgpr_workgroup_id_x 1
		.amdhsa_system_sgpr_workgroup_id_y 0
		.amdhsa_system_sgpr_workgroup_id_z 0
		.amdhsa_system_sgpr_workgroup_info 0
		.amdhsa_system_vgpr_workitem_id 0
		.amdhsa_next_free_vgpr 6
		.amdhsa_next_free_sgpr 18
		.amdhsa_accum_offset 8
		.amdhsa_reserve_vcc 1
		.amdhsa_float_round_mode_32 0
		.amdhsa_float_round_mode_16_64 0
		.amdhsa_float_denorm_mode_32 3
		.amdhsa_float_denorm_mode_16_64 3
		.amdhsa_dx10_clamp 1
		.amdhsa_ieee_mode 1
		.amdhsa_fp16_overflow 0
		.amdhsa_tg_split 0
		.amdhsa_exception_fp_ieee_invalid_op 0
		.amdhsa_exception_fp_denorm_src 0
		.amdhsa_exception_fp_ieee_div_zero 0
		.amdhsa_exception_fp_ieee_overflow 0
		.amdhsa_exception_fp_ieee_underflow 0
		.amdhsa_exception_fp_ieee_inexact 0
		.amdhsa_exception_int_div_zero 0
	.end_amdhsa_kernel
	.section	.text._ZN7rocprim6detail31init_lookback_scan_state_kernelINS0_19lookback_scan_stateINS_5tupleIJybEEELb1ELb0EEEEEvT_jjPNS6_10value_typeE,"axG",@progbits,_ZN7rocprim6detail31init_lookback_scan_state_kernelINS0_19lookback_scan_stateINS_5tupleIJybEEELb1ELb0EEEEEvT_jjPNS6_10value_typeE,comdat
.Lfunc_end67:
	.size	_ZN7rocprim6detail31init_lookback_scan_state_kernelINS0_19lookback_scan_stateINS_5tupleIJybEEELb1ELb0EEEEEvT_jjPNS6_10value_typeE, .Lfunc_end67-_ZN7rocprim6detail31init_lookback_scan_state_kernelINS0_19lookback_scan_stateINS_5tupleIJybEEELb1ELb0EEEEEvT_jjPNS6_10value_typeE
                                        ; -- End function
	.section	.AMDGPU.csdata,"",@progbits
; Kernel info:
; codeLenInByte = 388
; NumSgprs: 24
; NumVgprs: 6
; NumAgprs: 0
; TotalNumVgprs: 6
; ScratchSize: 0
; MemoryBound: 0
; FloatMode: 240
; IeeeMode: 1
; LDSByteSize: 0 bytes/workgroup (compile time only)
; SGPRBlocks: 2
; VGPRBlocks: 0
; NumSGPRsForWavesPerEU: 24
; NumVGPRsForWavesPerEU: 6
; AccumOffset: 8
; Occupancy: 8
; WaveLimiterHint : 0
; COMPUTE_PGM_RSRC2:SCRATCH_EN: 0
; COMPUTE_PGM_RSRC2:USER_SGPR: 2
; COMPUTE_PGM_RSRC2:TRAP_HANDLER: 0
; COMPUTE_PGM_RSRC2:TGID_X_EN: 1
; COMPUTE_PGM_RSRC2:TGID_Y_EN: 0
; COMPUTE_PGM_RSRC2:TGID_Z_EN: 0
; COMPUTE_PGM_RSRC2:TIDIG_COMP_CNT: 0
; COMPUTE_PGM_RSRC3_GFX90A:ACCUM_OFFSET: 1
; COMPUTE_PGM_RSRC3_GFX90A:TG_SPLIT: 0
	.section	.text._ZN7rocprim6detail31init_lookback_scan_state_kernelINS0_19lookback_scan_stateINS_5tupleIJybEEELb0ELb0EEEEEvT_jjPNS6_10value_typeE,"axG",@progbits,_ZN7rocprim6detail31init_lookback_scan_state_kernelINS0_19lookback_scan_stateINS_5tupleIJybEEELb0ELb0EEEEEvT_jjPNS6_10value_typeE,comdat
	.protected	_ZN7rocprim6detail31init_lookback_scan_state_kernelINS0_19lookback_scan_stateINS_5tupleIJybEEELb0ELb0EEEEEvT_jjPNS6_10value_typeE ; -- Begin function _ZN7rocprim6detail31init_lookback_scan_state_kernelINS0_19lookback_scan_stateINS_5tupleIJybEEELb0ELb0EEEEEvT_jjPNS6_10value_typeE
	.globl	_ZN7rocprim6detail31init_lookback_scan_state_kernelINS0_19lookback_scan_stateINS_5tupleIJybEEELb0ELb0EEEEEvT_jjPNS6_10value_typeE
	.p2align	8
	.type	_ZN7rocprim6detail31init_lookback_scan_state_kernelINS0_19lookback_scan_stateINS_5tupleIJybEEELb0ELb0EEEEEvT_jjPNS6_10value_typeE,@function
_ZN7rocprim6detail31init_lookback_scan_state_kernelINS0_19lookback_scan_stateINS_5tupleIJybEEELb0ELb0EEEEEvT_jjPNS6_10value_typeE: ; @_ZN7rocprim6detail31init_lookback_scan_state_kernelINS0_19lookback_scan_stateINS_5tupleIJybEEELb0ELb0EEEEEvT_jjPNS6_10value_typeE
; %bb.0:
	s_load_dword s3, s[0:1], 0x34
	s_load_dwordx2 s[8:9], s[0:1], 0x20
	s_load_dwordx4 s[4:7], s[0:1], 0x10
	s_waitcnt lgkmcnt(0)
	s_and_b32 s3, s3, 0xffff
	s_mul_i32 s2, s2, s3
	s_cmp_eq_u64 s[8:9], 0
	v_add_u32_e32 v0, s2, v0
	s_cbranch_scc1 .LBB68_7
; %bb.1:
	s_cmp_lt_u32 s7, s6
	s_cselect_b32 s2, s7, 0
	s_mov_b32 s13, 0
	v_cmp_eq_u32_e32 vcc, s2, v0
	s_and_saveexec_b64 s[10:11], vcc
	s_cbranch_execz .LBB68_6
; %bb.2:
	s_add_i32 s12, s7, 64
	v_mov_b32_e32 v1, s12
	global_load_ubyte v1, v1, s[4:5] sc1
	s_load_dwordx4 s[0:3], s[0:1], 0x0
	s_add_u32 s14, s4, s12
	s_addc_u32 s15, s5, 0
	s_waitcnt vmcnt(0)
	v_cmp_ne_u16_e32 vcc, 0, v1
	v_readfirstlane_b32 s7, v1
	s_cbranch_vccnz .LBB68_5
; %bb.3:
	v_mov_b32_e32 v1, 0
.LBB68_4:                               ; =>This Inner Loop Header: Depth=1
	global_load_ubyte v2, v1, s[14:15] sc1
	s_waitcnt vmcnt(0)
	v_cmp_eq_u16_e32 vcc, 0, v2
	v_readfirstlane_b32 s7, v2
	s_cbranch_vccnz .LBB68_4
.LBB68_5:
	s_and_b32 s7, 0xffff, s7
	s_cmp_eq_u32 s7, 1
	s_waitcnt lgkmcnt(0)
	s_cselect_b32 s3, s1, s3
	s_cselect_b32 s2, s0, s2
	s_lshl_b64 s[0:1], s[12:13], 4
	s_add_u32 s0, s2, s0
	s_addc_u32 s1, s3, s1
	v_mov_b32_e32 v1, 0
	global_load_dword v2, v1, s[0:1] sc1
	global_load_dword v3, v1, s[0:1] offset:4 sc1
	global_load_dword v4, v1, s[0:1] offset:8 sc1
	;; [unrolled: 1-line block ×3, first 2 shown]
	s_waitcnt vmcnt(2)
	global_store_dwordx2 v1, v[2:3], s[8:9]
	s_waitcnt vmcnt(2)
	global_store_byte v1, v4, s[8:9] offset:8
.LBB68_6:
	s_or_b64 exec, exec, s[10:11]
.LBB68_7:
	v_cmp_gt_u32_e32 vcc, s6, v0
	s_and_saveexec_b64 s[0:1], vcc
	s_cbranch_execnz .LBB68_10
; %bb.8:
	s_or_b64 exec, exec, s[0:1]
	v_cmp_gt_u32_e32 vcc, 64, v0
	s_and_saveexec_b64 s[0:1], vcc
	s_cbranch_execnz .LBB68_11
.LBB68_9:
	s_endpgm
.LBB68_10:
	v_add_u32_e32 v1, 64, v0
	v_mov_b32_e32 v2, 0
	global_store_byte v1, v2, s[4:5]
	s_or_b64 exec, exec, s[0:1]
	v_cmp_gt_u32_e32 vcc, 64, v0
	s_and_saveexec_b64 s[0:1], vcc
	s_cbranch_execz .LBB68_9
.LBB68_11:
	v_mov_b32_e32 v1, 0xff
	global_store_byte v0, v1, s[4:5]
	s_endpgm
	.section	.rodata,"a",@progbits
	.p2align	6, 0x0
	.amdhsa_kernel _ZN7rocprim6detail31init_lookback_scan_state_kernelINS0_19lookback_scan_stateINS_5tupleIJybEEELb0ELb0EEEEEvT_jjPNS6_10value_typeE
		.amdhsa_group_segment_fixed_size 0
		.amdhsa_private_segment_fixed_size 0
		.amdhsa_kernarg_size 296
		.amdhsa_user_sgpr_count 2
		.amdhsa_user_sgpr_dispatch_ptr 0
		.amdhsa_user_sgpr_queue_ptr 0
		.amdhsa_user_sgpr_kernarg_segment_ptr 1
		.amdhsa_user_sgpr_dispatch_id 0
		.amdhsa_user_sgpr_kernarg_preload_length 0
		.amdhsa_user_sgpr_kernarg_preload_offset 0
		.amdhsa_user_sgpr_private_segment_size 0
		.amdhsa_uses_dynamic_stack 0
		.amdhsa_enable_private_segment 0
		.amdhsa_system_sgpr_workgroup_id_x 1
		.amdhsa_system_sgpr_workgroup_id_y 0
		.amdhsa_system_sgpr_workgroup_id_z 0
		.amdhsa_system_sgpr_workgroup_info 0
		.amdhsa_system_vgpr_workitem_id 0
		.amdhsa_next_free_vgpr 6
		.amdhsa_next_free_sgpr 16
		.amdhsa_accum_offset 8
		.amdhsa_reserve_vcc 1
		.amdhsa_float_round_mode_32 0
		.amdhsa_float_round_mode_16_64 0
		.amdhsa_float_denorm_mode_32 3
		.amdhsa_float_denorm_mode_16_64 3
		.amdhsa_dx10_clamp 1
		.amdhsa_ieee_mode 1
		.amdhsa_fp16_overflow 0
		.amdhsa_tg_split 0
		.amdhsa_exception_fp_ieee_invalid_op 0
		.amdhsa_exception_fp_denorm_src 0
		.amdhsa_exception_fp_ieee_div_zero 0
		.amdhsa_exception_fp_ieee_overflow 0
		.amdhsa_exception_fp_ieee_underflow 0
		.amdhsa_exception_fp_ieee_inexact 0
		.amdhsa_exception_int_div_zero 0
	.end_amdhsa_kernel
	.section	.text._ZN7rocprim6detail31init_lookback_scan_state_kernelINS0_19lookback_scan_stateINS_5tupleIJybEEELb0ELb0EEEEEvT_jjPNS6_10value_typeE,"axG",@progbits,_ZN7rocprim6detail31init_lookback_scan_state_kernelINS0_19lookback_scan_stateINS_5tupleIJybEEELb0ELb0EEEEEvT_jjPNS6_10value_typeE,comdat
.Lfunc_end68:
	.size	_ZN7rocprim6detail31init_lookback_scan_state_kernelINS0_19lookback_scan_stateINS_5tupleIJybEEELb0ELb0EEEEEvT_jjPNS6_10value_typeE, .Lfunc_end68-_ZN7rocprim6detail31init_lookback_scan_state_kernelINS0_19lookback_scan_stateINS_5tupleIJybEEELb0ELb0EEEEEvT_jjPNS6_10value_typeE
                                        ; -- End function
	.section	.AMDGPU.csdata,"",@progbits
; Kernel info:
; codeLenInByte = 336
; NumSgprs: 22
; NumVgprs: 6
; NumAgprs: 0
; TotalNumVgprs: 6
; ScratchSize: 0
; MemoryBound: 0
; FloatMode: 240
; IeeeMode: 1
; LDSByteSize: 0 bytes/workgroup (compile time only)
; SGPRBlocks: 2
; VGPRBlocks: 0
; NumSGPRsForWavesPerEU: 22
; NumVGPRsForWavesPerEU: 6
; AccumOffset: 8
; Occupancy: 8
; WaveLimiterHint : 0
; COMPUTE_PGM_RSRC2:SCRATCH_EN: 0
; COMPUTE_PGM_RSRC2:USER_SGPR: 2
; COMPUTE_PGM_RSRC2:TRAP_HANDLER: 0
; COMPUTE_PGM_RSRC2:TGID_X_EN: 1
; COMPUTE_PGM_RSRC2:TGID_Y_EN: 0
; COMPUTE_PGM_RSRC2:TGID_Z_EN: 0
; COMPUTE_PGM_RSRC2:TIDIG_COMP_CNT: 0
; COMPUTE_PGM_RSRC3_GFX90A:ACCUM_OFFSET: 1
; COMPUTE_PGM_RSRC3_GFX90A:TG_SPLIT: 0
	.section	.text._ZN7rocprim6detail25device_scan_by_key_kernelILNS0_25lookback_scan_determinismE0ELb0ENS0_26wrapped_scan_by_key_configINS_14default_configEiyEEPiN6hipcub22TransformInputIteratorIyNS7_6CastOpIyEEPylEESB_yNS7_8EqualityENS7_3SumENS0_19lookback_scan_stateINS_5tupleIJybEEELb1ELb0EEEyEEvT2_T3_T4_T5_T6_T7_T8_mmmPKNSG_IJT9_bEEE,"axG",@progbits,_ZN7rocprim6detail25device_scan_by_key_kernelILNS0_25lookback_scan_determinismE0ELb0ENS0_26wrapped_scan_by_key_configINS_14default_configEiyEEPiN6hipcub22TransformInputIteratorIyNS7_6CastOpIyEEPylEESB_yNS7_8EqualityENS7_3SumENS0_19lookback_scan_stateINS_5tupleIJybEEELb1ELb0EEEyEEvT2_T3_T4_T5_T6_T7_T8_mmmPKNSG_IJT9_bEEE,comdat
	.protected	_ZN7rocprim6detail25device_scan_by_key_kernelILNS0_25lookback_scan_determinismE0ELb0ENS0_26wrapped_scan_by_key_configINS_14default_configEiyEEPiN6hipcub22TransformInputIteratorIyNS7_6CastOpIyEEPylEESB_yNS7_8EqualityENS7_3SumENS0_19lookback_scan_stateINS_5tupleIJybEEELb1ELb0EEEyEEvT2_T3_T4_T5_T6_T7_T8_mmmPKNSG_IJT9_bEEE ; -- Begin function _ZN7rocprim6detail25device_scan_by_key_kernelILNS0_25lookback_scan_determinismE0ELb0ENS0_26wrapped_scan_by_key_configINS_14default_configEiyEEPiN6hipcub22TransformInputIteratorIyNS7_6CastOpIyEEPylEESB_yNS7_8EqualityENS7_3SumENS0_19lookback_scan_stateINS_5tupleIJybEEELb1ELb0EEEyEEvT2_T3_T4_T5_T6_T7_T8_mmmPKNSG_IJT9_bEEE
	.globl	_ZN7rocprim6detail25device_scan_by_key_kernelILNS0_25lookback_scan_determinismE0ELb0ENS0_26wrapped_scan_by_key_configINS_14default_configEiyEEPiN6hipcub22TransformInputIteratorIyNS7_6CastOpIyEEPylEESB_yNS7_8EqualityENS7_3SumENS0_19lookback_scan_stateINS_5tupleIJybEEELb1ELb0EEEyEEvT2_T3_T4_T5_T6_T7_T8_mmmPKNSG_IJT9_bEEE
	.p2align	8
	.type	_ZN7rocprim6detail25device_scan_by_key_kernelILNS0_25lookback_scan_determinismE0ELb0ENS0_26wrapped_scan_by_key_configINS_14default_configEiyEEPiN6hipcub22TransformInputIteratorIyNS7_6CastOpIyEEPylEESB_yNS7_8EqualityENS7_3SumENS0_19lookback_scan_stateINS_5tupleIJybEEELb1ELb0EEEyEEvT2_T3_T4_T5_T6_T7_T8_mmmPKNSG_IJT9_bEEE,@function
_ZN7rocprim6detail25device_scan_by_key_kernelILNS0_25lookback_scan_determinismE0ELb0ENS0_26wrapped_scan_by_key_configINS_14default_configEiyEEPiN6hipcub22TransformInputIteratorIyNS7_6CastOpIyEEPylEESB_yNS7_8EqualityENS7_3SumENS0_19lookback_scan_stateINS_5tupleIJybEEELb1ELb0EEEyEEvT2_T3_T4_T5_T6_T7_T8_mmmPKNSG_IJT9_bEEE: ; @_ZN7rocprim6detail25device_scan_by_key_kernelILNS0_25lookback_scan_determinismE0ELb0ENS0_26wrapped_scan_by_key_configINS_14default_configEiyEEPiN6hipcub22TransformInputIteratorIyNS7_6CastOpIyEEPylEESB_yNS7_8EqualityENS7_3SumENS0_19lookback_scan_stateINS_5tupleIJybEEELb1ELb0EEEyEEvT2_T3_T4_T5_T6_T7_T8_mmmPKNSG_IJT9_bEEE
; %bb.0:
	s_endpgm
	.section	.rodata,"a",@progbits
	.p2align	6, 0x0
	.amdhsa_kernel _ZN7rocprim6detail25device_scan_by_key_kernelILNS0_25lookback_scan_determinismE0ELb0ENS0_26wrapped_scan_by_key_configINS_14default_configEiyEEPiN6hipcub22TransformInputIteratorIyNS7_6CastOpIyEEPylEESB_yNS7_8EqualityENS7_3SumENS0_19lookback_scan_stateINS_5tupleIJybEEELb1ELb0EEEyEEvT2_T3_T4_T5_T6_T7_T8_mmmPKNSG_IJT9_bEEE
		.amdhsa_group_segment_fixed_size 0
		.amdhsa_private_segment_fixed_size 0
		.amdhsa_kernarg_size 104
		.amdhsa_user_sgpr_count 2
		.amdhsa_user_sgpr_dispatch_ptr 0
		.amdhsa_user_sgpr_queue_ptr 0
		.amdhsa_user_sgpr_kernarg_segment_ptr 1
		.amdhsa_user_sgpr_dispatch_id 0
		.amdhsa_user_sgpr_kernarg_preload_length 0
		.amdhsa_user_sgpr_kernarg_preload_offset 0
		.amdhsa_user_sgpr_private_segment_size 0
		.amdhsa_uses_dynamic_stack 0
		.amdhsa_enable_private_segment 0
		.amdhsa_system_sgpr_workgroup_id_x 1
		.amdhsa_system_sgpr_workgroup_id_y 0
		.amdhsa_system_sgpr_workgroup_id_z 0
		.amdhsa_system_sgpr_workgroup_info 0
		.amdhsa_system_vgpr_workitem_id 0
		.amdhsa_next_free_vgpr 1
		.amdhsa_next_free_sgpr 0
		.amdhsa_accum_offset 4
		.amdhsa_reserve_vcc 0
		.amdhsa_float_round_mode_32 0
		.amdhsa_float_round_mode_16_64 0
		.amdhsa_float_denorm_mode_32 3
		.amdhsa_float_denorm_mode_16_64 3
		.amdhsa_dx10_clamp 1
		.amdhsa_ieee_mode 1
		.amdhsa_fp16_overflow 0
		.amdhsa_tg_split 0
		.amdhsa_exception_fp_ieee_invalid_op 0
		.amdhsa_exception_fp_denorm_src 0
		.amdhsa_exception_fp_ieee_div_zero 0
		.amdhsa_exception_fp_ieee_overflow 0
		.amdhsa_exception_fp_ieee_underflow 0
		.amdhsa_exception_fp_ieee_inexact 0
		.amdhsa_exception_int_div_zero 0
	.end_amdhsa_kernel
	.section	.text._ZN7rocprim6detail25device_scan_by_key_kernelILNS0_25lookback_scan_determinismE0ELb0ENS0_26wrapped_scan_by_key_configINS_14default_configEiyEEPiN6hipcub22TransformInputIteratorIyNS7_6CastOpIyEEPylEESB_yNS7_8EqualityENS7_3SumENS0_19lookback_scan_stateINS_5tupleIJybEEELb1ELb0EEEyEEvT2_T3_T4_T5_T6_T7_T8_mmmPKNSG_IJT9_bEEE,"axG",@progbits,_ZN7rocprim6detail25device_scan_by_key_kernelILNS0_25lookback_scan_determinismE0ELb0ENS0_26wrapped_scan_by_key_configINS_14default_configEiyEEPiN6hipcub22TransformInputIteratorIyNS7_6CastOpIyEEPylEESB_yNS7_8EqualityENS7_3SumENS0_19lookback_scan_stateINS_5tupleIJybEEELb1ELb0EEEyEEvT2_T3_T4_T5_T6_T7_T8_mmmPKNSG_IJT9_bEEE,comdat
.Lfunc_end69:
	.size	_ZN7rocprim6detail25device_scan_by_key_kernelILNS0_25lookback_scan_determinismE0ELb0ENS0_26wrapped_scan_by_key_configINS_14default_configEiyEEPiN6hipcub22TransformInputIteratorIyNS7_6CastOpIyEEPylEESB_yNS7_8EqualityENS7_3SumENS0_19lookback_scan_stateINS_5tupleIJybEEELb1ELb0EEEyEEvT2_T3_T4_T5_T6_T7_T8_mmmPKNSG_IJT9_bEEE, .Lfunc_end69-_ZN7rocprim6detail25device_scan_by_key_kernelILNS0_25lookback_scan_determinismE0ELb0ENS0_26wrapped_scan_by_key_configINS_14default_configEiyEEPiN6hipcub22TransformInputIteratorIyNS7_6CastOpIyEEPylEESB_yNS7_8EqualityENS7_3SumENS0_19lookback_scan_stateINS_5tupleIJybEEELb1ELb0EEEyEEvT2_T3_T4_T5_T6_T7_T8_mmmPKNSG_IJT9_bEEE
                                        ; -- End function
	.section	.AMDGPU.csdata,"",@progbits
; Kernel info:
; codeLenInByte = 4
; NumSgprs: 6
; NumVgprs: 0
; NumAgprs: 0
; TotalNumVgprs: 0
; ScratchSize: 0
; MemoryBound: 0
; FloatMode: 240
; IeeeMode: 1
; LDSByteSize: 0 bytes/workgroup (compile time only)
; SGPRBlocks: 0
; VGPRBlocks: 0
; NumSGPRsForWavesPerEU: 6
; NumVGPRsForWavesPerEU: 1
; AccumOffset: 4
; Occupancy: 8
; WaveLimiterHint : 0
; COMPUTE_PGM_RSRC2:SCRATCH_EN: 0
; COMPUTE_PGM_RSRC2:USER_SGPR: 2
; COMPUTE_PGM_RSRC2:TRAP_HANDLER: 0
; COMPUTE_PGM_RSRC2:TGID_X_EN: 1
; COMPUTE_PGM_RSRC2:TGID_Y_EN: 0
; COMPUTE_PGM_RSRC2:TGID_Z_EN: 0
; COMPUTE_PGM_RSRC2:TIDIG_COMP_CNT: 0
; COMPUTE_PGM_RSRC3_GFX90A:ACCUM_OFFSET: 0
; COMPUTE_PGM_RSRC3_GFX90A:TG_SPLIT: 0
	.section	.text._ZN7rocprim6detail25device_scan_by_key_kernelILNS0_25lookback_scan_determinismE0ELb0ENS0_26wrapped_scan_by_key_configINS_14default_configEiyEEPiN6hipcub22TransformInputIteratorIyNS7_6CastOpIyEEPylEESB_yNS7_8EqualityENS7_3SumENS0_19lookback_scan_stateINS_5tupleIJybEEELb0ELb0EEEyEEvT2_T3_T4_T5_T6_T7_T8_mmmPKNSG_IJT9_bEEE,"axG",@progbits,_ZN7rocprim6detail25device_scan_by_key_kernelILNS0_25lookback_scan_determinismE0ELb0ENS0_26wrapped_scan_by_key_configINS_14default_configEiyEEPiN6hipcub22TransformInputIteratorIyNS7_6CastOpIyEEPylEESB_yNS7_8EqualityENS7_3SumENS0_19lookback_scan_stateINS_5tupleIJybEEELb0ELb0EEEyEEvT2_T3_T4_T5_T6_T7_T8_mmmPKNSG_IJT9_bEEE,comdat
	.protected	_ZN7rocprim6detail25device_scan_by_key_kernelILNS0_25lookback_scan_determinismE0ELb0ENS0_26wrapped_scan_by_key_configINS_14default_configEiyEEPiN6hipcub22TransformInputIteratorIyNS7_6CastOpIyEEPylEESB_yNS7_8EqualityENS7_3SumENS0_19lookback_scan_stateINS_5tupleIJybEEELb0ELb0EEEyEEvT2_T3_T4_T5_T6_T7_T8_mmmPKNSG_IJT9_bEEE ; -- Begin function _ZN7rocprim6detail25device_scan_by_key_kernelILNS0_25lookback_scan_determinismE0ELb0ENS0_26wrapped_scan_by_key_configINS_14default_configEiyEEPiN6hipcub22TransformInputIteratorIyNS7_6CastOpIyEEPylEESB_yNS7_8EqualityENS7_3SumENS0_19lookback_scan_stateINS_5tupleIJybEEELb0ELb0EEEyEEvT2_T3_T4_T5_T6_T7_T8_mmmPKNSG_IJT9_bEEE
	.globl	_ZN7rocprim6detail25device_scan_by_key_kernelILNS0_25lookback_scan_determinismE0ELb0ENS0_26wrapped_scan_by_key_configINS_14default_configEiyEEPiN6hipcub22TransformInputIteratorIyNS7_6CastOpIyEEPylEESB_yNS7_8EqualityENS7_3SumENS0_19lookback_scan_stateINS_5tupleIJybEEELb0ELb0EEEyEEvT2_T3_T4_T5_T6_T7_T8_mmmPKNSG_IJT9_bEEE
	.p2align	8
	.type	_ZN7rocprim6detail25device_scan_by_key_kernelILNS0_25lookback_scan_determinismE0ELb0ENS0_26wrapped_scan_by_key_configINS_14default_configEiyEEPiN6hipcub22TransformInputIteratorIyNS7_6CastOpIyEEPylEESB_yNS7_8EqualityENS7_3SumENS0_19lookback_scan_stateINS_5tupleIJybEEELb0ELb0EEEyEEvT2_T3_T4_T5_T6_T7_T8_mmmPKNSG_IJT9_bEEE,@function
_ZN7rocprim6detail25device_scan_by_key_kernelILNS0_25lookback_scan_determinismE0ELb0ENS0_26wrapped_scan_by_key_configINS_14default_configEiyEEPiN6hipcub22TransformInputIteratorIyNS7_6CastOpIyEEPylEESB_yNS7_8EqualityENS7_3SumENS0_19lookback_scan_stateINS_5tupleIJybEEELb0ELb0EEEyEEvT2_T3_T4_T5_T6_T7_T8_mmmPKNSG_IJT9_bEEE: ; @_ZN7rocprim6detail25device_scan_by_key_kernelILNS0_25lookback_scan_determinismE0ELb0ENS0_26wrapped_scan_by_key_configINS_14default_configEiyEEPiN6hipcub22TransformInputIteratorIyNS7_6CastOpIyEEPylEESB_yNS7_8EqualityENS7_3SumENS0_19lookback_scan_stateINS_5tupleIJybEEELb0ELb0EEEyEEvT2_T3_T4_T5_T6_T7_T8_mmmPKNSG_IJT9_bEEE
; %bb.0:
	s_load_dwordx4 s[4:7], s[0:1], 0x0
	s_load_dwordx8 s[88:95], s[0:1], 0x30
	s_load_dwordx2 s[98:99], s[0:1], 0x60
	s_load_dwordx4 s[48:51], s[0:1], 0x50
	s_mul_i32 s8, s2, 0x1500
	s_mov_b32 s9, 0
	s_lshl_b64 s[10:11], s[8:9], 2
	s_waitcnt lgkmcnt(0)
	s_add_u32 s54, s4, s10
	s_addc_u32 s55, s5, s11
	s_lshl_b64 s[96:97], s[8:9], 3
	s_add_u32 s52, s6, s96
	s_addc_u32 s53, s7, s97
	s_add_u32 s4, s2, s48
	s_addc_u32 s5, 0, s49
	s_add_u32 s6, s50, -1
	s_addc_u32 s7, s51, -1
	v_mov_b64_e32 v[2:3], s[6:7]
	v_cmp_ge_u64_e64 s[68:69], s[4:5], v[2:3]
	s_mov_b64 s[10:11], -1
	s_and_b64 vcc, exec, s[68:69]
	s_mul_i32 s33, s6, 0xffffeb00
	v_lshlrev_b32_e32 v82, 2, v0
	s_cbranch_vccz .LBB70_65
; %bb.1:
	s_load_dword s3, s[54:55], 0x0
	s_add_i32 s62, s33, s94
	v_mov_b32_e32 v83, 0
	v_lshl_add_u64 v[2:3], s[54:55], 0, v[82:83]
	v_cmp_gt_u32_e64 s[4:5], s62, v0
	s_waitcnt lgkmcnt(0)
	v_mov_b32_e32 v1, s3
	s_and_saveexec_b64 s[6:7], s[4:5]
	s_cbranch_execz .LBB70_3
; %bb.2:
	global_load_dword v1, v[2:3], off
.LBB70_3:
	s_or_b64 exec, exec, s[6:7]
	v_or_b32_e32 v4, 0x100, v0
	v_cmp_gt_u32_e64 s[8:9], s62, v4
	v_mov_b32_e32 v4, s3
	s_and_saveexec_b64 s[6:7], s[8:9]
	s_cbranch_execz .LBB70_5
; %bb.4:
	global_load_dword v4, v[2:3], off offset:1024
.LBB70_5:
	s_or_b64 exec, exec, s[6:7]
	v_or_b32_e32 v5, 0x200, v0
	v_cmp_gt_u32_e64 s[14:15], s62, v5
	v_mov_b32_e32 v5, s3
	s_and_saveexec_b64 s[6:7], s[14:15]
	s_cbranch_execz .LBB70_7
; %bb.6:
	global_load_dword v5, v[2:3], off offset:2048
.LBB70_7:
	s_or_b64 exec, exec, s[6:7]
	v_or_b32_e32 v6, 0x300, v0
	v_cmp_gt_u32_e64 s[10:11], s62, v6
	v_mov_b32_e32 v6, s3
	s_and_saveexec_b64 s[6:7], s[10:11]
	s_cbranch_execz .LBB70_9
; %bb.8:
	global_load_dword v6, v[2:3], off offset:3072
.LBB70_9:
	s_or_b64 exec, exec, s[6:7]
	v_or_b32_e32 v7, 0x400, v0
	v_cmp_gt_u32_e64 s[6:7], s62, v7
	v_mov_b32_e32 v7, s3
	s_and_saveexec_b64 s[12:13], s[6:7]
	s_cbranch_execz .LBB70_11
; %bb.10:
	v_add_co_u32_e32 v8, vcc, 0x1000, v2
	s_nop 1
	v_addc_co_u32_e32 v9, vcc, 0, v3, vcc
	global_load_dword v7, v[8:9], off
.LBB70_11:
	s_or_b64 exec, exec, s[12:13]
	v_or_b32_e32 v8, 0x500, v0
	v_cmp_gt_u32_e64 s[12:13], s62, v8
	v_mov_b32_e32 v8, s3
	s_and_saveexec_b64 s[16:17], s[12:13]
	s_cbranch_execz .LBB70_13
; %bb.12:
	v_add_co_u32_e32 v8, vcc, 0x1000, v2
	s_nop 1
	v_addc_co_u32_e32 v9, vcc, 0, v3, vcc
	global_load_dword v8, v[8:9], off offset:1024
.LBB70_13:
	s_or_b64 exec, exec, s[16:17]
	v_or_b32_e32 v9, 0x600, v0
	v_cmp_gt_u32_e64 s[16:17], s62, v9
	v_mov_b32_e32 v9, s3
	s_and_saveexec_b64 s[18:19], s[16:17]
	s_cbranch_execz .LBB70_15
; %bb.14:
	v_add_co_u32_e32 v10, vcc, 0x1000, v2
	s_nop 1
	v_addc_co_u32_e32 v11, vcc, 0, v3, vcc
	global_load_dword v9, v[10:11], off offset:2048
.LBB70_15:
	s_or_b64 exec, exec, s[18:19]
	v_or_b32_e32 v10, 0x700, v0
	v_cmp_gt_u32_e64 s[18:19], s62, v10
	v_mov_b32_e32 v10, s3
	s_and_saveexec_b64 s[20:21], s[18:19]
	s_cbranch_execz .LBB70_17
; %bb.16:
	v_add_co_u32_e32 v10, vcc, 0x1000, v2
	s_nop 1
	v_addc_co_u32_e32 v11, vcc, 0, v3, vcc
	global_load_dword v10, v[10:11], off offset:3072
.LBB70_17:
	s_or_b64 exec, exec, s[20:21]
	v_or_b32_e32 v11, 0x800, v0
	v_cmp_gt_u32_e64 s[20:21], s62, v11
	v_mov_b32_e32 v11, s3
	s_and_saveexec_b64 s[22:23], s[20:21]
	s_cbranch_execz .LBB70_19
; %bb.18:
	v_add_co_u32_e32 v12, vcc, 0x2000, v2
	s_nop 1
	v_addc_co_u32_e32 v13, vcc, 0, v3, vcc
	global_load_dword v11, v[12:13], off
.LBB70_19:
	s_or_b64 exec, exec, s[22:23]
	v_or_b32_e32 v12, 0x900, v0
	v_cmp_gt_u32_e64 s[22:23], s62, v12
	v_mov_b32_e32 v12, s3
	s_and_saveexec_b64 s[24:25], s[22:23]
	s_cbranch_execz .LBB70_21
; %bb.20:
	v_add_co_u32_e32 v12, vcc, 0x2000, v2
	s_nop 1
	v_addc_co_u32_e32 v13, vcc, 0, v3, vcc
	global_load_dword v12, v[12:13], off offset:1024
.LBB70_21:
	s_or_b64 exec, exec, s[24:25]
	v_or_b32_e32 v13, 0xa00, v0
	v_cmp_gt_u32_e64 s[24:25], s62, v13
	v_mov_b32_e32 v13, s3
	s_and_saveexec_b64 s[26:27], s[24:25]
	s_cbranch_execz .LBB70_23
; %bb.22:
	v_add_co_u32_e32 v14, vcc, 0x2000, v2
	s_nop 1
	v_addc_co_u32_e32 v15, vcc, 0, v3, vcc
	global_load_dword v13, v[14:15], off offset:2048
.LBB70_23:
	s_or_b64 exec, exec, s[26:27]
	v_or_b32_e32 v14, 0xb00, v0
	v_cmp_gt_u32_e64 s[26:27], s62, v14
	v_mov_b32_e32 v14, s3
	s_and_saveexec_b64 s[28:29], s[26:27]
	s_cbranch_execz .LBB70_25
; %bb.24:
	v_add_co_u32_e32 v14, vcc, 0x2000, v2
	s_nop 1
	v_addc_co_u32_e32 v15, vcc, 0, v3, vcc
	global_load_dword v14, v[14:15], off offset:3072
.LBB70_25:
	;; [unrolled: 48-line block ×4, first 2 shown]
	s_or_b64 exec, exec, s[46:47]
	v_or_b32_e32 v23, 0x1400, v0
	v_cmp_gt_u32_e64 s[46:47], s62, v23
	v_mov_b32_e32 v23, s3
	s_and_saveexec_b64 s[50:51], s[46:47]
	s_cbranch_execz .LBB70_43
; %bb.42:
	v_add_co_u32_e32 v2, vcc, 0x5000, v2
	s_nop 1
	v_addc_co_u32_e32 v3, vcc, 0, v3, vcc
	global_load_dword v23, v[2:3], off
.LBB70_43:
	s_or_b64 exec, exec, s[50:51]
	s_sub_u32 s50, 0, s2
	s_subb_u32 s51, 0, 0
	s_cmp_eq_u64 s[50:51], s[48:49]
	s_movk_i32 s3, 0x50
	s_cselect_b32 s50, 0, -4
	v_mad_u32_u24 v2, v0, s3, v82
	s_cselect_b32 s3, 0, -1
	s_add_u32 s50, s54, s50
	s_addc_u32 s51, s55, s3
	s_waitcnt vmcnt(0)
	ds_write2st64_b32 v82, v1, v4 offset1:4
	ds_write2st64_b32 v82, v5, v6 offset0:8 offset1:12
	ds_write2st64_b32 v82, v7, v8 offset0:16 offset1:20
	;; [unrolled: 1-line block ×9, first 2 shown]
	ds_write_b32 v82, v23 offset:20480
	s_waitcnt lgkmcnt(0)
	s_barrier
	s_load_dword s3, s[50:51], 0x0
	ds_read2_b32 v[32:33], v2 offset0:4 offset1:9
	s_movk_i32 s50, 0xffb0
	v_mad_i32_i24 v1, v0, s50, v2
	v_cmp_ne_u32_e32 vcc, 0, v0
	s_waitcnt lgkmcnt(0)
	v_mov_b32_e32 v68, s3
	ds_read2_b32 v[4:5], v2 offset0:19 offset1:20
	ds_read2_b32 v[8:9], v2 offset0:17 offset1:18
	;; [unrolled: 1-line block ×3, first 2 shown]
	ds_read_b32 v72, v2 offset:56
	ds_read2_b32 v[20:21], v2 offset0:12 offset1:13
	ds_read2_b32 v[24:25], v2 offset0:10 offset1:11
	;; [unrolled: 1-line block ×5, first 2 shown]
	ds_read2_b32 v[36:37], v2 offset1:1
	s_waitcnt lgkmcnt(9)
	ds_write_b32 v1, v5 offset:21504
	s_waitcnt lgkmcnt(0)
	s_barrier
	s_and_saveexec_b64 s[50:51], vcc
	s_cbranch_execz .LBB70_45
; %bb.44:
	ds_read_b32 v68, v1 offset:21500
.LBB70_45:
	s_or_b64 exec, exec, s[50:51]
	v_lshlrev_b32_e32 v2, 3, v0
	v_mov_b32_e32 v3, 0
	v_lshl_add_u64 v[6:7], s[52:53], 0, v[2:3]
	s_waitcnt lgkmcnt(0)
	s_barrier
	s_waitcnt lgkmcnt(0)
                                        ; implicit-def: $vgpr2_vgpr3
	s_and_saveexec_b64 s[50:51], s[4:5]
	s_cbranch_execz .LBB70_66
; %bb.46:
	global_load_dwordx2 v[2:3], v[6:7], off
	s_or_b64 exec, exec, s[50:51]
                                        ; implicit-def: $vgpr10_vgpr11
	s_and_saveexec_b64 s[4:5], s[8:9]
	s_cbranch_execnz .LBB70_67
.LBB70_47:
	s_or_b64 exec, exec, s[4:5]
                                        ; implicit-def: $vgpr14_vgpr15
	s_and_saveexec_b64 s[4:5], s[14:15]
	s_cbranch_execz .LBB70_68
.LBB70_48:
	v_add_co_u32_e32 v14, vcc, 0x1000, v6
	s_nop 1
	v_addc_co_u32_e32 v15, vcc, 0, v7, vcc
	global_load_dwordx2 v[14:15], v[14:15], off
	s_or_b64 exec, exec, s[4:5]
                                        ; implicit-def: $vgpr16_vgpr17
	s_and_saveexec_b64 s[4:5], s[10:11]
	s_cbranch_execnz .LBB70_69
.LBB70_49:
	s_or_b64 exec, exec, s[4:5]
                                        ; implicit-def: $vgpr18_vgpr19
	s_and_saveexec_b64 s[4:5], s[6:7]
	s_cbranch_execz .LBB70_70
.LBB70_50:
	v_add_co_u32_e32 v18, vcc, 0x2000, v6
	s_nop 1
	v_addc_co_u32_e32 v19, vcc, 0, v7, vcc
	global_load_dwordx2 v[18:19], v[18:19], off
	s_or_b64 exec, exec, s[4:5]
                                        ; implicit-def: $vgpr22_vgpr23
	s_and_saveexec_b64 s[4:5], s[12:13]
	s_cbranch_execnz .LBB70_71
.LBB70_51:
	s_or_b64 exec, exec, s[4:5]
                                        ; implicit-def: $vgpr26_vgpr27
	s_and_saveexec_b64 s[4:5], s[16:17]
	s_cbranch_execz .LBB70_72
.LBB70_52:
	v_add_co_u32_e32 v26, vcc, 0x3000, v6
	s_nop 1
	v_addc_co_u32_e32 v27, vcc, 0, v7, vcc
	global_load_dwordx2 v[26:27], v[26:27], off
	s_or_b64 exec, exec, s[4:5]
                                        ; implicit-def: $vgpr30_vgpr31
	s_and_saveexec_b64 s[4:5], s[18:19]
	s_cbranch_execnz .LBB70_73
.LBB70_53:
	s_or_b64 exec, exec, s[4:5]
                                        ; implicit-def: $vgpr34_vgpr35
	s_and_saveexec_b64 s[4:5], s[20:21]
	s_cbranch_execz .LBB70_74
.LBB70_54:
	v_add_co_u32_e32 v34, vcc, 0x4000, v6
	s_nop 1
	v_addc_co_u32_e32 v35, vcc, 0, v7, vcc
	global_load_dwordx2 v[34:35], v[34:35], off
	s_or_b64 exec, exec, s[4:5]
                                        ; implicit-def: $vgpr38_vgpr39
	s_and_saveexec_b64 s[4:5], s[22:23]
	s_cbranch_execnz .LBB70_75
.LBB70_55:
	s_or_b64 exec, exec, s[4:5]
                                        ; implicit-def: $vgpr42_vgpr43
	s_and_saveexec_b64 s[4:5], s[24:25]
	s_cbranch_execz .LBB70_76
.LBB70_56:
	v_add_co_u32_e32 v42, vcc, 0x5000, v6
	s_nop 1
	v_addc_co_u32_e32 v43, vcc, 0, v7, vcc
	global_load_dwordx2 v[42:43], v[42:43], off
	s_or_b64 exec, exec, s[4:5]
                                        ; implicit-def: $vgpr46_vgpr47
	s_and_saveexec_b64 s[4:5], s[26:27]
	s_cbranch_execnz .LBB70_77
.LBB70_57:
	s_or_b64 exec, exec, s[4:5]
                                        ; implicit-def: $vgpr48_vgpr49
	s_and_saveexec_b64 s[4:5], s[28:29]
	s_cbranch_execz .LBB70_78
.LBB70_58:
	v_add_co_u32_e32 v48, vcc, 0x6000, v6
	s_nop 1
	v_addc_co_u32_e32 v49, vcc, 0, v7, vcc
	global_load_dwordx2 v[48:49], v[48:49], off
	s_or_b64 exec, exec, s[4:5]
                                        ; implicit-def: $vgpr50_vgpr51
	s_and_saveexec_b64 s[4:5], s[30:31]
	s_cbranch_execnz .LBB70_79
.LBB70_59:
	s_or_b64 exec, exec, s[4:5]
                                        ; implicit-def: $vgpr52_vgpr53
	s_and_saveexec_b64 s[4:5], s[34:35]
	s_cbranch_execz .LBB70_80
.LBB70_60:
	v_add_co_u32_e32 v52, vcc, 0x7000, v6
	s_nop 1
	v_addc_co_u32_e32 v53, vcc, 0, v7, vcc
	global_load_dwordx2 v[52:53], v[52:53], off
	s_or_b64 exec, exec, s[4:5]
                                        ; implicit-def: $vgpr54_vgpr55
	s_and_saveexec_b64 s[4:5], s[36:37]
	s_cbranch_execnz .LBB70_81
.LBB70_61:
	s_or_b64 exec, exec, s[4:5]
                                        ; implicit-def: $vgpr56_vgpr57
	s_and_saveexec_b64 s[4:5], s[38:39]
	s_cbranch_execz .LBB70_82
.LBB70_62:
	v_add_co_u32_e32 v56, vcc, 0x8000, v6
	s_nop 1
	v_addc_co_u32_e32 v57, vcc, 0, v7, vcc
	global_load_dwordx2 v[56:57], v[56:57], off
	s_or_b64 exec, exec, s[4:5]
                                        ; implicit-def: $vgpr58_vgpr59
	s_and_saveexec_b64 s[4:5], s[40:41]
	s_cbranch_execnz .LBB70_83
.LBB70_63:
	s_or_b64 exec, exec, s[4:5]
                                        ; implicit-def: $vgpr60_vgpr61
	s_and_saveexec_b64 s[4:5], s[42:43]
	s_cbranch_execz .LBB70_84
.LBB70_64:
	v_add_co_u32_e32 v60, vcc, 0x9000, v6
	s_nop 1
	v_addc_co_u32_e32 v61, vcc, 0, v7, vcc
	global_load_dwordx2 v[60:61], v[60:61], off
	s_or_b64 exec, exec, s[4:5]
                                        ; implicit-def: $vgpr62_vgpr63
	s_and_saveexec_b64 s[4:5], s[44:45]
	s_cbranch_execz .LBB70_86
	s_branch .LBB70_85
.LBB70_65:
	s_mov_b64 s[8:9], 0
                                        ; implicit-def: $sgpr6_sgpr7
                                        ; implicit-def: $vgpr84
                                        ; implicit-def: $vgpr83
                                        ; implicit-def: $vgpr85
                                        ; implicit-def: $vgpr86
                                        ; implicit-def: $vgpr12_vgpr13
                                        ; implicit-def: $vgpr2_vgpr3
                                        ; implicit-def: $vgpr72_vgpr73
                                        ; implicit-def: $vgpr64_vgpr65
                                        ; implicit-def: $vgpr124
                                        ; implicit-def: $vgpr56_vgpr57
                                        ; implicit-def: $vgpr48_vgpr49
                                        ; implicit-def: $vgpr40_vgpr41
                                        ; implicit-def: $vgpr126
                                        ; implicit-def: $vgpr32_vgpr33
                                        ; implicit-def: $vgpr24_vgpr25
                                        ; implicit-def: $vgpr125
                                        ; implicit-def: $vgpr20_vgpr21
                                        ; implicit-def: $vgpr8_vgpr9
                                        ; implicit-def: $vgpr1
                                        ; implicit-def: $vgpr130
                                        ; implicit-def: $vgpr129
                                        ; implicit-def: $vgpr128
                                        ; implicit-def: $vgpr127
                                        ; implicit-def: $sgpr3
                                        ; implicit-def: $sgpr12_sgpr13
                                        ; implicit-def: $vgpr78_vgpr79
                                        ; implicit-def: $vgpr74_vgpr75
                                        ; implicit-def: $vgpr66_vgpr67
                                        ; implicit-def: $vgpr58_vgpr59
                                        ; implicit-def: $vgpr50_vgpr51
                                        ; implicit-def: $vgpr42_vgpr43
                                        ; implicit-def: $vgpr34_vgpr35
                                        ; implicit-def: $vgpr26_vgpr27
                                        ; implicit-def: $vgpr14_vgpr15
	s_and_b64 vcc, exec, s[10:11]
	v_cmp_ne_u32_e64 s[4:5], 0, v0
	s_cbranch_vccz .LBB70_132
	s_branch .LBB70_129
.LBB70_66:
	s_or_b64 exec, exec, s[50:51]
                                        ; implicit-def: $vgpr10_vgpr11
	s_and_saveexec_b64 s[4:5], s[8:9]
	s_cbranch_execz .LBB70_47
.LBB70_67:
	global_load_dwordx2 v[10:11], v[6:7], off offset:2048
	s_or_b64 exec, exec, s[4:5]
                                        ; implicit-def: $vgpr14_vgpr15
	s_and_saveexec_b64 s[4:5], s[14:15]
	s_cbranch_execnz .LBB70_48
.LBB70_68:
	s_or_b64 exec, exec, s[4:5]
                                        ; implicit-def: $vgpr16_vgpr17
	s_and_saveexec_b64 s[4:5], s[10:11]
	s_cbranch_execz .LBB70_49
.LBB70_69:
	v_add_co_u32_e32 v16, vcc, 0x1000, v6
	s_nop 1
	v_addc_co_u32_e32 v17, vcc, 0, v7, vcc
	global_load_dwordx2 v[16:17], v[16:17], off offset:2048
	s_or_b64 exec, exec, s[4:5]
                                        ; implicit-def: $vgpr18_vgpr19
	s_and_saveexec_b64 s[4:5], s[6:7]
	s_cbranch_execnz .LBB70_50
.LBB70_70:
	s_or_b64 exec, exec, s[4:5]
                                        ; implicit-def: $vgpr22_vgpr23
	s_and_saveexec_b64 s[4:5], s[12:13]
	s_cbranch_execz .LBB70_51
.LBB70_71:
	v_add_co_u32_e32 v22, vcc, 0x2000, v6
	s_nop 1
	v_addc_co_u32_e32 v23, vcc, 0, v7, vcc
	global_load_dwordx2 v[22:23], v[22:23], off offset:2048
	s_or_b64 exec, exec, s[4:5]
                                        ; implicit-def: $vgpr26_vgpr27
	s_and_saveexec_b64 s[4:5], s[16:17]
	s_cbranch_execnz .LBB70_52
.LBB70_72:
	s_or_b64 exec, exec, s[4:5]
                                        ; implicit-def: $vgpr30_vgpr31
	s_and_saveexec_b64 s[4:5], s[18:19]
	s_cbranch_execz .LBB70_53
.LBB70_73:
	v_add_co_u32_e32 v30, vcc, 0x3000, v6
	s_nop 1
	v_addc_co_u32_e32 v31, vcc, 0, v7, vcc
	global_load_dwordx2 v[30:31], v[30:31], off offset:2048
	s_or_b64 exec, exec, s[4:5]
                                        ; implicit-def: $vgpr34_vgpr35
	s_and_saveexec_b64 s[4:5], s[20:21]
	s_cbranch_execnz .LBB70_54
.LBB70_74:
	s_or_b64 exec, exec, s[4:5]
                                        ; implicit-def: $vgpr38_vgpr39
	s_and_saveexec_b64 s[4:5], s[22:23]
	s_cbranch_execz .LBB70_55
.LBB70_75:
	v_add_co_u32_e32 v38, vcc, 0x4000, v6
	s_nop 1
	v_addc_co_u32_e32 v39, vcc, 0, v7, vcc
	global_load_dwordx2 v[38:39], v[38:39], off offset:2048
	s_or_b64 exec, exec, s[4:5]
                                        ; implicit-def: $vgpr42_vgpr43
	s_and_saveexec_b64 s[4:5], s[24:25]
	s_cbranch_execnz .LBB70_56
.LBB70_76:
	s_or_b64 exec, exec, s[4:5]
                                        ; implicit-def: $vgpr46_vgpr47
	s_and_saveexec_b64 s[4:5], s[26:27]
	s_cbranch_execz .LBB70_57
.LBB70_77:
	v_add_co_u32_e32 v46, vcc, 0x5000, v6
	s_nop 1
	v_addc_co_u32_e32 v47, vcc, 0, v7, vcc
	global_load_dwordx2 v[46:47], v[46:47], off offset:2048
	s_or_b64 exec, exec, s[4:5]
                                        ; implicit-def: $vgpr48_vgpr49
	s_and_saveexec_b64 s[4:5], s[28:29]
	s_cbranch_execnz .LBB70_58
.LBB70_78:
	s_or_b64 exec, exec, s[4:5]
                                        ; implicit-def: $vgpr50_vgpr51
	s_and_saveexec_b64 s[4:5], s[30:31]
	s_cbranch_execz .LBB70_59
.LBB70_79:
	v_add_co_u32_e32 v50, vcc, 0x6000, v6
	s_nop 1
	v_addc_co_u32_e32 v51, vcc, 0, v7, vcc
	global_load_dwordx2 v[50:51], v[50:51], off offset:2048
	s_or_b64 exec, exec, s[4:5]
                                        ; implicit-def: $vgpr52_vgpr53
	s_and_saveexec_b64 s[4:5], s[34:35]
	s_cbranch_execnz .LBB70_60
.LBB70_80:
	s_or_b64 exec, exec, s[4:5]
                                        ; implicit-def: $vgpr54_vgpr55
	s_and_saveexec_b64 s[4:5], s[36:37]
	s_cbranch_execz .LBB70_61
.LBB70_81:
	v_add_co_u32_e32 v54, vcc, 0x7000, v6
	s_nop 1
	v_addc_co_u32_e32 v55, vcc, 0, v7, vcc
	global_load_dwordx2 v[54:55], v[54:55], off offset:2048
	s_or_b64 exec, exec, s[4:5]
                                        ; implicit-def: $vgpr56_vgpr57
	s_and_saveexec_b64 s[4:5], s[38:39]
	s_cbranch_execnz .LBB70_62
.LBB70_82:
	s_or_b64 exec, exec, s[4:5]
                                        ; implicit-def: $vgpr58_vgpr59
	s_and_saveexec_b64 s[4:5], s[40:41]
	s_cbranch_execz .LBB70_63
.LBB70_83:
	v_add_co_u32_e32 v58, vcc, 0x8000, v6
	s_nop 1
	v_addc_co_u32_e32 v59, vcc, 0, v7, vcc
	global_load_dwordx2 v[58:59], v[58:59], off offset:2048
	s_or_b64 exec, exec, s[4:5]
                                        ; implicit-def: $vgpr60_vgpr61
	s_and_saveexec_b64 s[4:5], s[42:43]
	s_cbranch_execnz .LBB70_64
.LBB70_84:
	s_or_b64 exec, exec, s[4:5]
                                        ; implicit-def: $vgpr62_vgpr63
	s_and_saveexec_b64 s[4:5], s[44:45]
	s_cbranch_execz .LBB70_86
.LBB70_85:
	v_add_co_u32_e32 v62, vcc, 0x9000, v6
	s_nop 1
	v_addc_co_u32_e32 v63, vcc, 0, v7, vcc
	global_load_dwordx2 v[62:63], v[62:63], off offset:2048
.LBB70_86:
	s_or_b64 exec, exec, s[4:5]
	v_mul_u32_u24_e32 v73, 21, v0
                                        ; implicit-def: $vgpr64_vgpr65
	s_and_saveexec_b64 s[4:5], s[46:47]
	s_cbranch_execz .LBB70_88
; %bb.87:
	v_add_co_u32_e32 v6, vcc, 0xa000, v6
	s_nop 1
	v_addc_co_u32_e32 v7, vcc, 0, v7, vcc
	global_load_dwordx2 v[64:65], v[6:7], off
.LBB70_88:
	s_or_b64 exec, exec, s[4:5]
	v_lshl_add_u32 v69, v0, 2, v1
	s_waitcnt vmcnt(0)
	ds_write2st64_b64 v69, v[2:3], v[10:11] offset1:4
	ds_write2st64_b64 v69, v[14:15], v[16:17] offset0:8 offset1:12
	ds_write2st64_b64 v69, v[18:19], v[22:23] offset0:16 offset1:20
	;; [unrolled: 1-line block ×9, first 2 shown]
	ds_write_b64 v69, v[64:65] offset:40960
	v_mov_b64_e32 v[2:3], 0
	v_cmp_gt_u32_e32 vcc, s62, v73
	s_mov_b64 s[8:9], 0
	s_mov_b64 s[10:11], 0
	s_mov_b32 s3, 0
	v_mov_b32_e32 v130, 0
	v_mov_b32_e32 v124, 0
	;; [unrolled: 1-line block ×5, first 2 shown]
	v_mov_b64_e32 v[10:11], v[2:3]
	v_mov_b64_e32 v[70:71], v[2:3]
	v_mov_b64_e32 v[78:79], v[2:3]
	v_mov_b64_e32 v[62:63], v[2:3]
	v_mov_b64_e32 v[74:75], v[2:3]
	v_mov_b64_e32 v[54:55], v[2:3]
	v_mov_b64_e32 v[66:67], v[2:3]
	v_mov_b64_e32 v[46:47], v[2:3]
	v_mov_b64_e32 v[58:59], v[2:3]
	v_mov_b32_e32 v126, 0
	v_mov_b64_e32 v[38:39], v[2:3]
	v_mov_b64_e32 v[50:51], v[2:3]
	;; [unrolled: 1-line block ×5, first 2 shown]
	v_mov_b32_e32 v125, 0
	v_mov_b64_e32 v[34:35], v[2:3]
	v_mov_b64_e32 v[18:19], v[2:3]
	v_mov_b64_e32 v[26:27], v[2:3]
	v_mov_b64_e32 v[6:7], v[2:3]
	v_mov_b64_e32 v[14:15], v[2:3]
	v_mov_b32_e32 v1, 0
	s_waitcnt lgkmcnt(0)
	s_barrier
	s_waitcnt lgkmcnt(0)
                                        ; implicit-def: $sgpr6_sgpr7
                                        ; implicit-def: $vgpr84
                                        ; implicit-def: $vgpr83
                                        ; implicit-def: $vgpr85
                                        ; implicit-def: $vgpr86
	s_and_saveexec_b64 s[12:13], vcc
	s_cbranch_execz .LBB70_128
; %bb.89:
	s_movk_i32 s4, 0xa0
	v_mad_u32_u24 v2, v0, s4, v69
	ds_read_b64 v[2:3], v2
	v_cmp_ne_u32_e32 vcc, v68, v36
	v_add_u32_e32 v6, 1, v73
	v_mov_b64_e32 v[10:11], 0
	v_cndmask_b32_e64 v1, 0, 1, vcc
	v_cmp_gt_u32_e32 vcc, s62, v6
	s_mov_b64 s[4:5], 0
	s_mov_b64 s[18:19], 0
	v_mov_b32_e32 v130, 0
	v_mov_b32_e32 v124, 0
	;; [unrolled: 1-line block ×5, first 2 shown]
	v_mov_b64_e32 v[70:71], v[10:11]
	v_mov_b64_e32 v[78:79], v[10:11]
	;; [unrolled: 1-line block ×8, first 2 shown]
	v_mov_b32_e32 v126, 0
	v_mov_b64_e32 v[38:39], v[10:11]
	v_mov_b64_e32 v[50:51], v[10:11]
	v_mov_b64_e32 v[30:31], v[10:11]
	v_mov_b64_e32 v[42:43], v[10:11]
	v_mov_b64_e32 v[22:23], v[10:11]
	v_mov_b32_e32 v125, 0
	v_mov_b64_e32 v[34:35], v[10:11]
	v_mov_b64_e32 v[18:19], v[10:11]
	;; [unrolled: 1-line block ×5, first 2 shown]
                                        ; implicit-def: $sgpr6_sgpr7
                                        ; implicit-def: $vgpr84
                                        ; implicit-def: $vgpr83
                                        ; implicit-def: $vgpr85
                                        ; implicit-def: $vgpr86
	s_and_saveexec_b64 s[14:15], vcc
	s_cbranch_execz .LBB70_127
; %bb.90:
	v_mul_u32_u24_e32 v6, 0xa0, v0
	v_add_u32_e32 v48, v69, v6
	ds_read2_b64 v[14:17], v48 offset0:1 offset1:2
	v_add_u32_e32 v6, 2, v73
	v_cmp_ne_u32_e64 s[8:9], v36, v37
	v_mov_b64_e32 v[10:11], 0
	v_cmp_ne_u32_e32 vcc, v28, v29
	v_cmp_ne_u32_e64 s[4:5], v29, v32
	v_cmp_ne_u32_e64 s[6:7], v37, v28
	v_cndmask_b32_e64 v130, 0, 1, s[8:9]
	v_cmp_gt_u32_e64 s[8:9], s62, v6
	s_mov_b64 s[20:21], 0
	v_mov_b32_e32 v129, 0
	v_mov_b32_e32 v124, 0
	;; [unrolled: 1-line block ×4, first 2 shown]
	v_mov_b64_e32 v[70:71], v[10:11]
	v_mov_b64_e32 v[78:79], v[10:11]
	;; [unrolled: 1-line block ×8, first 2 shown]
	v_mov_b32_e32 v126, 0
	v_mov_b64_e32 v[38:39], v[10:11]
	v_mov_b64_e32 v[50:51], v[10:11]
	;; [unrolled: 1-line block ×5, first 2 shown]
	v_mov_b32_e32 v125, 0
	v_mov_b64_e32 v[34:35], v[10:11]
	v_mov_b64_e32 v[18:19], v[10:11]
	;; [unrolled: 1-line block ×4, first 2 shown]
                                        ; implicit-def: $sgpr22_sgpr23
                                        ; implicit-def: $vgpr84
                                        ; implicit-def: $vgpr83
                                        ; implicit-def: $vgpr85
                                        ; implicit-def: $vgpr86
	s_and_saveexec_b64 s[16:17], s[8:9]
	s_cbranch_execz .LBB70_126
; %bb.91:
	v_cndmask_b32_e64 v6, 0, 1, s[6:7]
	v_cndmask_b32_e64 v7, 0, 1, s[4:5]
	v_lshlrev_b16_e32 v6, 8, v6
	v_lshlrev_b16_e32 v7, 8, v7
	v_cndmask_b32_e64 v10, 0, 1, vcc
	v_or_b32_e32 v6, v130, v6
	v_or_b32_sdwa v7, v10, v7 dst_sel:WORD_1 dst_unused:UNUSED_PAD src0_sel:DWORD src1_sel:DWORD
	v_add_u32_e32 v10, 3, v73
	v_or_b32_sdwa v84, v6, v7 dst_sel:DWORD dst_unused:UNUSED_PAD src0_sel:WORD_0 src1_sel:DWORD
	v_cmp_gt_u32_e32 vcc, s62, v10
	v_mov_b64_e32 v[10:11], 0
	v_and_b32_e32 v130, 0xffff, v84
	s_waitcnt lgkmcnt(0)
	v_mov_b32_e32 v6, v16
	v_mov_b32_e32 v7, v17
	s_mov_b64 s[4:5], 0
	v_mov_b32_e32 v129, 0
	v_mov_b32_e32 v124, 0
	;; [unrolled: 1-line block ×4, first 2 shown]
	v_mov_b64_e32 v[70:71], v[10:11]
	v_mov_b64_e32 v[78:79], v[10:11]
	;; [unrolled: 1-line block ×8, first 2 shown]
	v_mov_b32_e32 v126, 0
	v_mov_b64_e32 v[38:39], v[10:11]
	v_mov_b64_e32 v[50:51], v[10:11]
	;; [unrolled: 1-line block ×5, first 2 shown]
	v_mov_b32_e32 v125, 0
	v_mov_b64_e32 v[34:35], v[10:11]
	v_mov_b64_e32 v[18:19], v[10:11]
	;; [unrolled: 1-line block ×3, first 2 shown]
                                        ; implicit-def: $sgpr6_sgpr7
                                        ; implicit-def: $vgpr83
                                        ; implicit-def: $vgpr85
                                        ; implicit-def: $vgpr86
	s_and_saveexec_b64 s[18:19], vcc
	s_cbranch_execz .LBB70_125
; %bb.92:
	ds_read2_b64 v[26:29], v48 offset0:3 offset1:4
	v_add_u32_e32 v10, 4, v73
	v_cmp_gt_u32_e32 vcc, s62, v10
	v_mov_b64_e32 v[10:11], 0
	v_and_b32_e32 v130, 0xffffff, v84
	s_mov_b64 s[6:7], 0
	v_mov_b32_e32 v129, 0
	v_mov_b32_e32 v124, 0
	;; [unrolled: 1-line block ×4, first 2 shown]
	v_mov_b64_e32 v[70:71], v[10:11]
	v_mov_b64_e32 v[78:79], v[10:11]
	;; [unrolled: 1-line block ×8, first 2 shown]
	v_mov_b32_e32 v126, 0
	v_mov_b64_e32 v[38:39], v[10:11]
	v_mov_b64_e32 v[50:51], v[10:11]
	;; [unrolled: 1-line block ×5, first 2 shown]
	v_mov_b32_e32 v125, 0
	v_mov_b64_e32 v[34:35], v[10:11]
	v_mov_b64_e32 v[18:19], v[10:11]
                                        ; implicit-def: $sgpr8_sgpr9
                                        ; implicit-def: $vgpr83
                                        ; implicit-def: $vgpr85
                                        ; implicit-def: $vgpr86
	s_and_saveexec_b64 s[20:21], vcc
	s_cbranch_execz .LBB70_124
; %bb.93:
	v_add_u32_e32 v10, 5, v73
	v_cmp_gt_u32_e32 vcc, s62, v10
	v_mov_b64_e32 v[10:11], 0
	s_waitcnt lgkmcnt(0)
	v_mov_b32_e32 v18, v28
	v_mov_b32_e32 v19, v29
	;; [unrolled: 1-line block ×6, first 2 shown]
	v_mov_b64_e32 v[70:71], v[10:11]
	v_mov_b64_e32 v[78:79], v[10:11]
	;; [unrolled: 1-line block ×8, first 2 shown]
	v_mov_b32_e32 v126, 0
	v_mov_b64_e32 v[38:39], v[10:11]
	v_mov_b64_e32 v[50:51], v[10:11]
	;; [unrolled: 1-line block ×5, first 2 shown]
	v_mov_b32_e32 v125, 0
	v_mov_b64_e32 v[34:35], v[10:11]
                                        ; implicit-def: $sgpr8_sgpr9
                                        ; implicit-def: $vgpr83
                                        ; implicit-def: $vgpr85
                                        ; implicit-def: $vgpr86
	s_and_saveexec_b64 s[22:23], vcc
	s_cbranch_execz .LBB70_123
; %bb.94:
	ds_read2_b64 v[34:37], v48 offset0:5 offset1:6
	v_add_u32_e32 v10, 6, v73
	v_cmp_ne_u32_e32 vcc, v32, v44
	s_mov_b64 s[28:29], 0
	v_mov_b32_e32 v129, 0
	v_cndmask_b32_e64 v125, 0, 1, vcc
	v_cmp_gt_u32_e32 vcc, s62, v10
	v_mov_b64_e32 v[10:11], 0
	v_mov_b32_e32 v124, 0
	v_mov_b32_e32 v128, 0
	;; [unrolled: 1-line block ×3, first 2 shown]
	v_mov_b64_e32 v[70:71], v[10:11]
	v_mov_b64_e32 v[78:79], v[10:11]
	;; [unrolled: 1-line block ×8, first 2 shown]
	v_mov_b32_e32 v126, 0
	v_mov_b64_e32 v[38:39], v[10:11]
	v_mov_b64_e32 v[50:51], v[10:11]
	;; [unrolled: 1-line block ×5, first 2 shown]
                                        ; implicit-def: $sgpr6_sgpr7
                                        ; implicit-def: $vgpr83
                                        ; implicit-def: $vgpr85
                                        ; implicit-def: $vgpr86
	s_and_saveexec_b64 s[24:25], vcc
	s_cbranch_execz .LBB70_122
; %bb.95:
	v_add_u32_e32 v10, 7, v73
	v_cmp_ne_u32_e64 s[8:9], v44, v45
	s_waitcnt lgkmcnt(0)
	v_mov_b32_e32 v22, v36
	v_mov_b32_e32 v23, v37
	v_cndmask_b32_e64 v129, 0, 1, s[8:9]
	v_cmp_gt_u32_e64 s[8:9], s62, v10
	v_mov_b64_e32 v[10:11], 0
	v_cmp_ne_u32_e32 vcc, v40, v41
	v_cmp_ne_u32_e64 s[4:5], v41, v33
	v_cmp_ne_u32_e64 s[6:7], v45, v40
	s_mov_b64 s[30:31], 0
	v_mov_b32_e32 v128, 0
	v_mov_b32_e32 v124, 0
	;; [unrolled: 1-line block ×3, first 2 shown]
	v_mov_b64_e32 v[70:71], v[10:11]
	v_mov_b64_e32 v[78:79], v[10:11]
	v_mov_b64_e32 v[62:63], v[10:11]
	v_mov_b64_e32 v[74:75], v[10:11]
	v_mov_b64_e32 v[54:55], v[10:11]
	v_mov_b64_e32 v[66:67], v[10:11]
	v_mov_b64_e32 v[46:47], v[10:11]
	v_mov_b64_e32 v[58:59], v[10:11]
	v_mov_b32_e32 v126, 0
	v_mov_b64_e32 v[38:39], v[10:11]
	v_mov_b64_e32 v[50:51], v[10:11]
	v_mov_b64_e32 v[30:31], v[10:11]
	v_mov_b64_e32 v[42:43], v[10:11]
                                        ; implicit-def: $sgpr34_sgpr35
                                        ; implicit-def: $vgpr83
                                        ; implicit-def: $vgpr85
                                        ; implicit-def: $vgpr86
	s_and_saveexec_b64 s[26:27], s[8:9]
	s_cbranch_execz .LBB70_121
; %bb.96:
	v_cndmask_b32_e64 v10, 0, 1, s[6:7]
	v_cndmask_b32_e64 v11, 0, 1, s[4:5]
	v_lshlrev_b16_e32 v10, 8, v10
	v_lshlrev_b16_e32 v11, 8, v11
	v_cndmask_b32_e64 v16, 0, 1, vcc
	ds_read2_b64 v[42:45], v48 offset0:7 offset1:8
	v_or_b32_e32 v10, v129, v10
	v_or_b32_sdwa v11, v16, v11 dst_sel:WORD_1 dst_unused:UNUSED_PAD src0_sel:DWORD src1_sel:DWORD
	s_mov_b64 s[4:5], 0
	v_or_b32_sdwa v83, v10, v11 dst_sel:DWORD dst_unused:UNUSED_PAD src0_sel:WORD_0 src1_sel:DWORD
	v_add_u32_e32 v10, 8, v73
	v_cmp_gt_u32_e32 vcc, s62, v10
	v_mov_b64_e32 v[10:11], 0
	v_and_b32_e32 v129, 0xffff, v83
	v_mov_b32_e32 v128, 0
	v_mov_b32_e32 v124, 0
	;; [unrolled: 1-line block ×3, first 2 shown]
	v_mov_b64_e32 v[70:71], v[10:11]
	v_mov_b64_e32 v[78:79], v[10:11]
	;; [unrolled: 1-line block ×8, first 2 shown]
	v_mov_b32_e32 v126, 0
	v_mov_b64_e32 v[38:39], v[10:11]
	v_mov_b64_e32 v[50:51], v[10:11]
	;; [unrolled: 1-line block ×3, first 2 shown]
                                        ; implicit-def: $sgpr6_sgpr7
                                        ; implicit-def: $vgpr85
                                        ; implicit-def: $vgpr86
	s_and_saveexec_b64 s[28:29], vcc
	s_cbranch_execz .LBB70_120
; %bb.97:
	v_add_u32_e32 v10, 9, v73
	v_cmp_gt_u32_e32 vcc, s62, v10
	v_mov_b64_e32 v[10:11], 0
	s_waitcnt lgkmcnt(0)
	v_mov_b32_e32 v30, v44
	v_mov_b32_e32 v31, v45
	v_and_b32_e32 v129, 0xffffff, v83
	s_mov_b64 s[6:7], 0
	v_mov_b32_e32 v128, 0
	v_mov_b32_e32 v124, 0
	;; [unrolled: 1-line block ×3, first 2 shown]
	v_mov_b64_e32 v[70:71], v[10:11]
	v_mov_b64_e32 v[78:79], v[10:11]
	;; [unrolled: 1-line block ×8, first 2 shown]
	v_mov_b32_e32 v126, 0
	v_mov_b64_e32 v[38:39], v[10:11]
	v_mov_b64_e32 v[50:51], v[10:11]
                                        ; implicit-def: $sgpr8_sgpr9
                                        ; implicit-def: $vgpr85
                                        ; implicit-def: $vgpr86
	s_and_saveexec_b64 s[30:31], vcc
	s_cbranch_execz .LBB70_119
; %bb.98:
	ds_read2_b64 v[50:53], v48 offset0:9 offset1:10
	v_add_u32_e32 v10, 10, v73
	v_cmp_gt_u32_e32 vcc, s62, v10
	v_mov_b64_e32 v[10:11], 0
	v_mov_b32_e32 v128, 0
	v_mov_b32_e32 v124, 0
	;; [unrolled: 1-line block ×3, first 2 shown]
	v_mov_b64_e32 v[70:71], v[10:11]
	v_mov_b64_e32 v[78:79], v[10:11]
	;; [unrolled: 1-line block ×8, first 2 shown]
	v_mov_b32_e32 v126, 0
	v_mov_b64_e32 v[38:39], v[10:11]
                                        ; implicit-def: $sgpr8_sgpr9
                                        ; implicit-def: $vgpr85
                                        ; implicit-def: $vgpr86
	s_and_saveexec_b64 s[34:35], vcc
	s_cbranch_execz .LBB70_118
; %bb.99:
	v_add_u32_e32 v10, 11, v73
	v_cmp_ne_u32_e32 vcc, v33, v24
	s_waitcnt lgkmcnt(0)
	v_mov_b32_e32 v38, v52
	v_mov_b32_e32 v39, v53
	v_cndmask_b32_e64 v126, 0, 1, vcc
	v_cmp_gt_u32_e32 vcc, s62, v10
	v_mov_b64_e32 v[10:11], 0
	s_mov_b64 s[40:41], 0
	v_mov_b32_e32 v128, 0
	v_mov_b32_e32 v124, 0
	;; [unrolled: 1-line block ×3, first 2 shown]
	v_mov_b64_e32 v[70:71], v[10:11]
	v_mov_b64_e32 v[78:79], v[10:11]
	;; [unrolled: 1-line block ×8, first 2 shown]
                                        ; implicit-def: $sgpr6_sgpr7
                                        ; implicit-def: $vgpr85
                                        ; implicit-def: $vgpr86
	s_and_saveexec_b64 s[36:37], vcc
	s_cbranch_execz .LBB70_117
; %bb.100:
	ds_read2_b64 v[58:61], v48 offset0:11 offset1:12
	v_add_u32_e32 v10, 12, v73
	v_cmp_ne_u32_e64 s[8:9], v24, v25
	v_cmp_ne_u32_e32 vcc, v20, v21
	v_cmp_ne_u32_e64 s[4:5], v21, v72
	v_cndmask_b32_e64 v128, 0, 1, s[8:9]
	v_cmp_gt_u32_e64 s[8:9], s62, v10
	v_mov_b64_e32 v[10:11], 0
	v_cmp_ne_u32_e64 s[6:7], v25, v20
	s_mov_b64 s[42:43], 0
	v_mov_b32_e32 v127, 0
	v_mov_b32_e32 v124, 0
	v_mov_b64_e32 v[70:71], v[10:11]
	v_mov_b64_e32 v[78:79], v[10:11]
	;; [unrolled: 1-line block ×7, first 2 shown]
                                        ; implicit-def: $sgpr44_sgpr45
                                        ; implicit-def: $vgpr85
                                        ; implicit-def: $vgpr86
	s_and_saveexec_b64 s[38:39], s[8:9]
	s_cbranch_execz .LBB70_116
; %bb.101:
	v_cndmask_b32_e64 v10, 0, 1, s[6:7]
	v_cndmask_b32_e64 v11, 0, 1, s[4:5]
	v_lshlrev_b16_e32 v10, 8, v10
	v_lshlrev_b16_e32 v11, 8, v11
	v_cndmask_b32_e64 v16, 0, 1, vcc
	v_or_b32_e32 v10, v128, v10
	v_or_b32_sdwa v11, v16, v11 dst_sel:WORD_1 dst_unused:UNUSED_PAD src0_sel:DWORD src1_sel:DWORD
	s_waitcnt lgkmcnt(0)
	v_mov_b32_e32 v46, v60
	v_or_b32_sdwa v85, v10, v11 dst_sel:DWORD dst_unused:UNUSED_PAD src0_sel:WORD_0 src1_sel:DWORD
	v_add_u32_e32 v10, 13, v73
	v_cmp_gt_u32_e32 vcc, s62, v10
	v_mov_b64_e32 v[10:11], 0
	v_and_b32_e32 v128, 0xffff, v85
	v_mov_b32_e32 v47, v61
	s_mov_b64 s[4:5], 0
	v_mov_b32_e32 v127, 0
	v_mov_b32_e32 v124, 0
	v_mov_b64_e32 v[70:71], v[10:11]
	v_mov_b64_e32 v[78:79], v[10:11]
	;; [unrolled: 1-line block ×6, first 2 shown]
                                        ; implicit-def: $sgpr6_sgpr7
                                        ; implicit-def: $vgpr86
	s_and_saveexec_b64 s[40:41], vcc
	s_cbranch_execz .LBB70_115
; %bb.102:
	ds_read2_b64 v[66:69], v48 offset0:13 offset1:14
	v_add_u32_e32 v10, 14, v73
	v_cmp_gt_u32_e32 vcc, s62, v10
	v_mov_b64_e32 v[10:11], 0
	v_and_b32_e32 v128, 0xffffff, v85
	s_mov_b64 s[6:7], 0
	v_mov_b32_e32 v127, 0
	v_mov_b32_e32 v124, 0
	v_mov_b64_e32 v[70:71], v[10:11]
	v_mov_b64_e32 v[78:79], v[10:11]
	;; [unrolled: 1-line block ×5, first 2 shown]
                                        ; implicit-def: $sgpr8_sgpr9
                                        ; implicit-def: $vgpr86
	s_and_saveexec_b64 s[42:43], vcc
	s_cbranch_execz .LBB70_114
; %bb.103:
	v_add_u32_e32 v10, 15, v73
	v_cmp_gt_u32_e32 vcc, s62, v10
	v_mov_b64_e32 v[10:11], 0
	s_waitcnt lgkmcnt(0)
	v_mov_b32_e32 v54, v68
	v_mov_b32_e32 v55, v69
	;; [unrolled: 1-line block ×4, first 2 shown]
	v_mov_b64_e32 v[70:71], v[10:11]
	v_mov_b64_e32 v[78:79], v[10:11]
	;; [unrolled: 1-line block ×4, first 2 shown]
                                        ; implicit-def: $sgpr8_sgpr9
                                        ; implicit-def: $vgpr86
	s_and_saveexec_b64 s[44:45], vcc
	s_cbranch_execz .LBB70_113
; %bb.104:
	ds_read2_b64 v[74:77], v48 offset0:15 offset1:16
	v_add_u32_e32 v10, 16, v73
	v_cmp_ne_u32_e32 vcc, v72, v12
	s_mov_b64 s[56:57], 0
	v_mov_b32_e32 v127, 0
	v_cndmask_b32_e64 v124, 0, 1, vcc
	v_cmp_gt_u32_e32 vcc, s62, v10
	v_mov_b64_e32 v[10:11], 0
	v_mov_b64_e32 v[70:71], v[10:11]
	;; [unrolled: 1-line block ×4, first 2 shown]
                                        ; implicit-def: $sgpr6_sgpr7
                                        ; implicit-def: $vgpr86
	s_and_saveexec_b64 s[46:47], vcc
	s_cbranch_execz .LBB70_112
; %bb.105:
	v_add_u32_e32 v10, 17, v73
	v_cmp_ne_u32_e64 s[8:9], v12, v13
	s_waitcnt lgkmcnt(0)
	v_mov_b32_e32 v62, v76
	v_mov_b32_e32 v63, v77
	v_cndmask_b32_e64 v127, 0, 1, s[8:9]
	v_cmp_gt_u32_e64 s[8:9], s62, v10
	v_mov_b64_e32 v[10:11], 0
	v_cmp_ne_u32_e32 vcc, v8, v9
	v_cmp_ne_u32_e64 s[4:5], v9, v4
	v_cmp_ne_u32_e64 s[6:7], v13, v8
	s_mov_b64 s[58:59], 0
	v_mov_b64_e32 v[70:71], v[10:11]
	v_mov_b64_e32 v[78:79], v[10:11]
                                        ; implicit-def: $sgpr60_sgpr61
                                        ; implicit-def: $vgpr86
	s_and_saveexec_b64 s[50:51], s[8:9]
	s_cbranch_execz .LBB70_111
; %bb.106:
	v_cndmask_b32_e64 v8, 0, 1, s[6:7]
	v_cndmask_b32_e64 v9, 0, 1, s[4:5]
	ds_read2_b64 v[78:81], v48 offset0:17 offset1:18
	v_lshlrev_b16_e32 v8, 8, v8
	v_lshlrev_b16_e32 v9, 8, v9
	v_cndmask_b32_e64 v10, 0, 1, vcc
	v_or_b32_e32 v8, v127, v8
	v_or_b32_sdwa v9, v10, v9 dst_sel:WORD_1 dst_unused:UNUSED_PAD src0_sel:DWORD src1_sel:DWORD
	v_mov_b64_e32 v[10:11], 0
	v_or_b32_sdwa v86, v8, v9 dst_sel:DWORD dst_unused:UNUSED_PAD src0_sel:WORD_0 src1_sel:DWORD
	v_add_u32_e32 v8, 18, v73
	v_and_b32_e32 v127, 0xffff, v86
	v_cmp_gt_u32_e32 vcc, s62, v8
	s_mov_b64 s[4:5], 0
	v_mov_b64_e32 v[70:71], v[10:11]
                                        ; implicit-def: $sgpr8_sgpr9
	s_and_saveexec_b64 s[6:7], vcc
	s_cbranch_execz .LBB70_110
; %bb.107:
	v_add_u32_e32 v8, 19, v73
	s_waitcnt lgkmcnt(0)
	v_mov_b32_e32 v70, v80
	v_mov_b32_e32 v71, v81
	v_cmp_gt_u32_e32 vcc, s62, v8
	v_and_b32_e32 v127, 0xffffff, v86
	v_mov_b64_e32 v[10:11], 0
                                        ; implicit-def: $sgpr8_sgpr9
	s_and_saveexec_b64 s[56:57], vcc
	s_xor_b64 s[56:57], exec, s[56:57]
	s_cbranch_execz .LBB70_109
; %bb.108:
	ds_read2_b64 v[10:13], v48 offset0:19 offset1:20
	v_add_u32_e32 v8, 20, v73
	v_cmp_ne_u32_e32 vcc, v4, v5
	v_cmp_gt_u32_e64 s[4:5], s62, v8
	s_and_b64 s[8:9], vcc, exec
	s_and_b64 s[4:5], s[4:5], exec
	s_waitcnt lgkmcnt(0)
	v_mov_b64_e32 v[72:73], v[10:11]
	v_mov_b32_e32 v127, v86
.LBB70_109:
	s_or_b64 exec, exec, s[56:57]
	s_and_b64 s[8:9], s[8:9], exec
	s_and_b64 s[58:59], s[4:5], exec
.LBB70_110:
	s_or_b64 exec, exec, s[6:7]
	s_and_b64 s[60:61], s[8:9], exec
	s_and_b64 s[56:57], s[58:59], exec
	s_waitcnt lgkmcnt(0)
	v_mov_b64_e32 v[64:65], v[78:79]
	v_mov_b64_e32 v[56:57], v[74:75]
	;; [unrolled: 1-line block ×9, first 2 shown]
.LBB70_111:
	s_or_b64 exec, exec, s[50:51]
	s_and_b64 s[6:7], s[60:61], exec
	s_and_b64 s[4:5], s[56:57], exec
.LBB70_112:
	s_or_b64 exec, exec, s[46:47]
	s_and_b64 s[8:9], s[6:7], exec
	s_and_b64 s[6:7], s[4:5], exec
.LBB70_113:
	s_or_b64 exec, exec, s[44:45]
	s_and_b64 s[8:9], s[8:9], exec
	s_and_b64 s[4:5], s[6:7], exec
	v_mov_b32_e32 v128, v85
.LBB70_114:
	s_or_b64 exec, exec, s[42:43]
	s_and_b64 s[6:7], s[8:9], exec
	s_and_b64 s[42:43], s[4:5], exec
.LBB70_115:
	s_or_b64 exec, exec, s[40:41]
	s_and_b64 s[44:45], s[6:7], exec
	s_and_b64 s[40:41], s[42:43], exec
.LBB70_116:
	s_or_b64 exec, exec, s[38:39]
	s_and_b64 s[6:7], s[44:45], exec
	s_and_b64 s[4:5], s[40:41], exec
.LBB70_117:
	s_or_b64 exec, exec, s[36:37]
	s_and_b64 s[8:9], s[6:7], exec
	s_and_b64 s[6:7], s[4:5], exec
.LBB70_118:
	s_or_b64 exec, exec, s[34:35]
	s_and_b64 s[8:9], s[8:9], exec
	s_and_b64 s[4:5], s[6:7], exec
	v_mov_b32_e32 v129, v83
.LBB70_119:
	s_or_b64 exec, exec, s[30:31]
	s_and_b64 s[6:7], s[8:9], exec
	s_and_b64 s[30:31], s[4:5], exec
.LBB70_120:
	s_or_b64 exec, exec, s[28:29]
	s_and_b64 s[34:35], s[6:7], exec
	s_and_b64 s[28:29], s[30:31], exec
.LBB70_121:
	s_or_b64 exec, exec, s[26:27]
	s_and_b64 s[6:7], s[34:35], exec
	s_and_b64 s[4:5], s[28:29], exec
.LBB70_122:
	s_or_b64 exec, exec, s[24:25]
	s_and_b64 s[8:9], s[6:7], exec
	s_and_b64 s[6:7], s[4:5], exec
.LBB70_123:
	s_or_b64 exec, exec, s[22:23]
	s_and_b64 s[8:9], s[8:9], exec
	s_and_b64 s[4:5], s[6:7], exec
	v_mov_b32_e32 v130, v84
.LBB70_124:
	s_or_b64 exec, exec, s[20:21]
	s_and_b64 s[6:7], s[8:9], exec
	s_and_b64 s[20:21], s[4:5], exec
.LBB70_125:
	s_or_b64 exec, exec, s[18:19]
	s_and_b64 s[22:23], s[6:7], exec
	s_and_b64 s[18:19], s[20:21], exec
.LBB70_126:
	s_or_b64 exec, exec, s[16:17]
	s_and_b64 s[6:7], s[22:23], exec
	s_and_b64 s[4:5], s[18:19], exec
.LBB70_127:
	s_or_b64 exec, exec, s[14:15]
	s_and_b64 s[6:7], s[6:7], exec
	s_and_b64 s[8:9], s[4:5], exec
.LBB70_128:
	s_or_b64 exec, exec, s[12:13]
	s_mov_b64 s[12:13], 0
	s_and_b64 vcc, exec, s[10:11]
	v_cmp_ne_u32_e64 s[4:5], 0, v0
	s_cbranch_vccz .LBB70_132
.LBB70_129:
	v_mov_b32_e32 v83, 0
	s_waitcnt lgkmcnt(0)
	v_lshl_add_u64 v[2:3], s[54:55], 0, v[82:83]
	v_add_co_u32_e32 v4, vcc, 0x1000, v2
	global_load_dword v1, v82, s[54:55]
	global_load_dword v8, v82, s[54:55] offset:1024
	global_load_dword v9, v82, s[54:55] offset:2048
	;; [unrolled: 1-line block ×3, first 2 shown]
	v_addc_co_u32_e32 v5, vcc, 0, v3, vcc
	v_add_co_u32_e32 v6, vcc, 0x2000, v2
	s_movk_i32 s7, 0x50
	s_nop 0
	v_addc_co_u32_e32 v7, vcc, 0, v3, vcc
	global_load_dword v11, v[4:5], off
	global_load_dword v12, v[4:5], off offset:1024
	global_load_dword v13, v[4:5], off offset:2048
	;; [unrolled: 1-line block ×3, first 2 shown]
	global_load_dword v15, v[6:7], off
	global_load_dword v16, v[6:7], off offset:1024
	global_load_dword v17, v[6:7], off offset:2048
	;; [unrolled: 1-line block ×3, first 2 shown]
	v_add_co_u32_e32 v4, vcc, 0x3000, v2
	s_sub_u32 s6, 0, s2
	s_nop 0
	v_addc_co_u32_e32 v5, vcc, 0, v3, vcc
	v_add_co_u32_e32 v6, vcc, 0x4000, v2
	v_mad_u32_u24 v28, v0, s7, v82
	s_nop 0
	v_addc_co_u32_e32 v7, vcc, 0, v3, vcc
	global_load_dword v19, v[4:5], off
	global_load_dword v20, v[4:5], off offset:1024
	global_load_dword v21, v[4:5], off offset:2048
	;; [unrolled: 1-line block ×3, first 2 shown]
	global_load_dword v24, v[6:7], off
	global_load_dword v25, v[6:7], off offset:1024
	global_load_dword v26, v[6:7], off offset:2048
	;; [unrolled: 1-line block ×3, first 2 shown]
	v_add_co_u32_e32 v2, vcc, 0x5000, v2
	s_subb_u32 s7, 0, 0
	s_nop 0
	v_addc_co_u32_e32 v3, vcc, 0, v3, vcc
	global_load_dword v2, v[2:3], off
	s_cmp_eq_u64 s[6:7], s[48:49]
	s_cselect_b32 s6, 0, -4
	s_cselect_b32 s7, 0, -1
	s_add_u32 s6, s54, s6
	s_addc_u32 s7, s55, s7
	s_movk_i32 s12, 0xffb0
	s_movk_i32 s11, 0x1000
	;; [unrolled: 1-line block ×6, first 2 shown]
	v_mad_i32_i24 v22, v0, s12, v28
	s_waitcnt vmcnt(19)
	ds_write2st64_b32 v82, v1, v8 offset1:4
	s_waitcnt vmcnt(17)
	ds_write2st64_b32 v82, v9, v10 offset0:8 offset1:12
	s_waitcnt vmcnt(15)
	ds_write2st64_b32 v82, v11, v12 offset0:16 offset1:20
	;; [unrolled: 2-line block ×9, first 2 shown]
	s_waitcnt vmcnt(0)
	ds_write_b32 v82, v2 offset:20480
	s_waitcnt lgkmcnt(0)
	s_barrier
	s_load_dword s6, s[6:7], 0x0
	ds_read2_b32 v[2:3], v28 offset0:4 offset1:9
	ds_read2_b32 v[20:21], v28 offset0:19 offset1:20
	;; [unrolled: 1-line block ×4, first 2 shown]
	ds_read_b32 v23, v28 offset:56
	ds_read2_b32 v[14:15], v28 offset0:12 offset1:13
	ds_read2_b32 v[12:13], v28 offset0:10 offset1:11
	ds_read2_b32 v[8:9], v28 offset0:7 offset1:8
	ds_read2_b32 v[6:7], v28 offset0:5 offset1:6
	ds_read2_b32 v[4:5], v28 offset0:2 offset1:3
	ds_read2_b32 v[10:11], v28 offset1:1
	s_waitcnt lgkmcnt(0)
	ds_write_b32 v22, v21 offset:21504
	s_waitcnt lgkmcnt(0)
	v_mov_b32_e32 v1, s6
	s_barrier
	s_and_saveexec_b64 s[6:7], s[4:5]
	s_cbranch_execz .LBB70_131
; %bb.130:
	ds_read_b32 v1, v22 offset:21500
.LBB70_131:
	s_or_b64 exec, exec, s[6:7]
	v_lshlrev_b32_e32 v82, 3, v0
	v_lshl_add_u64 v[24:25], s[52:53], 0, v[82:83]
	v_add_co_u32_e32 v26, vcc, s11, v24
	s_waitcnt lgkmcnt(0)
	s_nop 0
	v_addc_co_u32_e32 v27, vcc, 0, v25, vcc
	v_add_co_u32_e32 v28, vcc, s10, v24
	s_barrier
	s_nop 0
	v_addc_co_u32_e32 v29, vcc, 0, v25, vcc
	v_add_co_u32_e32 v36, vcc, s9, v24
	s_nop 1
	v_addc_co_u32_e32 v37, vcc, 0, v25, vcc
	v_add_co_u32_e32 v38, vcc, s8, v24
	global_load_dwordx2 v[30:31], v82, s[52:53]
	global_load_dwordx2 v[32:33], v82, s[52:53] offset:2048
	global_load_dwordx2 v[34:35], v[28:29], off offset:-4096
	v_addc_co_u32_e32 v39, vcc, 0, v25, vcc
	global_load_dwordx2 v[40:41], v[28:29], off
	global_load_dwordx2 v[42:43], v[28:29], off offset:2048
	global_load_dwordx2 v[44:45], v[38:39], off offset:-4096
	global_load_dwordx2 v[46:47], v[38:39], off
	v_add_co_u32_e32 v28, vcc, s3, v24
	s_movk_i32 s3, 0x6000
	s_nop 0
	v_addc_co_u32_e32 v29, vcc, 0, v25, vcc
	v_add_co_u32_e32 v48, vcc, s3, v24
	s_movk_i32 s3, 0x7000
	s_nop 0
	v_addc_co_u32_e32 v49, vcc, 0, v25, vcc
	global_load_dwordx2 v[50:51], v[38:39], off offset:2048
	global_load_dwordx2 v[52:53], v[48:49], off offset:-4096
	global_load_dwordx2 v[54:55], v[48:49], off
	global_load_dwordx2 v[56:57], v[48:49], off offset:2048
	v_add_co_u32_e32 v38, vcc, s3, v24
	s_mov_b32 s3, 0x8000
	s_nop 0
	v_addc_co_u32_e32 v39, vcc, 0, v25, vcc
	v_add_co_u32_e32 v48, vcc, s3, v24
	s_mov_b32 s3, 0x9000
	s_nop 0
	v_addc_co_u32_e32 v49, vcc, 0, v25, vcc
	global_load_dwordx2 v[58:59], v[26:27], off offset:2048
	global_load_dwordx2 v[60:61], v[36:37], off offset:2048
	;; [unrolled: 1-line block ×4, first 2 shown]
	v_add_co_u32_e32 v26, vcc, s3, v24
	s_mov_b32 s3, 0xa000
	s_nop 0
	v_addc_co_u32_e32 v27, vcc, 0, v25, vcc
	v_add_co_u32_e32 v24, vcc, s3, v24
	v_cmp_ne_u32_e64 s[6:7], v20, v21
	s_nop 0
	v_addc_co_u32_e32 v25, vcc, 0, v25, vcc
	global_load_dwordx2 v[28:29], v[48:49], off offset:-4096
	global_load_dwordx2 v[36:37], v[48:49], off
	global_load_dwordx2 v[38:39], v[48:49], off offset:2048
	global_load_dwordx2 v[66:67], v[24:25], off offset:-4096
	global_load_dwordx2 v[68:69], v[26:27], off offset:2048
	global_load_dwordx2 v[70:71], v[24:25], off
	v_cmp_ne_u32_e32 vcc, v17, v18
	s_movk_i32 s3, 0xa0
	s_mov_b64 s[8:9], -1
	v_cndmask_b32_e64 v21, 0, 1, vcc
	v_cmp_ne_u32_e32 vcc, v16, v17
	v_lshlrev_b16_e32 v21, 8, v21
                                        ; implicit-def: $vgpr130
                                        ; implicit-def: $vgpr129
                                        ; implicit-def: $vgpr128
                                        ; implicit-def: $vgpr127
                                        ; implicit-def: $sgpr12_sgpr13
                                        ; implicit-def: $vgpr78_vgpr79
                                        ; implicit-def: $vgpr74_vgpr75
                                        ; implicit-def: $vgpr26_vgpr27
	s_nop 0
	v_cndmask_b32_e64 v17, 0, 1, vcc
	v_cmp_ne_u32_e32 vcc, v19, v20
	v_or_b32_e32 v17, v17, v21
	s_nop 0
	v_cndmask_b32_e64 v20, 0, 1, vcc
	v_cmp_ne_u32_e32 vcc, v18, v19
	v_lshlrev_b16_e32 v20, 8, v20
	s_nop 0
	v_cndmask_b32_e64 v18, 0, 1, vcc
	v_cmp_ne_u32_e32 vcc, v23, v16
	v_or_b32_sdwa v18, v18, v20 dst_sel:WORD_1 dst_unused:UNUSED_PAD src0_sel:DWORD src1_sel:DWORD
	s_nop 0
	v_cndmask_b32_e64 v124, 0, 1, vcc
	v_cmp_ne_u32_e32 vcc, v13, v14
	v_or_b32_sdwa v86, v17, v18 dst_sel:DWORD dst_unused:UNUSED_PAD src0_sel:WORD_0 src1_sel:DWORD
	s_nop 0
	v_cndmask_b32_e64 v16, 0, 1, vcc
	v_cmp_ne_u32_e32 vcc, v12, v13
	v_lshlrev_b16_e32 v16, 8, v16
	s_nop 0
	v_cndmask_b32_e64 v13, 0, 1, vcc
	v_cmp_ne_u32_e32 vcc, v15, v23
	v_or_b32_e32 v13, v13, v16
	s_nop 0
	v_cndmask_b32_e64 v16, 0, 1, vcc
	v_cmp_ne_u32_e32 vcc, v14, v15
	v_lshlrev_b16_e32 v16, 8, v16
	s_nop 0
	v_cndmask_b32_e64 v14, 0, 1, vcc
	v_cmp_ne_u32_e32 vcc, v3, v12
	v_or_b32_sdwa v14, v14, v16 dst_sel:WORD_1 dst_unused:UNUSED_PAD src0_sel:DWORD src1_sel:DWORD
	s_nop 0
	v_cndmask_b32_e64 v126, 0, 1, vcc
	v_cmp_ne_u32_e32 vcc, v7, v8
	v_or_b32_sdwa v85, v13, v14 dst_sel:DWORD dst_unused:UNUSED_PAD src0_sel:WORD_0 src1_sel:DWORD
	s_nop 0
	v_cndmask_b32_e64 v12, 0, 1, vcc
	v_cmp_ne_u32_e32 vcc, v6, v7
	v_lshlrev_b16_e32 v12, 8, v12
	;; [unrolled: 20-line block ×3, first 2 shown]
	s_nop 0
	v_cndmask_b32_e64 v6, 0, 1, vcc
	v_cmp_ne_u32_e32 vcc, v5, v2
	v_or_b32_e32 v11, v6, v3
	s_nop 0
	v_cndmask_b32_e64 v2, 0, 1, vcc
	v_cmp_ne_u32_e32 vcc, v4, v5
	v_lshlrev_b16_e32 v2, 8, v2
	s_nop 0
	v_cndmask_b32_e64 v3, 0, 1, vcc
	v_or_b32_sdwa v14, v3, v2 dst_sel:WORD_1 dst_unused:UNUSED_PAD src0_sel:DWORD src1_sel:DWORD
	v_lshl_add_u32 v2, v0, 2, v22
	v_mad_u32_u24 v12, v0, s3, v2
	s_waitcnt vmcnt(19)
	ds_write2st64_b64 v2, v[30:31], v[32:33] offset1:4
	s_waitcnt vmcnt(9)
	ds_write2st64_b64 v2, v[34:35], v[58:59] offset0:8 offset1:12
	ds_write2st64_b64 v2, v[40:41], v[42:43] offset0:16 offset1:20
	s_waitcnt vmcnt(8)
	ds_write2st64_b64 v2, v[44:45], v[60:61] offset0:24 offset1:28
	ds_write2st64_b64 v2, v[46:47], v[50:51] offset0:32 offset1:36
	;; [unrolled: 3-line block ×3, first 2 shown]
	s_waitcnt vmcnt(5)
	ds_write2st64_b64 v2, v[28:29], v[64:65] offset0:56 offset1:60
	s_waitcnt vmcnt(3)
	ds_write2st64_b64 v2, v[36:37], v[38:39] offset0:64 offset1:68
	;; [unrolled: 2-line block ×3, first 2 shown]
	s_waitcnt vmcnt(0)
	ds_write_b64 v2, v[70:71] offset:40960
	s_waitcnt lgkmcnt(0)
	s_barrier
	ds_read2_b64 v[2:5], v12 offset1:1
	ds_read2_b64 v[6:9], v12 offset0:2 offset1:3
	ds_read2_b64 v[18:21], v12 offset0:4 offset1:5
	;; [unrolled: 1-line block ×9, first 2 shown]
	ds_read_b64 v[12:13], v12 offset:160
	v_cmp_ne_u32_e32 vcc, v1, v10
	v_or_b32_sdwa v84, v11, v14 dst_sel:DWORD dst_unused:UNUSED_PAD src0_sel:WORD_0 src1_sel:DWORD
                                        ; implicit-def: $sgpr3
                                        ; implicit-def: $vgpr66_vgpr67
                                        ; implicit-def: $vgpr58_vgpr59
                                        ; implicit-def: $vgpr50_vgpr51
                                        ; implicit-def: $vgpr42_vgpr43
                                        ; implicit-def: $vgpr34_vgpr35
                                        ; implicit-def: $vgpr14_vgpr15
	s_nop 0
	v_cndmask_b32_e64 v1, 0, 1, vcc
.LBB70_132:
	s_waitcnt lgkmcnt(0)
	v_mov_b64_e32 v[16:17], s[12:13]
	v_mov_b32_e32 v28, s3
	s_and_saveexec_b64 s[4:5], s[8:9]
	s_cbranch_execz .LBB70_134
; %bb.133:
	v_cndmask_b32_e64 v28, 0, 1, s[6:7]
	v_mov_b64_e32 v[14:15], v[4:5]
	v_mov_b64_e32 v[26:27], v[8:9]
	;; [unrolled: 1-line block ×11, first 2 shown]
	v_mov_b32_e32 v127, v86
	v_mov_b32_e32 v128, v85
	;; [unrolled: 1-line block ×4, first 2 shown]
.LBB70_134:
	s_or_b64 exec, exec, s[4:5]
	v_and_b32_e32 v131, 1, v125
	v_and_b32_e32 v37, 1, v126
	;; [unrolled: 1-line block ×4, first 2 shown]
	s_cmp_lg_u32 s2, 0
	v_lshrrev_b32_e32 v132, 8, v130
	v_cmp_eq_u32_e32 vcc, 1, v131
	v_lshrrev_b32_e32 v41, 8, v129
	v_cmp_eq_u32_e64 s[48:49], 1, v37
	v_lshrrev_b32_e32 v40, 8, v128
	v_cmp_eq_u32_e64 s[50:51], 1, v33
	;; [unrolled: 2-line block ×3, first 2 shown]
	v_mbcnt_lo_u32_b32 v29, -1, 0
	s_barrier
	s_cbranch_scc0 .LBB70_203
; %bb.135:
	v_mov_b32_e32 v8, 0
	v_and_b32_e32 v9, 1, v130
	v_and_b32_e32 v4, 1, v1
	s_movk_i32 s3, 0xff
	v_cmp_eq_u16_sdwa s[4:5], v130, v8 src0_sel:BYTE_0 src1_sel:DWORD
	v_cmp_eq_u32_e64 s[52:53], 1, v9
	v_and_b32_e32 v9, 0x100, v130
	v_cmp_eq_u32_e64 s[12:13], 1, v4
	v_cndmask_b32_e64 v5, 0, v3, s[4:5]
	v_cndmask_b32_e64 v4, 0, v2, s[4:5]
	v_cmp_ne_u32_e64 s[56:57], 0, v9
	v_and_b32_sdwa v9, v130, s3 dst_sel:DWORD dst_unused:UNUSED_PAD src0_sel:WORD_1 src1_sel:DWORD
	v_lshl_add_u64 v[4:5], v[4:5], 0, v[14:15]
	v_cmp_eq_u16_sdwa s[6:7], v132, v8 src0_sel:BYTE_0 src1_sel:DWORD
	v_cmp_eq_u16_e64 s[8:9], 0, v9
	v_and_b32_e32 v9, 0x10000, v130
	v_cndmask_b32_e64 v5, 0, v5, s[6:7]
	v_cndmask_b32_e64 v4, 0, v4, s[6:7]
	v_cmp_ne_u32_e64 s[58:59], 0, v9
	v_and_b32_e32 v9, 0x1000000, v130
	v_lshl_add_u64 v[4:5], v[4:5], 0, v[6:7]
	v_cmp_ne_u32_e64 s[60:61], 0, v9
	v_and_b32_e32 v9, 1, v129
	v_cndmask_b32_e64 v5, 0, v5, s[8:9]
	v_cndmask_b32_e64 v4, 0, v4, s[8:9]
	v_cmp_eq_u32_e64 s[62:63], 1, v9
	v_and_b32_e32 v9, 0x100, v129
	v_lshl_add_u64 v[4:5], v[4:5], 0, v[26:27]
	v_cmp_eq_u16_sdwa s[10:11], v130, v8 src0_sel:BYTE_3 src1_sel:DWORD
	v_cmp_ne_u32_e64 s[64:65], 0, v9
	v_and_b32_sdwa v9, v129, s3 dst_sel:DWORD dst_unused:UNUSED_PAD src0_sel:WORD_1 src1_sel:DWORD
	v_cndmask_b32_e64 v5, 0, v5, s[10:11]
	v_cndmask_b32_e64 v4, 0, v4, s[10:11]
	v_cmp_eq_u16_e64 s[20:21], 0, v9
	v_and_b32_e32 v9, 0x10000, v129
	v_lshl_add_u64 v[4:5], v[4:5], 0, v[18:19]
	v_cmp_eq_u16_sdwa s[14:15], v125, v8 src0_sel:BYTE_0 src1_sel:DWORD
	v_cmp_ne_u32_e64 s[66:67], 0, v9
	v_and_b32_e32 v9, 0x1000000, v129
	v_cndmask_b32_e64 v5, 0, v5, s[14:15]
	v_cndmask_b32_e64 v4, 0, v4, s[14:15]
	v_cmp_ne_u32_e64 s[70:71], 0, v9
	v_and_b32_e32 v9, 1, v128
	v_lshl_add_u64 v[4:5], v[4:5], 0, v[34:35]
	v_cmp_eq_u16_sdwa s[16:17], v129, v8 src0_sel:BYTE_0 src1_sel:DWORD
	v_cmp_eq_u32_e64 s[72:73], 1, v9
	v_and_b32_e32 v9, 0x100, v128
	v_cndmask_b32_e64 v5, 0, v5, s[16:17]
	v_cndmask_b32_e64 v4, 0, v4, s[16:17]
	v_cmp_ne_u32_e64 s[74:75], 0, v9
	v_and_b32_sdwa v9, v128, s3 dst_sel:DWORD dst_unused:UNUSED_PAD src0_sel:WORD_1 src1_sel:DWORD
	v_lshl_add_u64 v[4:5], v[4:5], 0, v[22:23]
	v_cmp_eq_u16_sdwa s[18:19], v41, v8 src0_sel:BYTE_0 src1_sel:DWORD
	v_cmp_eq_u16_e64 s[30:31], 0, v9
	v_and_b32_e32 v9, 0x10000, v128
	v_cndmask_b32_e64 v5, 0, v5, s[18:19]
	v_cndmask_b32_e64 v4, 0, v4, s[18:19]
	v_cmp_ne_u32_e64 s[76:77], 0, v9
	v_and_b32_e32 v9, 0x1000000, v128
	v_lshl_add_u64 v[4:5], v[4:5], 0, v[42:43]
	v_cmp_ne_u32_e64 s[78:79], 0, v9
	v_and_b32_e32 v9, 1, v127
	v_cndmask_b32_e64 v5, 0, v5, s[20:21]
	v_cndmask_b32_e64 v4, 0, v4, s[20:21]
	v_cmp_eq_u32_e64 s[80:81], 1, v9
	v_and_b32_e32 v9, 0x100, v127
	v_lshl_add_u64 v[4:5], v[4:5], 0, v[30:31]
	v_cmp_eq_u16_sdwa s[22:23], v129, v8 src0_sel:BYTE_3 src1_sel:DWORD
	v_cmp_ne_u32_e64 s[82:83], 0, v9
	v_and_b32_sdwa v9, v127, s3 dst_sel:DWORD dst_unused:UNUSED_PAD src0_sel:WORD_1 src1_sel:DWORD
	v_cndmask_b32_e64 v5, 0, v5, s[22:23]
	v_cndmask_b32_e64 v4, 0, v4, s[22:23]
	v_cmp_eq_u16_e64 s[42:43], 0, v9
	v_and_b32_e32 v9, 0x10000, v127
	v_lshl_add_u64 v[4:5], v[4:5], 0, v[50:51]
	v_cmp_eq_u16_sdwa s[24:25], v126, v8 src0_sel:BYTE_0 src1_sel:DWORD
	v_cmp_ne_u32_e64 s[84:85], 0, v9
	v_and_b32_e32 v9, 0x1000000, v127
	v_cndmask_b32_e64 v5, 0, v5, s[24:25]
	v_cndmask_b32_e64 v4, 0, v4, s[24:25]
	v_cmp_ne_u32_e64 s[86:87], 0, v9
	v_lshl_add_u64 v[4:5], v[4:5], 0, v[38:39]
	v_cmp_eq_u16_sdwa s[26:27], v128, v8 src0_sel:BYTE_0 src1_sel:DWORD
	s_or_b64 s[54:55], s[54:55], s[86:87]
	s_or_b64 s[54:55], s[54:55], s[84:85]
	v_cndmask_b32_e64 v5, 0, v5, s[26:27]
	v_cndmask_b32_e64 v4, 0, v4, s[26:27]
	v_lshl_add_u64 v[4:5], v[4:5], 0, v[58:59]
	v_cmp_eq_u16_sdwa s[28:29], v40, v8 src0_sel:BYTE_0 src1_sel:DWORD
	s_or_b64 s[54:55], s[54:55], s[82:83]
	s_or_b64 s[54:55], s[54:55], s[80:81]
	v_cndmask_b32_e64 v5, 0, v5, s[28:29]
	v_cndmask_b32_e64 v4, 0, v4, s[28:29]
	v_lshl_add_u64 v[4:5], v[4:5], 0, v[46:47]
	s_or_b64 s[50:51], s[54:55], s[50:51]
	v_cndmask_b32_e64 v5, 0, v5, s[30:31]
	v_cndmask_b32_e64 v4, 0, v4, s[30:31]
	s_or_b64 s[50:51], s[50:51], s[78:79]
	v_lshl_add_u64 v[4:5], v[4:5], 0, v[66:67]
	v_cmp_eq_u16_sdwa s[34:35], v128, v8 src0_sel:BYTE_3 src1_sel:DWORD
	s_or_b64 s[50:51], s[50:51], s[76:77]
	s_or_b64 s[50:51], s[50:51], s[74:75]
	v_cndmask_b32_e64 v5, 0, v5, s[34:35]
	v_cndmask_b32_e64 v4, 0, v4, s[34:35]
	v_lshl_add_u64 v[4:5], v[4:5], 0, v[54:55]
	v_cmp_eq_u16_sdwa s[36:37], v124, v8 src0_sel:BYTE_0 src1_sel:DWORD
	s_or_b64 s[50:51], s[50:51], s[72:73]
	s_or_b64 s[48:49], s[50:51], s[48:49]
	v_cndmask_b32_e64 v5, 0, v5, s[36:37]
	v_cndmask_b32_e64 v4, 0, v4, s[36:37]
	v_lshl_add_u64 v[4:5], v[4:5], 0, v[74:75]
	v_cmp_eq_u16_sdwa s[38:39], v127, v8 src0_sel:BYTE_0 src1_sel:DWORD
	;; [unrolled: 6-line block ×3, first 2 shown]
	s_or_b64 s[48:49], s[48:49], s[64:65]
	s_or_b64 s[48:49], s[48:49], s[62:63]
	v_cndmask_b32_e64 v5, 0, v5, s[40:41]
	v_cndmask_b32_e64 v4, 0, v4, s[40:41]
	v_lshl_add_u64 v[4:5], v[4:5], 0, v[78:79]
	s_or_b64 s[48:49], s[48:49], vcc
	v_cndmask_b32_e64 v5, 0, v5, s[42:43]
	v_cndmask_b32_e64 v4, 0, v4, s[42:43]
	s_or_b64 s[48:49], s[48:49], s[60:61]
	v_lshl_add_u64 v[4:5], v[4:5], 0, v[70:71]
	v_cmp_eq_u16_sdwa s[44:45], v127, v8 src0_sel:BYTE_3 src1_sel:DWORD
	s_or_b64 s[48:49], s[48:49], s[58:59]
	s_or_b64 s[48:49], s[48:49], s[56:57]
	v_cndmask_b32_e64 v5, 0, v5, s[44:45]
	v_cndmask_b32_e64 v4, 0, v4, s[44:45]
	v_lshl_add_u64 v[4:5], v[4:5], 0, v[10:11]
	v_cmp_eq_u16_sdwa s[46:47], v28, v8 src0_sel:BYTE_0 src1_sel:DWORD
	s_or_b64 s[48:49], s[48:49], s[52:53]
	s_or_b64 s[48:49], s[48:49], s[12:13]
	v_cndmask_b32_e64 v5, 0, v5, s[46:47]
	v_cndmask_b32_e64 v4, 0, v4, s[46:47]
	v_mbcnt_hi_u32_b32 v52, -1, v29
	v_lshl_add_u64 v[8:9], v[4:5], 0, v[16:17]
	v_and_b32_e32 v5, 15, v52
	v_cndmask_b32_e64 v4, 0, 1, s[48:49]
	v_cndmask_b32_e64 v12, 0, 1, s[48:49]
	v_mov_b32_dpp v13, v8 row_shr:1 row_mask:0xf bank_mask:0xf
	v_mov_b32_dpp v20, v9 row_shr:1 row_mask:0xf bank_mask:0xf
	;; [unrolled: 1-line block ×3, first 2 shown]
	v_cmp_ne_u32_e32 vcc, 0, v5
	s_and_saveexec_b64 s[50:51], vcc
; %bb.136:
	v_and_b32_e32 v4, 1, v21
	v_or_b32_e32 v12, v4, v12
	v_cndmask_b32_e64 v21, v20, 0, s[48:49]
	v_cndmask_b32_e64 v20, v13, 0, s[48:49]
	v_lshl_add_u64 v[8:9], v[20:21], 0, v[8:9]
	v_and_b32_e32 v4, 0xffff, v12
; %bb.137:
	s_or_b64 exec, exec, s[50:51]
	v_mov_b32_dpp v13, v8 row_shr:2 row_mask:0xf bank_mask:0xf
	v_mov_b32_dpp v20, v9 row_shr:2 row_mask:0xf bank_mask:0xf
	;; [unrolled: 1-line block ×3, first 2 shown]
	v_cmp_lt_u32_e32 vcc, 1, v5
	s_and_saveexec_b64 s[50:51], vcc
	s_cbranch_execz .LBB70_139
; %bb.138:
	v_and_b32_e32 v4, 1, v12
	v_cmp_eq_u32_e32 vcc, 1, v4
	v_and_b32_e32 v4, 1, v21
	v_cmp_eq_u32_e64 s[48:49], 1, v4
	s_or_b64 s[48:49], vcc, s[48:49]
	v_cmp_eq_u16_e32 vcc, 0, v12
	v_cndmask_b32_e64 v24, 0, 1, s[48:49]
	v_cndmask_b32_e64 v4, 0, 1, s[48:49]
	v_cndmask_b32_e32 v21, 0, v20, vcc
	v_cndmask_b32_e32 v20, 0, v13, vcc
	v_lshl_add_u64 v[8:9], v[20:21], 0, v[8:9]
	v_mov_b32_e32 v12, v24
.LBB70_139:
	s_or_b64 exec, exec, s[50:51]
	v_mov_b32_dpp v13, v8 row_shr:4 row_mask:0xf bank_mask:0xf
	v_mov_b32_dpp v20, v9 row_shr:4 row_mask:0xf bank_mask:0xf
	;; [unrolled: 1-line block ×3, first 2 shown]
	v_cmp_lt_u32_e32 vcc, 3, v5
	s_and_saveexec_b64 s[50:51], vcc
	s_cbranch_execz .LBB70_141
; %bb.140:
	v_and_b32_e32 v4, 1, v12
	v_cmp_eq_u32_e32 vcc, 1, v4
	v_and_b32_e32 v4, 1, v21
	v_cmp_eq_u32_e64 s[48:49], 1, v4
	s_or_b64 s[48:49], vcc, s[48:49]
	v_cmp_eq_u16_e32 vcc, 0, v12
	v_cndmask_b32_e64 v24, 0, 1, s[48:49]
	v_cndmask_b32_e64 v4, 0, 1, s[48:49]
	v_cndmask_b32_e32 v21, 0, v20, vcc
	v_cndmask_b32_e32 v20, 0, v13, vcc
	v_lshl_add_u64 v[8:9], v[20:21], 0, v[8:9]
	v_mov_b32_e32 v12, v24
.LBB70_141:
	s_or_b64 exec, exec, s[50:51]
	v_mov_b32_dpp v13, v8 row_shr:8 row_mask:0xf bank_mask:0xf
	v_mov_b32_dpp v20, v9 row_shr:8 row_mask:0xf bank_mask:0xf
	;; [unrolled: 1-line block ×3, first 2 shown]
	v_cmp_lt_u32_e32 vcc, 7, v5
	s_and_saveexec_b64 s[50:51], vcc
	s_cbranch_execz .LBB70_143
; %bb.142:
	v_and_b32_e32 v4, 1, v12
	v_cmp_eq_u32_e32 vcc, 1, v4
	v_and_b32_e32 v4, 1, v21
	v_cmp_eq_u32_e64 s[48:49], 1, v4
	s_or_b64 s[48:49], vcc, s[48:49]
	v_cmp_eq_u16_e32 vcc, 0, v12
	v_cndmask_b32_e64 v21, 0, 1, s[48:49]
	v_mov_b32_e32 v12, v21
	v_cndmask_b32_e32 v5, 0, v20, vcc
	v_cndmask_b32_e32 v4, 0, v13, vcc
	v_lshl_add_u64 v[8:9], v[4:5], 0, v[8:9]
	v_cndmask_b32_e64 v4, 0, 1, s[48:49]
.LBB70_143:
	s_or_b64 exec, exec, s[50:51]
	v_and_b32_e32 v21, 16, v52
	v_mov_b32_dpp v5, v8 row_bcast:15 row_mask:0xf bank_mask:0xf
	v_mov_b32_dpp v13, v9 row_bcast:15 row_mask:0xf bank_mask:0xf
	;; [unrolled: 1-line block ×3, first 2 shown]
	v_cmp_ne_u32_e32 vcc, 0, v21
	s_and_saveexec_b64 s[50:51], vcc
	s_cbranch_execz .LBB70_145
; %bb.144:
	v_and_b32_e32 v4, 1, v12
	v_cmp_eq_u32_e32 vcc, 1, v4
	v_and_b32_e32 v4, 1, v20
	v_cmp_eq_u32_e64 s[48:49], 1, v4
	s_or_b64 s[48:49], vcc, s[48:49]
	v_cmp_eq_u16_e32 vcc, 0, v12
	v_cndmask_b32_e64 v20, 0, 1, s[48:49]
	v_cndmask_b32_e64 v4, 0, 1, s[48:49]
	v_cndmask_b32_e32 v13, 0, v13, vcc
	v_cndmask_b32_e32 v12, 0, v5, vcc
	v_lshl_add_u64 v[8:9], v[12:13], 0, v[8:9]
	v_mov_b32_e32 v12, v20
.LBB70_145:
	s_or_b64 exec, exec, s[50:51]
	v_mov_b32_dpp v5, v8 row_bcast:31 row_mask:0xf bank_mask:0xf
	v_mov_b32_dpp v13, v9 row_bcast:31 row_mask:0xf bank_mask:0xf
	;; [unrolled: 1-line block ×3, first 2 shown]
	v_cmp_lt_u32_e32 vcc, 31, v52
	s_and_saveexec_b64 s[50:51], vcc
; %bb.146:
	v_and_b32_e32 v20, 1, v12
	v_and_b32_e32 v4, 1, v4
	v_cmp_eq_u32_e32 vcc, 1, v20
	v_cmp_eq_u32_e64 s[48:49], 1, v4
	s_or_b64 s[48:49], vcc, s[48:49]
	v_cmp_eq_u16_e32 vcc, 0, v12
	v_cndmask_b32_e64 v4, 0, 1, s[48:49]
	s_nop 0
	v_cndmask_b32_e32 v13, 0, v13, vcc
	v_cndmask_b32_e32 v12, 0, v5, vcc
	v_lshl_add_u64 v[8:9], v[12:13], 0, v[8:9]
	v_mov_b32_e32 v12, v4
; %bb.147:
	s_or_b64 exec, exec, s[50:51]
	v_or_b32_e32 v4, 63, v0
	v_lshrrev_b32_e32 v13, 6, v0
	v_cmp_eq_u32_e32 vcc, v4, v0
	s_and_saveexec_b64 s[48:49], vcc
	s_cbranch_execz .LBB70_149
; %bb.148:
	v_lshlrev_b32_e32 v4, 4, v13
	ds_write_b64 v4, v[8:9]
	ds_write_b8 v4, v12 offset:8
.LBB70_149:
	s_or_b64 exec, exec, s[48:49]
	v_cmp_gt_u32_e32 vcc, 4, v0
	s_waitcnt lgkmcnt(0)
	s_barrier
	s_and_saveexec_b64 s[50:51], vcc
	s_cbranch_execz .LBB70_155
; %bb.150:
	v_lshlrev_b32_e32 v20, 4, v0
	ds_read_b64 v[4:5], v20
	ds_read_b32 v24, v20 offset:8
	v_and_b32_e32 v25, 3, v52
	v_cmp_ne_u32_e32 vcc, 0, v25
	s_waitcnt lgkmcnt(1)
	v_mov_b32_dpp v45, v4 row_shr:1 row_mask:0xf bank_mask:0xf
	v_mov_b32_dpp v48, v5 row_shr:1 row_mask:0xf bank_mask:0xf
	s_waitcnt lgkmcnt(0)
	v_mov_b32_dpp v49, v24 row_shr:1 row_mask:0xf bank_mask:0xf
	v_mov_b32_e32 v21, v24
	v_mov_b32_e32 v44, v24
	s_and_saveexec_b64 s[48:49], vcc
; %bb.151:
	v_or_b32_e32 v44, v49, v24
	v_mov_b32_e32 v49, 0
	v_cmp_eq_u16_sdwa vcc, v24, v49 src0_sel:BYTE_0 src1_sel:DWORD
	v_and_b32_e32 v21, 1, v44
	v_and_b32_e32 v44, 1, v44
	v_cndmask_b32_e32 v49, 0, v48, vcc
	v_cndmask_b32_e32 v48, 0, v45, vcc
	s_movk_i32 s3, 0xff00
	v_lshl_add_u64 v[4:5], v[48:49], 0, v[4:5]
	v_and_or_b32 v24, v24, s3, v44
; %bb.152:
	s_or_b64 exec, exec, s[48:49]
	v_mov_b32_dpp v45, v4 row_shr:2 row_mask:0xf bank_mask:0xf
	v_mov_b32_dpp v48, v5 row_shr:2 row_mask:0xf bank_mask:0xf
	;; [unrolled: 1-line block ×3, first 2 shown]
	v_cmp_lt_u32_e32 vcc, 1, v25
	s_and_saveexec_b64 s[52:53], vcc
; %bb.153:
	v_and_b32_e32 v21, 1, v44
	v_cmp_eq_u32_e32 vcc, 1, v21
	v_and_b32_e32 v21, 1, v24
	v_cmp_eq_u32_e64 s[48:49], 1, v21
	v_mov_b32_e32 v24, 0
	s_or_b64 s[48:49], vcc, s[48:49]
	v_cmp_eq_u16_sdwa vcc, v44, v24 src0_sel:BYTE_0 src1_sel:DWORD
	v_cndmask_b32_e64 v21, 0, 1, s[48:49]
	s_nop 0
	v_cndmask_b32_e32 v25, 0, v48, vcc
	v_cndmask_b32_e32 v24, 0, v45, vcc
	v_lshl_add_u64 v[4:5], v[24:25], 0, v[4:5]
; %bb.154:
	s_or_b64 exec, exec, s[52:53]
	ds_write_b64 v20, v[4:5]
	ds_write_b8 v20, v21 offset:8
.LBB70_155:
	s_or_b64 exec, exec, s[50:51]
	v_cmp_gt_u32_e32 vcc, 64, v0
	v_cmp_lt_u32_e64 s[48:49], 63, v0
	v_mov_b32_e32 v44, 0
	v_mov_b64_e32 v[4:5], 0
	s_waitcnt lgkmcnt(0)
	s_barrier
	s_and_saveexec_b64 s[50:51], s[48:49]
	s_cbranch_execz .LBB70_157
; %bb.156:
	v_lshl_add_u32 v13, v13, 4, -16
	ds_read_b64 v[4:5], v13
	ds_read_u8 v44, v13 offset:8
	v_cmp_eq_u16_e64 s[48:49], 0, v12
	s_waitcnt lgkmcnt(0)
	v_or_b32_e32 v12, v12, v44
	v_cndmask_b32_e64 v21, 0, v5, s[48:49]
	v_cndmask_b32_e64 v20, 0, v4, s[48:49]
	v_lshl_add_u64 v[8:9], v[8:9], 0, v[20:21]
	v_and_b32_e32 v12, 1, v12
.LBB70_157:
	s_or_b64 exec, exec, s[50:51]
	v_add_u32_e32 v13, -1, v52
	v_and_b32_e32 v20, 64, v52
	v_cmp_lt_i32_e64 s[48:49], v13, v20
	s_nop 1
	v_cndmask_b32_e64 v13, v13, v52, s[48:49]
	v_lshlrev_b32_e32 v13, 2, v13
	ds_bpermute_b32 v45, v13, v8
	v_and_b32_e32 v8, 0xffff, v12
	ds_bpermute_b32 v48, v13, v9
	ds_bpermute_b32 v49, v13, v8
	v_cmp_eq_u32_e64 s[48:49], 0, v52
	s_and_saveexec_b64 s[52:53], vcc
	s_cbranch_execz .LBB70_200
; %bb.158:
	v_mov_b32_e32 v13, 0
	ds_read2_b64 v[80:83], v13 offset0:6 offset1:7
	s_and_saveexec_b64 s[50:51], s[48:49]
	s_cbranch_execz .LBB70_160
; %bb.159:
	s_add_i32 s54, s2, 64
	s_mov_b32 s55, 0
	s_lshl_b64 s[56:57], s[54:55], 4
	s_add_u32 s56, s88, s56
	s_addc_u32 s57, s89, s57
	v_mov_b32_e32 v8, s54
	v_mov_b32_e32 v9, 1
	s_waitcnt lgkmcnt(0)
	global_store_dword v13, v80, s[56:57] sc1
	global_store_dword v13, v81, s[56:57] offset:4 sc1
	global_store_dword v13, v82, s[56:57] offset:8 sc1
	;; [unrolled: 1-line block ×3, first 2 shown]
	s_waitcnt vmcnt(0)
	global_store_byte v8, v9, s[92:93] sc1
.LBB70_160:
	s_or_b64 exec, exec, s[50:51]
	v_xad_u32 v8, v52, -1, s2
	v_add_u32_e32 v12, 64, v8
	global_load_ubyte v53, v12, s[92:93] sc1
	s_waitcnt vmcnt(0)
	v_cmp_eq_u16_e32 vcc, 0, v53
	s_and_saveexec_b64 s[50:51], vcc
	s_cbranch_execz .LBB70_164
; %bb.161:
	v_lshl_add_u64 v[20:21], s[92:93], 0, v[12:13]
	s_mov_b64 s[54:55], 0
.LBB70_162:                             ; =>This Inner Loop Header: Depth=1
	global_load_ubyte v53, v[20:21], off sc1
	s_waitcnt vmcnt(0)
	v_cmp_ne_u16_e32 vcc, 0, v53
	s_or_b64 s[54:55], vcc, s[54:55]
	s_andn2_b64 exec, exec, s[54:55]
	s_cbranch_execnz .LBB70_162
; %bb.163:
	s_or_b64 exec, exec, s[54:55]
.LBB70_164:
	s_or_b64 exec, exec, s[50:51]
	v_mov_b32_e32 v9, s91
	v_mov_b32_e32 v20, s89
	v_cmp_eq_u16_e32 vcc, 1, v53
	s_waitcnt lgkmcnt(0)
	s_nop 0
	v_cndmask_b32_e32 v21, v9, v20, vcc
	v_mov_b32_e32 v9, s90
	v_mov_b32_e32 v20, s88
	v_cndmask_b32_e32 v20, v9, v20, vcc
	v_lshl_add_u64 v[12:13], v[12:13], 4, v[20:21]
	global_load_dword v24, v[12:13], off sc1
	global_load_dword v25, v[12:13], off offset:4 sc1
	global_load_dword v84, v[12:13], off offset:8 sc1
	;; [unrolled: 1-line block ×3, first 2 shown]
	v_cmp_eq_u16_e32 vcc, 2, v53
	v_lshlrev_b64 v[12:13], v52, -1
	s_waitcnt vmcnt(0)
	v_and_b32_e32 v9, 63, v52
	v_and_b32_e32 v20, vcc_hi, v13
	v_and_b32_e32 v57, vcc_lo, v12
	v_cmp_ne_u32_e32 vcc, 63, v9
	v_or_b32_e32 v20, 0x80000000, v20
	v_ffbl_b32_e32 v20, v20
	v_addc_co_u32_e32 v21, vcc, 0, v52, vcc
	v_lshlrev_b32_e32 v56, 2, v21
	v_add_u32_e32 v20, 32, v20
	v_ffbl_b32_e32 v57, v57
	v_min_u32_e32 v20, v57, v20
	v_add_u32_e32 v57, 1, v52
	v_cmp_le_u32_e32 vcc, v57, v20
	ds_bpermute_b32 v61, v56, v24
	ds_bpermute_b32 v64, v56, v25
	v_and_b32_e32 v21, 0xff, v84
	ds_bpermute_b32 v60, v56, v21
	s_and_saveexec_b64 s[50:51], vcc
	s_cbranch_execz .LBB70_166
; %bb.165:
	v_mov_b32_e32 v21, 0
	v_cmp_eq_u16_sdwa vcc, v84, v21 src0_sel:BYTE_0 src1_sel:DWORD
	s_waitcnt lgkmcnt(0)
	v_or_b32_e32 v21, v60, v84
	v_and_b32_e32 v84, 1, v21
	v_cndmask_b32_e32 v65, 0, v64, vcc
	v_cndmask_b32_e32 v64, 0, v61, vcc
	v_lshl_add_u64 v[24:25], v[64:65], 0, v[24:25]
	v_and_b32_e32 v21, 1, v21
.LBB70_166:
	s_or_b64 exec, exec, s[50:51]
	v_cmp_gt_u32_e32 vcc, 62, v9
	s_waitcnt lgkmcnt(2)
	v_add_u32_e32 v61, 2, v52
	s_waitcnt lgkmcnt(0)
	v_cndmask_b32_e64 v60, 0, 1, vcc
	v_lshlrev_b32_e32 v60, 1, v60
	v_add_lshl_u32 v60, v60, v52, 2
	ds_bpermute_b32 v65, v60, v24
	ds_bpermute_b32 v68, v60, v25
	ds_bpermute_b32 v64, v60, v21
	v_cmp_le_u32_e32 vcc, v61, v20
	s_and_saveexec_b64 s[54:55], vcc
	s_cbranch_execz .LBB70_168
; %bb.167:
	v_mov_b32_e32 v21, 0
	v_cmp_eq_u16_sdwa vcc, v84, v21 src0_sel:BYTE_0 src1_sel:DWORD
	v_and_b32_e32 v21, 1, v84
	s_waitcnt lgkmcnt(1)
	v_cndmask_b32_e32 v69, 0, v68, vcc
	v_cndmask_b32_e32 v68, 0, v65, vcc
	v_cmp_eq_u32_e32 vcc, 1, v21
	s_waitcnt lgkmcnt(0)
	v_and_b32_e32 v21, 1, v64
	v_cmp_eq_u32_e64 s[50:51], 1, v21
	s_or_b64 s[50:51], vcc, s[50:51]
	v_lshl_add_u64 v[24:25], v[68:69], 0, v[24:25]
	v_cndmask_b32_e64 v84, 0, 1, s[50:51]
	v_cndmask_b32_e64 v21, 0, 1, s[50:51]
.LBB70_168:
	s_or_b64 exec, exec, s[54:55]
	v_cmp_gt_u32_e32 vcc, 60, v9
	s_waitcnt lgkmcnt(2)
	v_add_u32_e32 v65, 4, v52
	s_waitcnt lgkmcnt(0)
	v_cndmask_b32_e64 v64, 0, 1, vcc
	v_lshlrev_b32_e32 v64, 2, v64
	v_add_lshl_u32 v64, v64, v52, 2
	ds_bpermute_b32 v69, v64, v24
	ds_bpermute_b32 v72, v64, v25
	ds_bpermute_b32 v68, v64, v21
	v_cmp_le_u32_e32 vcc, v65, v20
	s_and_saveexec_b64 s[54:55], vcc
	s_cbranch_execz .LBB70_170
; %bb.169:
	v_mov_b32_e32 v21, 0
	v_cmp_eq_u16_sdwa vcc, v84, v21 src0_sel:BYTE_0 src1_sel:DWORD
	v_and_b32_e32 v21, 1, v84
	s_waitcnt lgkmcnt(1)
	v_cndmask_b32_e32 v73, 0, v72, vcc
	v_cndmask_b32_e32 v72, 0, v69, vcc
	v_cmp_eq_u32_e32 vcc, 1, v21
	s_waitcnt lgkmcnt(0)
	v_and_b32_e32 v21, 1, v68
	v_cmp_eq_u32_e64 s[50:51], 1, v21
	s_or_b64 s[50:51], vcc, s[50:51]
	v_lshl_add_u64 v[24:25], v[72:73], 0, v[24:25]
	v_cndmask_b32_e64 v84, 0, 1, s[50:51]
	v_cndmask_b32_e64 v21, 0, 1, s[50:51]
.LBB70_170:
	;; [unrolled: 30-line block ×4, first 2 shown]
	s_or_b64 exec, exec, s[54:55]
	v_cmp_gt_u32_e32 vcc, 32, v9
	s_waitcnt lgkmcnt(2)
	v_add_u32_e32 v77, 32, v52
	v_cndmask_b32_e64 v9, 0, 1, vcc
	v_lshlrev_b32_e32 v9, 5, v9
	s_waitcnt lgkmcnt(0)
	v_add_lshl_u32 v76, v9, v52, 2
	ds_bpermute_b32 v83, v76, v24
	ds_bpermute_b32 v85, v76, v25
	;; [unrolled: 1-line block ×3, first 2 shown]
	v_cmp_le_u32_e32 vcc, v77, v20
	s_and_saveexec_b64 s[54:55], vcc
	s_cbranch_execz .LBB70_176
; %bb.175:
	v_mov_b32_e32 v20, 0
	v_cmp_eq_u16_sdwa vcc, v84, v20 src0_sel:BYTE_0 src1_sel:DWORD
	s_waitcnt lgkmcnt(0)
	v_and_b32_e32 v9, 1, v9
	v_cmp_eq_u32_e64 s[50:51], 1, v9
	v_cndmask_b32_e32 v21, 0, v85, vcc
	v_cndmask_b32_e32 v20, 0, v83, vcc
	v_lshl_add_u64 v[24:25], v[20:21], 0, v[24:25]
	v_and_b32_e32 v20, 1, v84
	v_cmp_eq_u32_e32 vcc, 1, v20
	s_or_b64 s[50:51], vcc, s[50:51]
	v_cndmask_b32_e64 v84, 0, 1, s[50:51]
.LBB70_176:
	s_or_b64 exec, exec, s[54:55]
	s_waitcnt lgkmcnt(0)
	v_mov_b32_e32 v9, 0
	v_mov_b32_e32 v83, 2
	s_branch .LBB70_178
.LBB70_177:                             ;   in Loop: Header=BB70_178 Depth=1
	s_or_b64 exec, exec, s[56:57]
	v_cmp_eq_u16_sdwa vcc, v52, v9 src0_sel:BYTE_0 src1_sel:DWORD
	v_and_b32_e32 v84, 1, v52
	v_subrev_u32_e32 v8, 64, v8
	v_cndmask_b32_e32 v25, 0, v25, vcc
	v_cndmask_b32_e32 v24, 0, v24, vcc
	v_cmp_eq_u32_e32 vcc, 1, v84
	s_or_b64 s[50:51], vcc, s[54:55]
	v_lshl_add_u64 v[24:25], v[24:25], 0, v[20:21]
	v_cndmask_b32_e64 v84, 0, 1, s[50:51]
.LBB70_178:                             ; =>This Loop Header: Depth=1
                                        ;     Child Loop BB70_181 Depth 2
	v_cmp_ne_u16_sdwa s[50:51], v53, v83 src0_sel:BYTE_0 src1_sel:DWORD
	v_mov_b32_e32 v52, v84
	s_nop 0
	v_cndmask_b32_e64 v20, 0, 1, s[50:51]
	;;#ASMSTART
	;;#ASMEND
	s_nop 0
	v_cmp_ne_u32_e32 vcc, 0, v20
	s_cmp_lg_u64 vcc, exec
	v_mov_b64_e32 v[20:21], v[24:25]
	s_cbranch_scc1 .LBB70_195
; %bb.179:                              ;   in Loop: Header=BB70_178 Depth=1
	global_load_ubyte v53, v8, s[92:93] sc1
	s_waitcnt vmcnt(0)
	v_cmp_eq_u16_e32 vcc, 0, v53
	s_and_saveexec_b64 s[50:51], vcc
	s_cbranch_execz .LBB70_183
; %bb.180:                              ;   in Loop: Header=BB70_178 Depth=1
	v_lshl_add_u64 v[24:25], s[92:93], 0, v[8:9]
	s_mov_b64 s[54:55], 0
.LBB70_181:                             ;   Parent Loop BB70_178 Depth=1
                                        ; =>  This Inner Loop Header: Depth=2
	global_load_ubyte v53, v[24:25], off sc1
	s_waitcnt vmcnt(0)
	v_cmp_ne_u16_e32 vcc, 0, v53
	s_or_b64 s[54:55], vcc, s[54:55]
	s_andn2_b64 exec, exec, s[54:55]
	s_cbranch_execnz .LBB70_181
; %bb.182:                              ;   in Loop: Header=BB70_178 Depth=1
	s_or_b64 exec, exec, s[54:55]
.LBB70_183:                             ;   in Loop: Header=BB70_178 Depth=1
	s_or_b64 exec, exec, s[50:51]
	v_mov_b32_e32 v24, s91
	v_mov_b32_e32 v25, s89
	v_cmp_eq_u16_e32 vcc, 1, v53
	v_mov_b32_e32 v84, s88
	s_nop 0
	v_cndmask_b32_e32 v25, v24, v25, vcc
	v_mov_b32_e32 v24, s90
	v_cndmask_b32_e32 v24, v24, v84, vcc
	v_lshl_add_u64 v[84:85], v[8:9], 4, v[24:25]
	global_load_dword v24, v[84:85], off sc1
	global_load_dword v25, v[84:85], off offset:4 sc1
	s_waitcnt lgkmcnt(2)
	global_load_dword v87, v[84:85], off offset:8 sc1
	s_nop 0
	global_load_dword v84, v[84:85], off offset:12 sc1
	v_cmp_eq_u16_e32 vcc, 2, v53
	s_waitcnt vmcnt(3)
	ds_bpermute_b32 v89, v56, v24
	s_waitcnt vmcnt(0)
	v_and_b32_e32 v84, vcc_hi, v13
	s_waitcnt lgkmcnt(1)
	v_and_b32_e32 v86, 0xff, v87
	v_or_b32_e32 v84, 0x80000000, v84
	ds_bpermute_b32 v90, v56, v25
	ds_bpermute_b32 v88, v56, v86
	v_and_b32_e32 v85, vcc_lo, v12
	v_ffbl_b32_e32 v84, v84
	v_add_u32_e32 v84, 32, v84
	v_ffbl_b32_e32 v85, v85
	v_min_u32_e32 v84, v85, v84
	v_cmp_le_u32_e32 vcc, v57, v84
	v_mov_b32_e32 v85, v87
	s_and_saveexec_b64 s[50:51], vcc
	s_cbranch_execz .LBB70_185
; %bb.184:                              ;   in Loop: Header=BB70_178 Depth=1
	v_cmp_eq_u16_sdwa vcc, v87, v9 src0_sel:BYTE_0 src1_sel:DWORD
	s_waitcnt lgkmcnt(0)
	v_or_b32_e32 v87, v88, v87
	v_and_b32_e32 v85, 1, v87
	v_cndmask_b32_e32 v91, 0, v90, vcc
	v_cndmask_b32_e32 v90, 0, v89, vcc
	v_lshl_add_u64 v[24:25], v[90:91], 0, v[24:25]
	v_and_b32_e32 v86, 1, v87
.LBB70_185:                             ;   in Loop: Header=BB70_178 Depth=1
	s_or_b64 exec, exec, s[50:51]
	s_waitcnt lgkmcnt(2)
	ds_bpermute_b32 v89, v60, v24
	s_waitcnt lgkmcnt(2)
	ds_bpermute_b32 v90, v60, v25
	;; [unrolled: 2-line block ×3, first 2 shown]
	v_and_b32_e32 v87, 1, v87
	v_cmp_eq_u32_e64 s[54:55], 1, v87
	v_cmp_le_u32_e32 vcc, v61, v84
	s_and_saveexec_b64 s[56:57], vcc
	s_cbranch_execz .LBB70_187
; %bb.186:                              ;   in Loop: Header=BB70_178 Depth=1
	v_cmp_eq_u16_sdwa vcc, v85, v9 src0_sel:BYTE_0 src1_sel:DWORD
	v_and_b32_e32 v85, 1, v85
	s_andn2_b64 s[54:55], s[54:55], exec
	s_waitcnt lgkmcnt(1)
	v_cndmask_b32_e32 v87, 0, v90, vcc
	v_cndmask_b32_e32 v86, 0, v89, vcc
	v_cmp_eq_u32_e32 vcc, 1, v85
	s_waitcnt lgkmcnt(0)
	v_and_b32_e32 v85, 1, v88
	v_cmp_eq_u32_e64 s[50:51], 1, v85
	s_or_b64 s[50:51], vcc, s[50:51]
	v_lshl_add_u64 v[24:25], v[86:87], 0, v[24:25]
	v_cndmask_b32_e64 v85, 0, 1, s[50:51]
	v_cndmask_b32_e64 v86, 0, 1, s[50:51]
	s_and_b64 s[50:51], s[50:51], exec
	s_or_b64 s[54:55], s[54:55], s[50:51]
.LBB70_187:                             ;   in Loop: Header=BB70_178 Depth=1
	s_or_b64 exec, exec, s[56:57]
	s_waitcnt lgkmcnt(0)
	ds_bpermute_b32 v88, v64, v24
	ds_bpermute_b32 v89, v64, v25
	;; [unrolled: 1-line block ×3, first 2 shown]
	v_cmp_le_u32_e32 vcc, v65, v84
	s_and_saveexec_b64 s[56:57], vcc
	s_cbranch_execz .LBB70_189
; %bb.188:                              ;   in Loop: Header=BB70_178 Depth=1
	v_cmp_eq_u16_sdwa vcc, v85, v9 src0_sel:BYTE_0 src1_sel:DWORD
	v_and_b32_e32 v85, 1, v85
	s_andn2_b64 s[54:55], s[54:55], exec
	s_waitcnt lgkmcnt(1)
	v_cndmask_b32_e32 v89, 0, v89, vcc
	v_cndmask_b32_e32 v88, 0, v88, vcc
	v_cmp_eq_u32_e32 vcc, 1, v85
	s_waitcnt lgkmcnt(0)
	v_and_b32_e32 v85, 1, v87
	v_cmp_eq_u32_e64 s[50:51], 1, v85
	s_or_b64 s[50:51], vcc, s[50:51]
	v_lshl_add_u64 v[24:25], v[88:89], 0, v[24:25]
	v_cndmask_b32_e64 v85, 0, 1, s[50:51]
	v_cndmask_b32_e64 v86, 0, 1, s[50:51]
	s_and_b64 s[50:51], s[50:51], exec
	s_or_b64 s[54:55], s[54:55], s[50:51]
.LBB70_189:                             ;   in Loop: Header=BB70_178 Depth=1
	s_or_b64 exec, exec, s[56:57]
	s_waitcnt lgkmcnt(2)
	ds_bpermute_b32 v88, v68, v24
	s_waitcnt lgkmcnt(2)
	ds_bpermute_b32 v89, v68, v25
	;; [unrolled: 2-line block ×3, first 2 shown]
	v_cmp_le_u32_e32 vcc, v69, v84
	s_and_saveexec_b64 s[56:57], vcc
	s_cbranch_execz .LBB70_191
; %bb.190:                              ;   in Loop: Header=BB70_178 Depth=1
	v_cmp_eq_u16_sdwa vcc, v85, v9 src0_sel:BYTE_0 src1_sel:DWORD
	v_and_b32_e32 v85, 1, v85
	s_andn2_b64 s[54:55], s[54:55], exec
	s_waitcnt lgkmcnt(1)
	v_cndmask_b32_e32 v89, 0, v89, vcc
	v_cndmask_b32_e32 v88, 0, v88, vcc
	v_cmp_eq_u32_e32 vcc, 1, v85
	s_waitcnt lgkmcnt(0)
	v_and_b32_e32 v85, 1, v87
	v_cmp_eq_u32_e64 s[50:51], 1, v85
	s_or_b64 s[50:51], vcc, s[50:51]
	v_lshl_add_u64 v[24:25], v[88:89], 0, v[24:25]
	v_cndmask_b32_e64 v85, 0, 1, s[50:51]
	v_cndmask_b32_e64 v86, 0, 1, s[50:51]
	s_and_b64 s[50:51], s[50:51], exec
	s_or_b64 s[54:55], s[54:55], s[50:51]
.LBB70_191:                             ;   in Loop: Header=BB70_178 Depth=1
	s_or_b64 exec, exec, s[56:57]
	s_waitcnt lgkmcnt(2)
	ds_bpermute_b32 v88, v72, v24
	s_waitcnt lgkmcnt(2)
	ds_bpermute_b32 v89, v72, v25
	;; [unrolled: 2-line block ×3, first 2 shown]
	v_cmp_le_u32_e32 vcc, v73, v84
	s_and_saveexec_b64 s[56:57], vcc
	s_cbranch_execz .LBB70_193
; %bb.192:                              ;   in Loop: Header=BB70_178 Depth=1
	v_cmp_eq_u16_sdwa vcc, v85, v9 src0_sel:BYTE_0 src1_sel:DWORD
	v_and_b32_e32 v85, 1, v85
	s_andn2_b64 s[54:55], s[54:55], exec
	s_waitcnt lgkmcnt(1)
	v_cndmask_b32_e32 v89, 0, v89, vcc
	v_cndmask_b32_e32 v88, 0, v88, vcc
	v_cmp_eq_u32_e32 vcc, 1, v85
	s_waitcnt lgkmcnt(0)
	v_and_b32_e32 v85, 1, v87
	v_cmp_eq_u32_e64 s[50:51], 1, v85
	s_or_b64 s[50:51], vcc, s[50:51]
	v_lshl_add_u64 v[24:25], v[88:89], 0, v[24:25]
	v_cndmask_b32_e64 v85, 0, 1, s[50:51]
	v_cndmask_b32_e64 v86, 0, 1, s[50:51]
	s_and_b64 s[50:51], s[50:51], exec
	s_or_b64 s[54:55], s[54:55], s[50:51]
.LBB70_193:                             ;   in Loop: Header=BB70_178 Depth=1
	s_or_b64 exec, exec, s[56:57]
	s_waitcnt lgkmcnt(0)
	ds_bpermute_b32 v87, v76, v24
	ds_bpermute_b32 v88, v76, v25
	;; [unrolled: 1-line block ×3, first 2 shown]
	v_cmp_le_u32_e32 vcc, v77, v84
	s_and_saveexec_b64 s[56:57], vcc
	s_cbranch_execz .LBB70_177
; %bb.194:                              ;   in Loop: Header=BB70_178 Depth=1
	v_cmp_eq_u16_sdwa vcc, v85, v9 src0_sel:BYTE_0 src1_sel:DWORD
	v_and_b32_e32 v84, 1, v85
	s_andn2_b64 s[54:55], s[54:55], exec
	s_waitcnt lgkmcnt(1)
	v_cndmask_b32_e32 v89, 0, v88, vcc
	v_cndmask_b32_e32 v88, 0, v87, vcc
	v_cmp_eq_u32_e32 vcc, 1, v84
	s_waitcnt lgkmcnt(0)
	v_and_b32_e32 v84, 1, v86
	v_cmp_eq_u32_e64 s[50:51], 1, v84
	s_or_b64 s[50:51], vcc, s[50:51]
	s_and_b64 s[50:51], s[50:51], exec
	v_lshl_add_u64 v[24:25], v[88:89], 0, v[24:25]
	s_or_b64 s[54:55], s[54:55], s[50:51]
	s_branch .LBB70_177
.LBB70_195:                             ;   in Loop: Header=BB70_178 Depth=1
                                        ; implicit-def: $vgpr84
                                        ; implicit-def: $vgpr24_vgpr25
                                        ; implicit-def: $vgpr53
	s_cbranch_execz .LBB70_178
; %bb.196:
	s_and_saveexec_b64 s[50:51], s[48:49]
	s_cbranch_execz .LBB70_198
; %bb.197:
	s_mov_b32 s3, 0
	v_mov_b32_e32 v12, 0
	s_add_i32 s2, s2, 64
	v_cmp_eq_u32_sdwa vcc, v82, v12 src0_sel:BYTE_0 src1_sel:DWORD
	s_lshl_b64 s[54:55], s[2:3], 4
	v_and_b32_e32 v13, 1, v82
	v_cndmask_b32_e32 v9, 0, v21, vcc
	v_cndmask_b32_e32 v8, 0, v20, vcc
	s_add_u32 s54, s90, s54
	v_lshl_add_u64 v[8:9], v[8:9], 0, v[80:81]
	v_and_b32_e32 v24, 1, v52
	v_cmp_eq_u32_e32 vcc, 1, v13
	s_addc_u32 s55, s91, s55
	s_nop 0
	v_cndmask_b32_e64 v13, v24, 1, vcc
	global_store_dword v12, v8, s[54:55] sc1
	global_store_dword v12, v9, s[54:55] offset:4 sc1
	global_store_dword v12, v13, s[54:55] offset:8 sc1
	;; [unrolled: 1-line block ×3, first 2 shown]
	v_mov_b32_e32 v8, s2
	v_mov_b32_e32 v9, 2
	s_waitcnt vmcnt(0) lgkmcnt(0)
	global_store_byte v8, v9, s[92:93] sc1
.LBB70_198:
	s_or_b64 exec, exec, s[50:51]
	v_cmp_eq_u32_e32 vcc, 0, v0
	s_and_b64 exec, exec, vcc
	s_cbranch_execz .LBB70_200
; %bb.199:
	v_mov_b32_e32 v8, 0
	ds_write_b64 v8, v[20:21] offset:48
	ds_write_b8 v8, v52 offset:56
.LBB70_200:
	s_or_b64 exec, exec, s[52:53]
	v_mov_b32_e32 v20, 0
	s_waitcnt lgkmcnt(0)
	s_barrier
	ds_read_b64 v[8:9], v20 offset:48
	v_cmp_ne_u32_e32 vcc, 0, v0
	v_mov_b32_e32 v21, v1
	v_mov_b64_e32 v[12:13], v[2:3]
	s_and_saveexec_b64 s[2:3], vcc
; %bb.201:
	v_cndmask_b32_e64 v4, v45, v4, s[48:49]
	v_cndmask_b32_e64 v5, v48, v5, s[48:49]
	v_cmp_eq_u16_sdwa vcc, v1, v20 src0_sel:BYTE_0 src1_sel:DWORD
	v_cndmask_b32_e64 v21, v49, v44, s[48:49]
	s_nop 0
	v_cndmask_b32_e32 v5, 0, v5, vcc
	v_cndmask_b32_e32 v4, 0, v4, vcc
	v_lshl_add_u64 v[12:13], v[4:5], 0, v[2:3]
	v_and_b32_e32 v4, 1, v21
	v_cmp_eq_u32_e32 vcc, 1, v4
	s_or_b64 s[12:13], s[12:13], vcc
	v_cndmask_b32_e64 v21, 0, 1, s[12:13]
; %bb.202:
	s_or_b64 exec, exec, s[2:3]
	v_cmp_eq_u16_sdwa vcc, v21, v20 src0_sel:BYTE_0 src1_sel:DWORD
	s_waitcnt lgkmcnt(0)
	s_nop 0
	v_cndmask_b32_e32 v5, 0, v9, vcc
	v_cndmask_b32_e32 v4, 0, v8, vcc
	v_lshl_add_u64 v[122:123], v[4:5], 0, v[12:13]
	v_cndmask_b32_e64 v5, 0, v123, s[4:5]
	v_cndmask_b32_e64 v4, 0, v122, s[4:5]
	v_lshl_add_u64 v[82:83], v[4:5], 0, v[14:15]
	v_cndmask_b32_e64 v5, 0, v83, s[6:7]
	v_cndmask_b32_e64 v4, 0, v82, s[6:7]
	;; [unrolled: 3-line block ×20, first 2 shown]
	v_lshl_add_u64 v[120:121], v[4:5], 0, v[16:17]
	s_branch .LBB70_233
.LBB70_203:
                                        ; implicit-def: $vgpr122_vgpr123
                                        ; implicit-def: $vgpr120_vgpr121
                                        ; implicit-def: $vgpr76_vgpr77
                                        ; implicit-def: $vgpr72_vgpr73
                                        ; implicit-def: $vgpr68_vgpr69
                                        ; implicit-def: $vgpr64_vgpr65
                                        ; implicit-def: $vgpr60_vgpr61
                                        ; implicit-def: $vgpr56_vgpr57
                                        ; implicit-def: $vgpr52_vgpr53
                                        ; implicit-def: $vgpr48_vgpr49
                                        ; implicit-def: $vgpr44_vgpr45
                                        ; implicit-def: $vgpr116_vgpr117_vgpr118_vgpr119
                                        ; implicit-def: $vgpr112_vgpr113_vgpr114_vgpr115
                                        ; implicit-def: $vgpr108_vgpr109_vgpr110_vgpr111
                                        ; implicit-def: $vgpr104_vgpr105_vgpr106_vgpr107
                                        ; implicit-def: $vgpr100_vgpr101_vgpr102_vgpr103
                                        ; implicit-def: $vgpr96_vgpr97_vgpr98_vgpr99
                                        ; implicit-def: $vgpr92_vgpr93_vgpr94_vgpr95
                                        ; implicit-def: $vgpr88_vgpr89_vgpr90_vgpr91
                                        ; implicit-def: $vgpr84_vgpr85_vgpr86_vgpr87
                                        ; implicit-def: $vgpr80_vgpr81_vgpr82_vgpr83
	s_cbranch_execz .LBB70_233
; %bb.204:
	s_cmp_lg_u64 s[98:99], 0
	s_cselect_b64 s[2:3], -1, 0
	v_cmp_eq_u32_e32 vcc, 0, v0
	v_cmp_ne_u32_e64 s[4:5], 0, v0
	s_and_b64 s[2:3], vcc, s[2:3]
	s_and_saveexec_b64 s[6:7], s[2:3]
	s_cbranch_execz .LBB70_206
; %bb.205:
	v_mov_b32_e32 v4, 0
	global_load_ubyte v8, v4, s[98:99] offset:8
	s_load_dwordx2 s[8:9], s[98:99], 0x0
	v_cmp_eq_u16_sdwa s[2:3], v1, v4 src0_sel:BYTE_0 src1_sel:DWORD
	s_waitcnt lgkmcnt(0)
	v_mov_b32_e32 v5, s9
	v_mov_b32_e32 v4, s8
	v_cndmask_b32_e64 v5, 0, v5, s[2:3]
	v_cndmask_b32_e64 v4, 0, v4, s[2:3]
	v_lshl_add_u64 v[2:3], v[4:5], 0, v[2:3]
	s_waitcnt vmcnt(0)
	v_or_b32_e32 v1, v1, v8
	v_and_b32_e32 v1, 1, v1
.LBB70_206:
	s_or_b64 exec, exec, s[6:7]
	v_mov_b32_e32 v8, 0
	v_and_b32_e32 v4, 1, v1
	v_cmp_eq_u16_sdwa s[6:7], v130, v8 src0_sel:BYTE_0 src1_sel:DWORD
	v_cmp_eq_u32_e64 s[48:49], 1, v4
	v_cmp_eq_u16_sdwa s[8:9], v132, v8 src0_sel:BYTE_0 src1_sel:DWORD
	v_cndmask_b32_e64 v5, 0, v3, s[6:7]
	v_cndmask_b32_e64 v4, 0, v2, s[6:7]
	v_lshl_add_u64 v[82:83], v[4:5], 0, v[14:15]
	s_movk_i32 s42, 0xff
	v_cndmask_b32_e64 v5, 0, v83, s[8:9]
	v_cndmask_b32_e64 v4, 0, v82, s[8:9]
	v_lshl_add_u64 v[84:85], v[4:5], 0, v[6:7]
	v_and_b32_sdwa v4, v130, s42 dst_sel:DWORD dst_unused:UNUSED_PAD src0_sel:WORD_1 src1_sel:DWORD
	v_cmp_eq_u16_e64 s[10:11], 0, v4
	v_cmp_eq_u16_sdwa s[12:13], v130, v8 src0_sel:BYTE_3 src1_sel:DWORD
	v_cmp_eq_u16_sdwa s[14:15], v125, v8 src0_sel:BYTE_0 src1_sel:DWORD
	v_cndmask_b32_e64 v5, 0, v85, s[10:11]
	v_cndmask_b32_e64 v4, 0, v84, s[10:11]
	v_lshl_add_u64 v[44:45], v[4:5], 0, v[26:27]
	v_cndmask_b32_e64 v5, 0, v45, s[12:13]
	v_cndmask_b32_e64 v4, 0, v44, s[12:13]
	v_lshl_add_u64 v[88:89], v[4:5], 0, v[18:19]
	;; [unrolled: 3-line block ×3, first 2 shown]
	v_cmp_eq_u16_sdwa s[16:17], v129, v8 src0_sel:BYTE_0 src1_sel:DWORD
	v_cmp_eq_u16_sdwa s[18:19], v41, v8 src0_sel:BYTE_0 src1_sel:DWORD
	v_cmp_eq_u16_sdwa s[22:23], v129, v8 src0_sel:BYTE_3 src1_sel:DWORD
	v_cndmask_b32_e64 v5, 0, v49, s[16:17]
	v_cndmask_b32_e64 v4, 0, v48, s[16:17]
	v_lshl_add_u64 v[92:93], v[4:5], 0, v[22:23]
	v_cndmask_b32_e64 v5, 0, v93, s[18:19]
	v_cndmask_b32_e64 v4, 0, v92, s[18:19]
	v_lshl_add_u64 v[52:53], v[4:5], 0, v[42:43]
	v_and_b32_sdwa v4, v129, s42 dst_sel:DWORD dst_unused:UNUSED_PAD src0_sel:WORD_1 src1_sel:DWORD
	v_cmp_eq_u16_e64 s[20:21], 0, v4
	v_cmp_eq_u16_sdwa s[24:25], v126, v8 src0_sel:BYTE_0 src1_sel:DWORD
	v_cmp_eq_u16_sdwa s[26:27], v128, v8 src0_sel:BYTE_0 src1_sel:DWORD
	v_cndmask_b32_e64 v5, 0, v53, s[20:21]
	v_cndmask_b32_e64 v4, 0, v52, s[20:21]
	v_lshl_add_u64 v[96:97], v[4:5], 0, v[30:31]
	v_cndmask_b32_e64 v5, 0, v97, s[22:23]
	v_cndmask_b32_e64 v4, 0, v96, s[22:23]
	v_lshl_add_u64 v[56:57], v[4:5], 0, v[50:51]
	v_cndmask_b32_e64 v5, 0, v57, s[24:25]
	v_cndmask_b32_e64 v4, 0, v56, s[24:25]
	v_lshl_add_u64 v[100:101], v[4:5], 0, v[38:39]
	v_cndmask_b32_e64 v5, 0, v101, s[26:27]
	v_cndmask_b32_e64 v4, 0, v100, s[26:27]
	v_lshl_add_u64 v[60:61], v[4:5], 0, v[58:59]
	v_cmp_eq_u16_sdwa s[28:29], v40, v8 src0_sel:BYTE_0 src1_sel:DWORD
	v_cmp_eq_u16_sdwa s[34:35], v128, v8 src0_sel:BYTE_3 src1_sel:DWORD
	v_cmp_eq_u16_sdwa s[36:37], v124, v8 src0_sel:BYTE_0 src1_sel:DWORD
	v_cndmask_b32_e64 v5, 0, v61, s[28:29]
	v_cndmask_b32_e64 v4, 0, v60, s[28:29]
	v_lshl_add_u64 v[104:105], v[4:5], 0, v[46:47]
	v_and_b32_sdwa v4, v128, s42 dst_sel:DWORD dst_unused:UNUSED_PAD src0_sel:WORD_1 src1_sel:DWORD
	v_cmp_eq_u16_e64 s[30:31], 0, v4
	v_cmp_eq_u16_sdwa s[38:39], v127, v8 src0_sel:BYTE_0 src1_sel:DWORD
	v_cmp_eq_u16_sdwa s[40:41], v36, v8 src0_sel:BYTE_0 src1_sel:DWORD
	v_cndmask_b32_e64 v5, 0, v105, s[30:31]
	v_cndmask_b32_e64 v4, 0, v104, s[30:31]
	v_lshl_add_u64 v[64:65], v[4:5], 0, v[66:67]
	v_cndmask_b32_e64 v5, 0, v65, s[34:35]
	v_cndmask_b32_e64 v4, 0, v64, s[34:35]
	v_lshl_add_u64 v[108:109], v[4:5], 0, v[54:55]
	;; [unrolled: 3-line block ×5, first 2 shown]
	v_and_b32_sdwa v4, v127, s42 dst_sel:DWORD dst_unused:UNUSED_PAD src0_sel:WORD_1 src1_sel:DWORD
	v_cmp_eq_u16_e64 s[42:43], 0, v4
	v_cmp_eq_u16_sdwa s[44:45], v127, v8 src0_sel:BYTE_3 src1_sel:DWORD
	v_cmp_eq_u16_sdwa s[46:47], v28, v8 src0_sel:BYTE_0 src1_sel:DWORD
	v_cndmask_b32_e64 v5, 0, v73, s[42:43]
	v_cndmask_b32_e64 v4, 0, v72, s[42:43]
	v_lshl_add_u64 v[116:117], v[4:5], 0, v[70:71]
	v_cndmask_b32_e64 v5, 0, v117, s[44:45]
	v_cndmask_b32_e64 v4, 0, v116, s[44:45]
	v_lshl_add_u64 v[76:77], v[4:5], 0, v[10:11]
	;; [unrolled: 3-line block ×3, first 2 shown]
	v_or_b32_e32 v4, v127, v128
	v_or3_b32 v4, v4, v129, v130
	v_lshrrev_b16_e32 v8, 7, v4
	v_and_b32_e32 v5, 1, v4
	v_and_b32_e32 v8, 2, v8
	v_or_b32_e32 v5, v5, v8
	v_lshrrev_b32_e32 v8, 23, v4
	v_mov_b32_e32 v9, 1
	v_and_b32_e32 v8, 2, v8
	v_and_b32_sdwa v4, v4, v9 dst_sel:DWORD dst_unused:UNUSED_PAD src0_sel:WORD_1 src1_sel:DWORD
	v_or_b32_e32 v4, v4, v8
	v_lshlrev_b16_e32 v4, 2, v4
	v_or_b32_e32 v4, v5, v4
	v_cmp_eq_u32_e64 s[54:55], 1, v32
	v_cmp_ne_u16_e64 s[56:57], 0, v4
	v_cmp_eq_u32_e64 s[52:53], 1, v33
	s_or_b64 s[54:55], s[56:57], s[54:55]
	v_cmp_eq_u32_e64 s[2:3], 1, v37
	s_or_b64 s[52:53], s[54:55], s[52:53]
	;; [unrolled: 2-line block ×3, first 2 shown]
	s_or_b64 s[2:3], s[2:3], s[50:51]
	s_or_b64 s[48:49], s[2:3], s[48:49]
	v_mbcnt_hi_u32_b32 v12, -1, v29
	v_and_b32_e32 v21, 15, v12
	v_cndmask_b32_e64 v20, 0, 1, s[48:49]
	v_cndmask_b32_e64 v13, 0, 1, s[48:49]
	v_mov_b32_dpp v24, v120 row_shr:1 row_mask:0xf bank_mask:0xf
	v_mov_b32_dpp v25, v121 row_shr:1 row_mask:0xf bank_mask:0xf
	;; [unrolled: 1-line block ×3, first 2 shown]
	v_cmp_ne_u32_e64 s[2:3], 0, v21
	v_mov_b32_e32 v4, v120
	v_mov_b32_e32 v5, v121
	v_mov_b64_e32 v[8:9], v[120:121]
	s_and_saveexec_b64 s[50:51], s[2:3]
; %bb.207:
	v_and_b32_e32 v4, 1, v28
	v_or_b32_e32 v13, v4, v13
	v_cndmask_b32_e64 v5, v25, 0, s[48:49]
	v_cndmask_b32_e64 v4, v24, 0, s[48:49]
	v_lshl_add_u64 v[4:5], v[120:121], 0, v[4:5]
	v_and_b32_e32 v20, 0xffff, v13
	v_mov_b64_e32 v[8:9], v[4:5]
; %bb.208:
	s_or_b64 exec, exec, s[50:51]
	v_mov_b32_dpp v24, v4 row_shr:2 row_mask:0xf bank_mask:0xf
	v_mov_b32_dpp v25, v5 row_shr:2 row_mask:0xf bank_mask:0xf
	v_mov_b32_dpp v28, v20 row_shr:2 row_mask:0xf bank_mask:0xf
	v_cmp_lt_u32_e64 s[2:3], 1, v21
	s_and_saveexec_b64 s[50:51], s[2:3]
	s_cbranch_execz .LBB70_210
; %bb.209:
	v_and_b32_e32 v4, 1, v13
	v_cmp_eq_u32_e64 s[2:3], 1, v4
	v_and_b32_e32 v4, 1, v28
	v_cmp_eq_u32_e64 s[48:49], 1, v4
	s_or_b64 s[48:49], s[2:3], s[48:49]
	v_cmp_eq_u16_e64 s[2:3], 0, v13
	v_cndmask_b32_e64 v28, 0, 1, s[48:49]
	v_cndmask_b32_e64 v20, 0, 1, s[48:49]
	v_cndmask_b32_e64 v5, 0, v25, s[2:3]
	v_cndmask_b32_e64 v4, 0, v24, s[2:3]
	v_lshl_add_u64 v[4:5], v[4:5], 0, v[8:9]
	v_mov_b32_e32 v13, v28
	v_mov_b64_e32 v[8:9], v[4:5]
.LBB70_210:
	s_or_b64 exec, exec, s[50:51]
	v_mov_b32_dpp v24, v4 row_shr:4 row_mask:0xf bank_mask:0xf
	v_mov_b32_dpp v25, v5 row_shr:4 row_mask:0xf bank_mask:0xf
	v_mov_b32_dpp v28, v20 row_shr:4 row_mask:0xf bank_mask:0xf
	v_cmp_lt_u32_e64 s[2:3], 3, v21
	s_and_saveexec_b64 s[50:51], s[2:3]
	s_cbranch_execz .LBB70_212
; %bb.211:
	v_and_b32_e32 v4, 1, v13
	v_cmp_eq_u32_e64 s[2:3], 1, v4
	v_and_b32_e32 v4, 1, v28
	v_cmp_eq_u32_e64 s[48:49], 1, v4
	s_or_b64 s[48:49], s[2:3], s[48:49]
	v_cmp_eq_u16_e64 s[2:3], 0, v13
	v_cndmask_b32_e64 v28, 0, 1, s[48:49]
	v_cndmask_b32_e64 v20, 0, 1, s[48:49]
	v_cndmask_b32_e64 v5, 0, v25, s[2:3]
	v_cndmask_b32_e64 v4, 0, v24, s[2:3]
	v_lshl_add_u64 v[4:5], v[4:5], 0, v[8:9]
	v_mov_b32_e32 v13, v28
	v_mov_b64_e32 v[8:9], v[4:5]
.LBB70_212:
	;; [unrolled: 22-line block ×3, first 2 shown]
	s_or_b64 exec, exec, s[50:51]
	v_and_b32_e32 v28, 16, v12
	v_mov_b32_dpp v21, v4 row_bcast:15 row_mask:0xf bank_mask:0xf
	v_mov_b32_dpp v24, v5 row_bcast:15 row_mask:0xf bank_mask:0xf
	;; [unrolled: 1-line block ×3, first 2 shown]
	v_cmp_ne_u32_e64 s[2:3], 0, v28
	s_and_saveexec_b64 s[50:51], s[2:3]
	s_cbranch_execz .LBB70_216
; %bb.215:
	v_and_b32_e32 v4, 1, v13
	v_cmp_eq_u32_e64 s[2:3], 1, v4
	v_and_b32_e32 v4, 1, v25
	v_cmp_eq_u32_e64 s[48:49], 1, v4
	s_or_b64 s[48:49], s[2:3], s[48:49]
	v_cmp_eq_u16_e64 s[2:3], 0, v13
	v_cndmask_b32_e64 v25, 0, 1, s[48:49]
	v_cndmask_b32_e64 v20, 0, 1, s[48:49]
	;; [unrolled: 1-line block ×4, first 2 shown]
	v_lshl_add_u64 v[4:5], v[4:5], 0, v[8:9]
	v_mov_b32_e32 v13, v25
	v_mov_b64_e32 v[8:9], v[4:5]
.LBB70_216:
	s_or_b64 exec, exec, s[50:51]
	v_mov_b32_dpp v21, v4 row_bcast:31 row_mask:0xf bank_mask:0xf
	v_mov_b32_dpp v24, v5 row_bcast:31 row_mask:0xf bank_mask:0xf
	;; [unrolled: 1-line block ×3, first 2 shown]
	v_cmp_lt_u32_e64 s[2:3], 31, v12
	s_and_saveexec_b64 s[50:51], s[2:3]
	s_cbranch_execz .LBB70_218
; %bb.217:
	v_and_b32_e32 v4, 1, v13
	v_cmp_eq_u32_e64 s[2:3], 1, v4
	v_and_b32_e32 v4, 1, v20
	v_cmp_eq_u32_e64 s[48:49], 1, v4
	s_or_b64 s[2:3], s[2:3], s[48:49]
	v_cndmask_b32_e64 v20, 0, 1, s[2:3]
	v_cmp_eq_u16_e64 s[2:3], 0, v13
	v_mov_b32_e32 v13, v20
	s_nop 0
	v_cndmask_b32_e64 v5, 0, v24, s[2:3]
	v_cndmask_b32_e64 v4, 0, v21, s[2:3]
	v_lshl_add_u64 v[4:5], v[4:5], 0, v[8:9]
	v_mov_b64_e32 v[8:9], v[4:5]
.LBB70_218:
	s_or_b64 exec, exec, s[50:51]
	v_or_b32_e32 v21, 63, v0
	v_lshrrev_b32_e32 v20, 6, v0
	v_cmp_eq_u32_e64 s[2:3], v21, v0
	s_and_saveexec_b64 s[48:49], s[2:3]
	s_cbranch_execz .LBB70_220
; %bb.219:
	v_lshlrev_b32_e32 v21, 4, v20
	ds_write_b64 v21, v[8:9]
	ds_write_b8 v21, v13 offset:8
.LBB70_220:
	s_or_b64 exec, exec, s[48:49]
	v_cmp_gt_u32_e64 s[2:3], 4, v0
	s_waitcnt lgkmcnt(0)
	s_barrier
	s_and_saveexec_b64 s[50:51], s[2:3]
	s_cbranch_execz .LBB70_226
; %bb.221:
	v_lshlrev_b32_e32 v21, 4, v0
	ds_read_b64 v[8:9], v21
	ds_read_b32 v25, v21 offset:8
	v_and_b32_e32 v28, 3, v12
	v_cmp_ne_u32_e64 s[2:3], 0, v28
	s_waitcnt lgkmcnt(1)
	v_mov_b32_dpp v32, v8 row_shr:1 row_mask:0xf bank_mask:0xf
	v_mov_b32_dpp v33, v9 row_shr:1 row_mask:0xf bank_mask:0xf
	s_waitcnt lgkmcnt(0)
	v_mov_b32_dpp v36, v25 row_shr:1 row_mask:0xf bank_mask:0xf
	v_mov_b32_e32 v24, v25
	v_mov_b32_e32 v29, v25
	s_and_saveexec_b64 s[48:49], s[2:3]
; %bb.222:
	v_or_b32_e32 v29, v36, v25
	v_mov_b32_e32 v36, 0
	v_cmp_eq_u16_sdwa s[2:3], v25, v36 src0_sel:BYTE_0 src1_sel:DWORD
	v_and_b32_e32 v24, 1, v29
	v_and_b32_e32 v29, 1, v29
	v_cndmask_b32_e64 v33, 0, v33, s[2:3]
	v_cndmask_b32_e64 v32, 0, v32, s[2:3]
	s_movk_i32 s2, 0xff00
	v_lshl_add_u64 v[8:9], v[32:33], 0, v[8:9]
	v_and_or_b32 v25, v25, s2, v29
; %bb.223:
	s_or_b64 exec, exec, s[48:49]
	v_mov_b32_dpp v32, v8 row_shr:2 row_mask:0xf bank_mask:0xf
	v_mov_b32_dpp v33, v9 row_shr:2 row_mask:0xf bank_mask:0xf
	;; [unrolled: 1-line block ×3, first 2 shown]
	v_cmp_lt_u32_e64 s[2:3], 1, v28
	s_and_saveexec_b64 s[52:53], s[2:3]
; %bb.224:
	v_and_b32_e32 v24, 1, v29
	v_cmp_eq_u32_e64 s[2:3], 1, v24
	v_and_b32_e32 v24, 1, v25
	v_cmp_eq_u32_e64 s[48:49], 1, v24
	s_or_b64 s[2:3], s[2:3], s[48:49]
	v_mov_b32_e32 v25, 0
	v_cndmask_b32_e64 v24, 0, 1, s[2:3]
	v_cmp_eq_u16_sdwa s[2:3], v29, v25 src0_sel:BYTE_0 src1_sel:DWORD
	s_nop 1
	v_cndmask_b32_e64 v29, 0, v33, s[2:3]
	v_cndmask_b32_e64 v28, 0, v32, s[2:3]
	v_lshl_add_u64 v[8:9], v[28:29], 0, v[8:9]
; %bb.225:
	s_or_b64 exec, exec, s[52:53]
	ds_write_b64 v21, v[8:9]
	ds_write_b8 v21, v24 offset:8
.LBB70_226:
	s_or_b64 exec, exec, s[50:51]
	v_cmp_lt_u32_e64 s[2:3], 63, v0
	v_mov_b64_e32 v[8:9], 0
	s_waitcnt lgkmcnt(0)
	s_barrier
	s_and_saveexec_b64 s[48:49], s[2:3]
	s_cbranch_execz .LBB70_228
; %bb.227:
	v_lshl_add_u32 v8, v20, 4, -16
	ds_read_b64 v[8:9], v8
	v_cmp_eq_u16_e64 s[2:3], 0, v13
	s_waitcnt lgkmcnt(0)
	s_nop 0
	v_cndmask_b32_e64 v21, 0, v9, s[2:3]
	v_cndmask_b32_e64 v20, 0, v8, s[2:3]
	v_lshl_add_u64 v[4:5], v[4:5], 0, v[20:21]
.LBB70_228:
	s_or_b64 exec, exec, s[48:49]
	v_add_u32_e32 v13, -1, v12
	v_and_b32_e32 v20, 64, v12
	v_cmp_lt_i32_e64 s[2:3], v13, v20
	s_nop 1
	v_cndmask_b32_e64 v13, v13, v12, s[2:3]
	v_lshlrev_b32_e32 v13, 2, v13
	ds_bpermute_b32 v4, v13, v4
	ds_bpermute_b32 v5, v13, v5
	s_and_saveexec_b64 s[48:49], s[4:5]
	s_cbranch_execz .LBB70_230
; %bb.229:
	v_cmp_eq_u32_e64 s[2:3], 0, v12
	s_waitcnt lgkmcnt(1)
	s_nop 0
	v_cndmask_b32_e64 v4, v4, v8, s[2:3]
	v_mov_b32_e32 v8, 0
	s_waitcnt lgkmcnt(0)
	v_cndmask_b32_e64 v5, v5, v9, s[2:3]
	v_cmp_eq_u16_sdwa s[2:3], v1, v8 src0_sel:BYTE_0 src1_sel:DWORD
	s_nop 1
	v_cndmask_b32_e64 v5, 0, v5, s[2:3]
	v_cndmask_b32_e64 v4, 0, v4, s[2:3]
	v_lshl_add_u64 v[2:3], v[4:5], 0, v[2:3]
	v_cndmask_b32_e64 v5, 0, v3, s[6:7]
	v_cndmask_b32_e64 v4, 0, v2, s[6:7]
	v_lshl_add_u64 v[82:83], v[4:5], 0, v[14:15]
	v_cndmask_b32_e64 v5, 0, v83, s[8:9]
	v_cndmask_b32_e64 v4, 0, v82, s[8:9]
	v_lshl_add_u64 v[84:85], v[4:5], 0, v[6:7]
	v_cndmask_b32_e64 v5, 0, v85, s[10:11]
	v_cndmask_b32_e64 v4, 0, v84, s[10:11]
	v_lshl_add_u64 v[44:45], v[4:5], 0, v[26:27]
	v_cndmask_b32_e64 v5, 0, v45, s[12:13]
	v_cndmask_b32_e64 v4, 0, v44, s[12:13]
	v_lshl_add_u64 v[88:89], v[4:5], 0, v[18:19]
	v_cndmask_b32_e64 v5, 0, v89, s[14:15]
	v_cndmask_b32_e64 v4, 0, v88, s[14:15]
	v_lshl_add_u64 v[48:49], v[4:5], 0, v[34:35]
	v_cndmask_b32_e64 v5, 0, v49, s[16:17]
	v_cndmask_b32_e64 v4, 0, v48, s[16:17]
	v_lshl_add_u64 v[92:93], v[4:5], 0, v[22:23]
	v_cndmask_b32_e64 v5, 0, v93, s[18:19]
	v_cndmask_b32_e64 v4, 0, v92, s[18:19]
	v_lshl_add_u64 v[52:53], v[4:5], 0, v[42:43]
	v_cndmask_b32_e64 v5, 0, v53, s[20:21]
	v_cndmask_b32_e64 v4, 0, v52, s[20:21]
	v_lshl_add_u64 v[96:97], v[4:5], 0, v[30:31]
	v_cndmask_b32_e64 v5, 0, v97, s[22:23]
	v_cndmask_b32_e64 v4, 0, v96, s[22:23]
	v_lshl_add_u64 v[56:57], v[4:5], 0, v[50:51]
	v_cndmask_b32_e64 v5, 0, v57, s[24:25]
	v_cndmask_b32_e64 v4, 0, v56, s[24:25]
	v_lshl_add_u64 v[100:101], v[4:5], 0, v[38:39]
	v_cndmask_b32_e64 v5, 0, v101, s[26:27]
	v_cndmask_b32_e64 v4, 0, v100, s[26:27]
	v_lshl_add_u64 v[60:61], v[4:5], 0, v[58:59]
	v_cndmask_b32_e64 v5, 0, v61, s[28:29]
	v_cndmask_b32_e64 v4, 0, v60, s[28:29]
	v_lshl_add_u64 v[104:105], v[4:5], 0, v[46:47]
	v_cndmask_b32_e64 v5, 0, v105, s[30:31]
	v_cndmask_b32_e64 v4, 0, v104, s[30:31]
	v_lshl_add_u64 v[64:65], v[4:5], 0, v[66:67]
	v_cndmask_b32_e64 v5, 0, v65, s[34:35]
	v_cndmask_b32_e64 v4, 0, v64, s[34:35]
	v_lshl_add_u64 v[108:109], v[4:5], 0, v[54:55]
	v_cndmask_b32_e64 v5, 0, v109, s[36:37]
	v_cndmask_b32_e64 v4, 0, v108, s[36:37]
	v_lshl_add_u64 v[68:69], v[4:5], 0, v[74:75]
	v_cndmask_b32_e64 v5, 0, v69, s[38:39]
	v_cndmask_b32_e64 v4, 0, v68, s[38:39]
	v_lshl_add_u64 v[112:113], v[4:5], 0, v[62:63]
	v_cndmask_b32_e64 v5, 0, v113, s[40:41]
	v_cndmask_b32_e64 v4, 0, v112, s[40:41]
	v_lshl_add_u64 v[72:73], v[4:5], 0, v[78:79]
	v_cndmask_b32_e64 v5, 0, v73, s[42:43]
	v_cndmask_b32_e64 v4, 0, v72, s[42:43]
	v_lshl_add_u64 v[116:117], v[4:5], 0, v[70:71]
	v_cndmask_b32_e64 v5, 0, v117, s[44:45]
	v_cndmask_b32_e64 v4, 0, v116, s[44:45]
	v_lshl_add_u64 v[76:77], v[4:5], 0, v[10:11]
	v_cndmask_b32_e64 v5, 0, v77, s[46:47]
	v_cndmask_b32_e64 v4, 0, v76, s[46:47]
	v_lshl_add_u64 v[120:121], v[4:5], 0, v[16:17]
.LBB70_230:
	s_or_b64 exec, exec, s[48:49]
	s_and_saveexec_b64 s[2:3], vcc
	s_cbranch_execz .LBB70_232
; %bb.231:
	v_mov_b32_e32 v1, 0
	s_waitcnt lgkmcnt(0)
	ds_read_b64 v[4:5], v1 offset:48
	ds_read_u8 v6, v1 offset:56
	s_waitcnt lgkmcnt(1)
	global_store_dword v1, v4, s[90:91] offset:1024 sc1
	global_store_dword v1, v5, s[90:91] offset:1028 sc1
	s_waitcnt lgkmcnt(0)
	global_store_dword v1, v6, s[90:91] offset:1032 sc1
	global_store_dword v1, v1, s[90:91] offset:1036 sc1
	v_mov_b32_e32 v4, 2
	s_waitcnt vmcnt(0)
	global_store_byte v1, v4, s[92:93] offset:64 sc1
.LBB70_232:
	s_or_b64 exec, exec, s[2:3]
	v_mov_b64_e32 v[122:123], v[2:3]
.LBB70_233:
	s_load_dwordx2 s[0:1], s[0:1], 0x18
	v_lshlrev_b32_e32 v42, 3, v0
	s_waitcnt lgkmcnt(0)
	s_add_u32 s0, s0, s96
	s_addc_u32 s1, s1, s97
	s_and_b64 vcc, exec, s[68:69]
	s_cbranch_vccz .LBB70_275
; %bb.234:
	s_movk_i32 s2, 0xa8
	v_mul_i32_i24_e32 v50, 0xffffff60, v0
	v_mul_u32_u24_e32 v1, 0xa8, v0
	v_mad_u32_u24 v2, v0, s2, v50
	s_barrier
	ds_write2_b64 v1, v[122:123], v[82:83] offset1:1
	ds_write2_b64 v1, v[84:85], v[44:45] offset0:2 offset1:3
	ds_write2_b64 v1, v[88:89], v[48:49] offset0:4 offset1:5
	;; [unrolled: 1-line block ×9, first 2 shown]
	ds_write_b64 v1, v[120:121] offset:160
	s_waitcnt lgkmcnt(0)
	s_barrier
	ds_read2st64_b64 v[38:41], v2 offset0:4 offset1:8
	ds_read2st64_b64 v[34:37], v2 offset0:12 offset1:16
	;; [unrolled: 1-line block ×10, first 2 shown]
	s_add_i32 s33, s33, s94
	v_mov_b32_e32 v43, 0
	v_lshl_add_u64 v[46:47], s[0:1], 0, v[42:43]
	v_cmp_gt_u32_e32 vcc, s33, v0
	s_and_saveexec_b64 s[2:3], vcc
	s_cbranch_execz .LBB70_236
; %bb.235:
	v_add_u32_e32 v1, v1, v50
	ds_read_b64 v[50:51], v1
	s_waitcnt lgkmcnt(0)
	global_store_dwordx2 v[46:47], v[50:51], off
.LBB70_236:
	s_or_b64 exec, exec, s[2:3]
	v_or_b32_e32 v1, 0x100, v0
	v_cmp_gt_u32_e32 vcc, s33, v1
	s_and_saveexec_b64 s[2:3], vcc
	s_cbranch_execz .LBB70_238
; %bb.237:
	s_waitcnt lgkmcnt(9)
	global_store_dwordx2 v[46:47], v[38:39], off offset:2048
.LBB70_238:
	s_or_b64 exec, exec, s[2:3]
	v_or_b32_e32 v1, 0x200, v0
	v_cmp_gt_u32_e32 vcc, s33, v1
	s_and_saveexec_b64 s[2:3], vcc
	s_cbranch_execz .LBB70_240
; %bb.239:
	s_waitcnt lgkmcnt(9)
	v_add_co_u32_e32 v38, vcc, 0x1000, v46
	s_nop 1
	v_addc_co_u32_e32 v39, vcc, 0, v47, vcc
	global_store_dwordx2 v[38:39], v[40:41], off
.LBB70_240:
	s_or_b64 exec, exec, s[2:3]
	v_or_b32_e32 v1, 0x300, v0
	v_cmp_gt_u32_e32 vcc, s33, v1
	s_and_saveexec_b64 s[2:3], vcc
	s_cbranch_execz .LBB70_242
; %bb.241:
	s_waitcnt lgkmcnt(9)
	v_add_co_u32_e32 v38, vcc, 0x1000, v46
	s_nop 1
	v_addc_co_u32_e32 v39, vcc, 0, v47, vcc
	s_waitcnt lgkmcnt(8)
	global_store_dwordx2 v[38:39], v[34:35], off offset:2048
.LBB70_242:
	s_or_b64 exec, exec, s[2:3]
	v_or_b32_e32 v1, 0x400, v0
	v_cmp_gt_u32_e32 vcc, s33, v1
	s_and_saveexec_b64 s[2:3], vcc
	s_cbranch_execz .LBB70_244
; %bb.243:
	s_waitcnt lgkmcnt(8)
	v_add_co_u32_e32 v34, vcc, 0x2000, v46
	s_nop 1
	v_addc_co_u32_e32 v35, vcc, 0, v47, vcc
	global_store_dwordx2 v[34:35], v[36:37], off
.LBB70_244:
	s_or_b64 exec, exec, s[2:3]
	v_or_b32_e32 v1, 0x500, v0
	v_cmp_gt_u32_e32 vcc, s33, v1
	s_and_saveexec_b64 s[2:3], vcc
	s_cbranch_execz .LBB70_246
; %bb.245:
	s_waitcnt lgkmcnt(8)
	v_add_co_u32_e32 v34, vcc, 0x2000, v46
	s_nop 1
	v_addc_co_u32_e32 v35, vcc, 0, v47, vcc
	s_waitcnt lgkmcnt(7)
	global_store_dwordx2 v[34:35], v[30:31], off offset:2048
.LBB70_246:
	;; [unrolled: 25-line block ×9, first 2 shown]
	s_or_b64 exec, exec, s[2:3]
	s_waitcnt lgkmcnt(0)
	v_or_b32_e32 v2, 0x1400, v0
	v_mov_b32_e32 v1, v43
	v_cmp_gt_u32_e64 s[2:3], s33, v2
	s_branch .LBB70_277
.LBB70_275:
	s_mov_b64 s[2:3], 0
                                        ; implicit-def: $vgpr4_vgpr5
	s_cbranch_execz .LBB70_277
; %bb.276:
	v_mul_u32_u24_e32 v1, 0xa8, v0
	s_barrier
	s_movk_i32 s4, 0xa8
	ds_write2_b64 v1, v[122:123], v[82:83] offset1:1
	ds_write2_b64 v1, v[84:85], v[44:45] offset0:2 offset1:3
	ds_write2_b64 v1, v[88:89], v[48:49] offset0:4 offset1:5
	ds_write2_b64 v1, v[92:93], v[52:53] offset0:6 offset1:7
	ds_write2_b64 v1, v[96:97], v[56:57] offset0:8 offset1:9
	ds_write2_b64 v1, v[100:101], v[60:61] offset0:10 offset1:11
	ds_write2_b64 v1, v[104:105], v[64:65] offset0:12 offset1:13
	ds_write2_b64 v1, v[108:109], v[68:69] offset0:14 offset1:15
	ds_write2_b64 v1, v[112:113], v[72:73] offset0:16 offset1:17
	ds_write2_b64 v1, v[116:117], v[76:77] offset0:18 offset1:19
	ds_write_b64 v1, v[120:121] offset:160
	v_mov_b32_e32 v1, 0
	v_mul_i32_i24_e32 v2, 0xffffff60, v0
	v_mad_u32_u24 v2, v0, s4, v2
	v_mov_b32_e32 v43, v1
	s_waitcnt lgkmcnt(0)
	s_barrier
	ds_read2st64_b64 v[6:9], v2 offset1:4
	ds_read2st64_b64 v[10:13], v2 offset0:8 offset1:12
	ds_read2st64_b64 v[14:17], v2 offset0:16 offset1:20
	;; [unrolled: 1-line block ×9, first 2 shown]
	ds_read_b64 v[4:5], v2 offset:40960
	v_lshl_add_u64 v[2:3], s[0:1], 0, v[42:43]
	s_movk_i32 s4, 0x1000
	s_waitcnt lgkmcnt(10)
	global_store_dwordx2 v42, v[6:7], s[0:1]
	global_store_dwordx2 v42, v[8:9], s[0:1] offset:2048
	v_add_co_u32_e32 v6, vcc, s4, v2
	s_movk_i32 s4, 0x2000
	s_nop 0
	v_addc_co_u32_e32 v7, vcc, 0, v3, vcc
	v_add_co_u32_e32 v8, vcc, s4, v2
	s_movk_i32 s4, 0x3000
	s_nop 0
	v_addc_co_u32_e32 v9, vcc, 0, v3, vcc
	s_waitcnt lgkmcnt(9)
	global_store_dwordx2 v[8:9], v[10:11], off offset:-4096
	global_store_dwordx2 v[6:7], v[12:13], off offset:2048
	s_waitcnt lgkmcnt(8)
	global_store_dwordx2 v[8:9], v[14:15], off
	global_store_dwordx2 v[8:9], v[16:17], off offset:2048
	v_add_co_u32_e32 v6, vcc, s4, v2
	s_movk_i32 s4, 0x4000
	s_nop 0
	v_addc_co_u32_e32 v7, vcc, 0, v3, vcc
	v_add_co_u32_e32 v8, vcc, s4, v2
	s_movk_i32 s4, 0x5000
	s_nop 0
	v_addc_co_u32_e32 v9, vcc, 0, v3, vcc
	s_waitcnt lgkmcnt(7)
	global_store_dwordx2 v[8:9], v[18:19], off offset:-4096
	global_store_dwordx2 v[6:7], v[20:21], off offset:2048
	s_waitcnt lgkmcnt(6)
	global_store_dwordx2 v[8:9], v[22:23], off
	global_store_dwordx2 v[8:9], v[24:25], off offset:2048
	;; [unrolled: 14-line block ×3, first 2 shown]
	v_add_co_u32_e32 v6, vcc, s4, v2
	s_or_b64 s[2:3], s[2:3], exec
	s_nop 0
	v_addc_co_u32_e32 v7, vcc, 0, v3, vcc
	s_waitcnt lgkmcnt(3)
	global_store_dwordx2 v[6:7], v[34:35], off
	global_store_dwordx2 v[6:7], v[36:37], off offset:2048
	v_add_co_u32_e32 v6, vcc, 0x8000, v2
	s_nop 1
	v_addc_co_u32_e32 v7, vcc, 0, v3, vcc
	v_add_co_u32_e32 v2, vcc, 0x9000, v2
	s_waitcnt lgkmcnt(2)
	global_store_dwordx2 v[6:7], v[38:39], off
	global_store_dwordx2 v[6:7], v[40:41], off offset:2048
	v_addc_co_u32_e32 v3, vcc, 0, v3, vcc
	s_waitcnt lgkmcnt(1)
	global_store_dwordx2 v[2:3], v[44:45], off
	global_store_dwordx2 v[2:3], v[46:47], off offset:2048
.LBB70_277:
	s_and_saveexec_b64 s[4:5], s[2:3]
	s_cbranch_execz .LBB70_279
; %bb.278:
	v_lshl_add_u64 v[0:1], v[0:1], 3, s[0:1]
	v_add_co_u32_e32 v0, vcc, 0xa000, v0
	s_nop 1
	v_addc_co_u32_e32 v1, vcc, 0, v1, vcc
	s_waitcnt lgkmcnt(0)
	global_store_dwordx2 v[0:1], v[4:5], off
	s_endpgm
.LBB70_279:
	s_endpgm
	.section	.rodata,"a",@progbits
	.p2align	6, 0x0
	.amdhsa_kernel _ZN7rocprim6detail25device_scan_by_key_kernelILNS0_25lookback_scan_determinismE0ELb0ENS0_26wrapped_scan_by_key_configINS_14default_configEiyEEPiN6hipcub22TransformInputIteratorIyNS7_6CastOpIyEEPylEESB_yNS7_8EqualityENS7_3SumENS0_19lookback_scan_stateINS_5tupleIJybEEELb0ELb0EEEyEEvT2_T3_T4_T5_T6_T7_T8_mmmPKNSG_IJT9_bEEE
		.amdhsa_group_segment_fixed_size 43008
		.amdhsa_private_segment_fixed_size 0
		.amdhsa_kernarg_size 104
		.amdhsa_user_sgpr_count 2
		.amdhsa_user_sgpr_dispatch_ptr 0
		.amdhsa_user_sgpr_queue_ptr 0
		.amdhsa_user_sgpr_kernarg_segment_ptr 1
		.amdhsa_user_sgpr_dispatch_id 0
		.amdhsa_user_sgpr_kernarg_preload_length 0
		.amdhsa_user_sgpr_kernarg_preload_offset 0
		.amdhsa_user_sgpr_private_segment_size 0
		.amdhsa_uses_dynamic_stack 0
		.amdhsa_enable_private_segment 0
		.amdhsa_system_sgpr_workgroup_id_x 1
		.amdhsa_system_sgpr_workgroup_id_y 0
		.amdhsa_system_sgpr_workgroup_id_z 0
		.amdhsa_system_sgpr_workgroup_info 0
		.amdhsa_system_vgpr_workitem_id 0
		.amdhsa_next_free_vgpr 133
		.amdhsa_next_free_sgpr 100
		.amdhsa_accum_offset 136
		.amdhsa_reserve_vcc 1
		.amdhsa_float_round_mode_32 0
		.amdhsa_float_round_mode_16_64 0
		.amdhsa_float_denorm_mode_32 3
		.amdhsa_float_denorm_mode_16_64 3
		.amdhsa_dx10_clamp 1
		.amdhsa_ieee_mode 1
		.amdhsa_fp16_overflow 0
		.amdhsa_tg_split 0
		.amdhsa_exception_fp_ieee_invalid_op 0
		.amdhsa_exception_fp_denorm_src 0
		.amdhsa_exception_fp_ieee_div_zero 0
		.amdhsa_exception_fp_ieee_overflow 0
		.amdhsa_exception_fp_ieee_underflow 0
		.amdhsa_exception_fp_ieee_inexact 0
		.amdhsa_exception_int_div_zero 0
	.end_amdhsa_kernel
	.section	.text._ZN7rocprim6detail25device_scan_by_key_kernelILNS0_25lookback_scan_determinismE0ELb0ENS0_26wrapped_scan_by_key_configINS_14default_configEiyEEPiN6hipcub22TransformInputIteratorIyNS7_6CastOpIyEEPylEESB_yNS7_8EqualityENS7_3SumENS0_19lookback_scan_stateINS_5tupleIJybEEELb0ELb0EEEyEEvT2_T3_T4_T5_T6_T7_T8_mmmPKNSG_IJT9_bEEE,"axG",@progbits,_ZN7rocprim6detail25device_scan_by_key_kernelILNS0_25lookback_scan_determinismE0ELb0ENS0_26wrapped_scan_by_key_configINS_14default_configEiyEEPiN6hipcub22TransformInputIteratorIyNS7_6CastOpIyEEPylEESB_yNS7_8EqualityENS7_3SumENS0_19lookback_scan_stateINS_5tupleIJybEEELb0ELb0EEEyEEvT2_T3_T4_T5_T6_T7_T8_mmmPKNSG_IJT9_bEEE,comdat
.Lfunc_end70:
	.size	_ZN7rocprim6detail25device_scan_by_key_kernelILNS0_25lookback_scan_determinismE0ELb0ENS0_26wrapped_scan_by_key_configINS_14default_configEiyEEPiN6hipcub22TransformInputIteratorIyNS7_6CastOpIyEEPylEESB_yNS7_8EqualityENS7_3SumENS0_19lookback_scan_stateINS_5tupleIJybEEELb0ELb0EEEyEEvT2_T3_T4_T5_T6_T7_T8_mmmPKNSG_IJT9_bEEE, .Lfunc_end70-_ZN7rocprim6detail25device_scan_by_key_kernelILNS0_25lookback_scan_determinismE0ELb0ENS0_26wrapped_scan_by_key_configINS_14default_configEiyEEPiN6hipcub22TransformInputIteratorIyNS7_6CastOpIyEEPylEESB_yNS7_8EqualityENS7_3SumENS0_19lookback_scan_stateINS_5tupleIJybEEELb0ELb0EEEyEEvT2_T3_T4_T5_T6_T7_T8_mmmPKNSG_IJT9_bEEE
                                        ; -- End function
	.section	.AMDGPU.csdata,"",@progbits
; Kernel info:
; codeLenInByte = 17016
; NumSgprs: 106
; NumVgprs: 133
; NumAgprs: 0
; TotalNumVgprs: 133
; ScratchSize: 0
; MemoryBound: 0
; FloatMode: 240
; IeeeMode: 1
; LDSByteSize: 43008 bytes/workgroup (compile time only)
; SGPRBlocks: 13
; VGPRBlocks: 16
; NumSGPRsForWavesPerEU: 106
; NumVGPRsForWavesPerEU: 133
; AccumOffset: 136
; Occupancy: 1
; WaveLimiterHint : 1
; COMPUTE_PGM_RSRC2:SCRATCH_EN: 0
; COMPUTE_PGM_RSRC2:USER_SGPR: 2
; COMPUTE_PGM_RSRC2:TRAP_HANDLER: 0
; COMPUTE_PGM_RSRC2:TGID_X_EN: 1
; COMPUTE_PGM_RSRC2:TGID_Y_EN: 0
; COMPUTE_PGM_RSRC2:TGID_Z_EN: 0
; COMPUTE_PGM_RSRC2:TIDIG_COMP_CNT: 0
; COMPUTE_PGM_RSRC3_GFX90A:ACCUM_OFFSET: 33
; COMPUTE_PGM_RSRC3_GFX90A:TG_SPLIT: 0
	.section	.text._ZN7rocprim6detail25device_scan_by_key_kernelILNS0_25lookback_scan_determinismE0ELb0ENS0_26wrapped_scan_by_key_configINS_14default_configEiyEEPiN6hipcub22TransformInputIteratorIyNS7_6CastOpIyEEPylEESB_yNS7_8EqualityENS7_3MinENS0_19lookback_scan_stateINS_5tupleIJybEEELb1ELb0EEEyEEvT2_T3_T4_T5_T6_T7_T8_mmmPKNSG_IJT9_bEEE,"axG",@progbits,_ZN7rocprim6detail25device_scan_by_key_kernelILNS0_25lookback_scan_determinismE0ELb0ENS0_26wrapped_scan_by_key_configINS_14default_configEiyEEPiN6hipcub22TransformInputIteratorIyNS7_6CastOpIyEEPylEESB_yNS7_8EqualityENS7_3MinENS0_19lookback_scan_stateINS_5tupleIJybEEELb1ELb0EEEyEEvT2_T3_T4_T5_T6_T7_T8_mmmPKNSG_IJT9_bEEE,comdat
	.protected	_ZN7rocprim6detail25device_scan_by_key_kernelILNS0_25lookback_scan_determinismE0ELb0ENS0_26wrapped_scan_by_key_configINS_14default_configEiyEEPiN6hipcub22TransformInputIteratorIyNS7_6CastOpIyEEPylEESB_yNS7_8EqualityENS7_3MinENS0_19lookback_scan_stateINS_5tupleIJybEEELb1ELb0EEEyEEvT2_T3_T4_T5_T6_T7_T8_mmmPKNSG_IJT9_bEEE ; -- Begin function _ZN7rocprim6detail25device_scan_by_key_kernelILNS0_25lookback_scan_determinismE0ELb0ENS0_26wrapped_scan_by_key_configINS_14default_configEiyEEPiN6hipcub22TransformInputIteratorIyNS7_6CastOpIyEEPylEESB_yNS7_8EqualityENS7_3MinENS0_19lookback_scan_stateINS_5tupleIJybEEELb1ELb0EEEyEEvT2_T3_T4_T5_T6_T7_T8_mmmPKNSG_IJT9_bEEE
	.globl	_ZN7rocprim6detail25device_scan_by_key_kernelILNS0_25lookback_scan_determinismE0ELb0ENS0_26wrapped_scan_by_key_configINS_14default_configEiyEEPiN6hipcub22TransformInputIteratorIyNS7_6CastOpIyEEPylEESB_yNS7_8EqualityENS7_3MinENS0_19lookback_scan_stateINS_5tupleIJybEEELb1ELb0EEEyEEvT2_T3_T4_T5_T6_T7_T8_mmmPKNSG_IJT9_bEEE
	.p2align	8
	.type	_ZN7rocprim6detail25device_scan_by_key_kernelILNS0_25lookback_scan_determinismE0ELb0ENS0_26wrapped_scan_by_key_configINS_14default_configEiyEEPiN6hipcub22TransformInputIteratorIyNS7_6CastOpIyEEPylEESB_yNS7_8EqualityENS7_3MinENS0_19lookback_scan_stateINS_5tupleIJybEEELb1ELb0EEEyEEvT2_T3_T4_T5_T6_T7_T8_mmmPKNSG_IJT9_bEEE,@function
_ZN7rocprim6detail25device_scan_by_key_kernelILNS0_25lookback_scan_determinismE0ELb0ENS0_26wrapped_scan_by_key_configINS_14default_configEiyEEPiN6hipcub22TransformInputIteratorIyNS7_6CastOpIyEEPylEESB_yNS7_8EqualityENS7_3MinENS0_19lookback_scan_stateINS_5tupleIJybEEELb1ELb0EEEyEEvT2_T3_T4_T5_T6_T7_T8_mmmPKNSG_IJT9_bEEE: ; @_ZN7rocprim6detail25device_scan_by_key_kernelILNS0_25lookback_scan_determinismE0ELb0ENS0_26wrapped_scan_by_key_configINS_14default_configEiyEEPiN6hipcub22TransformInputIteratorIyNS7_6CastOpIyEEPylEESB_yNS7_8EqualityENS7_3MinENS0_19lookback_scan_stateINS_5tupleIJybEEELb1ELb0EEEyEEvT2_T3_T4_T5_T6_T7_T8_mmmPKNSG_IJT9_bEEE
; %bb.0:
	s_endpgm
	.section	.rodata,"a",@progbits
	.p2align	6, 0x0
	.amdhsa_kernel _ZN7rocprim6detail25device_scan_by_key_kernelILNS0_25lookback_scan_determinismE0ELb0ENS0_26wrapped_scan_by_key_configINS_14default_configEiyEEPiN6hipcub22TransformInputIteratorIyNS7_6CastOpIyEEPylEESB_yNS7_8EqualityENS7_3MinENS0_19lookback_scan_stateINS_5tupleIJybEEELb1ELb0EEEyEEvT2_T3_T4_T5_T6_T7_T8_mmmPKNSG_IJT9_bEEE
		.amdhsa_group_segment_fixed_size 0
		.amdhsa_private_segment_fixed_size 0
		.amdhsa_kernarg_size 104
		.amdhsa_user_sgpr_count 2
		.amdhsa_user_sgpr_dispatch_ptr 0
		.amdhsa_user_sgpr_queue_ptr 0
		.amdhsa_user_sgpr_kernarg_segment_ptr 1
		.amdhsa_user_sgpr_dispatch_id 0
		.amdhsa_user_sgpr_kernarg_preload_length 0
		.amdhsa_user_sgpr_kernarg_preload_offset 0
		.amdhsa_user_sgpr_private_segment_size 0
		.amdhsa_uses_dynamic_stack 0
		.amdhsa_enable_private_segment 0
		.amdhsa_system_sgpr_workgroup_id_x 1
		.amdhsa_system_sgpr_workgroup_id_y 0
		.amdhsa_system_sgpr_workgroup_id_z 0
		.amdhsa_system_sgpr_workgroup_info 0
		.amdhsa_system_vgpr_workitem_id 0
		.amdhsa_next_free_vgpr 1
		.amdhsa_next_free_sgpr 0
		.amdhsa_accum_offset 4
		.amdhsa_reserve_vcc 0
		.amdhsa_float_round_mode_32 0
		.amdhsa_float_round_mode_16_64 0
		.amdhsa_float_denorm_mode_32 3
		.amdhsa_float_denorm_mode_16_64 3
		.amdhsa_dx10_clamp 1
		.amdhsa_ieee_mode 1
		.amdhsa_fp16_overflow 0
		.amdhsa_tg_split 0
		.amdhsa_exception_fp_ieee_invalid_op 0
		.amdhsa_exception_fp_denorm_src 0
		.amdhsa_exception_fp_ieee_div_zero 0
		.amdhsa_exception_fp_ieee_overflow 0
		.amdhsa_exception_fp_ieee_underflow 0
		.amdhsa_exception_fp_ieee_inexact 0
		.amdhsa_exception_int_div_zero 0
	.end_amdhsa_kernel
	.section	.text._ZN7rocprim6detail25device_scan_by_key_kernelILNS0_25lookback_scan_determinismE0ELb0ENS0_26wrapped_scan_by_key_configINS_14default_configEiyEEPiN6hipcub22TransformInputIteratorIyNS7_6CastOpIyEEPylEESB_yNS7_8EqualityENS7_3MinENS0_19lookback_scan_stateINS_5tupleIJybEEELb1ELb0EEEyEEvT2_T3_T4_T5_T6_T7_T8_mmmPKNSG_IJT9_bEEE,"axG",@progbits,_ZN7rocprim6detail25device_scan_by_key_kernelILNS0_25lookback_scan_determinismE0ELb0ENS0_26wrapped_scan_by_key_configINS_14default_configEiyEEPiN6hipcub22TransformInputIteratorIyNS7_6CastOpIyEEPylEESB_yNS7_8EqualityENS7_3MinENS0_19lookback_scan_stateINS_5tupleIJybEEELb1ELb0EEEyEEvT2_T3_T4_T5_T6_T7_T8_mmmPKNSG_IJT9_bEEE,comdat
.Lfunc_end71:
	.size	_ZN7rocprim6detail25device_scan_by_key_kernelILNS0_25lookback_scan_determinismE0ELb0ENS0_26wrapped_scan_by_key_configINS_14default_configEiyEEPiN6hipcub22TransformInputIteratorIyNS7_6CastOpIyEEPylEESB_yNS7_8EqualityENS7_3MinENS0_19lookback_scan_stateINS_5tupleIJybEEELb1ELb0EEEyEEvT2_T3_T4_T5_T6_T7_T8_mmmPKNSG_IJT9_bEEE, .Lfunc_end71-_ZN7rocprim6detail25device_scan_by_key_kernelILNS0_25lookback_scan_determinismE0ELb0ENS0_26wrapped_scan_by_key_configINS_14default_configEiyEEPiN6hipcub22TransformInputIteratorIyNS7_6CastOpIyEEPylEESB_yNS7_8EqualityENS7_3MinENS0_19lookback_scan_stateINS_5tupleIJybEEELb1ELb0EEEyEEvT2_T3_T4_T5_T6_T7_T8_mmmPKNSG_IJT9_bEEE
                                        ; -- End function
	.section	.AMDGPU.csdata,"",@progbits
; Kernel info:
; codeLenInByte = 4
; NumSgprs: 6
; NumVgprs: 0
; NumAgprs: 0
; TotalNumVgprs: 0
; ScratchSize: 0
; MemoryBound: 0
; FloatMode: 240
; IeeeMode: 1
; LDSByteSize: 0 bytes/workgroup (compile time only)
; SGPRBlocks: 0
; VGPRBlocks: 0
; NumSGPRsForWavesPerEU: 6
; NumVGPRsForWavesPerEU: 1
; AccumOffset: 4
; Occupancy: 8
; WaveLimiterHint : 0
; COMPUTE_PGM_RSRC2:SCRATCH_EN: 0
; COMPUTE_PGM_RSRC2:USER_SGPR: 2
; COMPUTE_PGM_RSRC2:TRAP_HANDLER: 0
; COMPUTE_PGM_RSRC2:TGID_X_EN: 1
; COMPUTE_PGM_RSRC2:TGID_Y_EN: 0
; COMPUTE_PGM_RSRC2:TGID_Z_EN: 0
; COMPUTE_PGM_RSRC2:TIDIG_COMP_CNT: 0
; COMPUTE_PGM_RSRC3_GFX90A:ACCUM_OFFSET: 0
; COMPUTE_PGM_RSRC3_GFX90A:TG_SPLIT: 0
	.section	.text._ZN7rocprim6detail25device_scan_by_key_kernelILNS0_25lookback_scan_determinismE0ELb0ENS0_26wrapped_scan_by_key_configINS_14default_configEiyEEPiN6hipcub22TransformInputIteratorIyNS7_6CastOpIyEEPylEESB_yNS7_8EqualityENS7_3MinENS0_19lookback_scan_stateINS_5tupleIJybEEELb0ELb0EEEyEEvT2_T3_T4_T5_T6_T7_T8_mmmPKNSG_IJT9_bEEE,"axG",@progbits,_ZN7rocprim6detail25device_scan_by_key_kernelILNS0_25lookback_scan_determinismE0ELb0ENS0_26wrapped_scan_by_key_configINS_14default_configEiyEEPiN6hipcub22TransformInputIteratorIyNS7_6CastOpIyEEPylEESB_yNS7_8EqualityENS7_3MinENS0_19lookback_scan_stateINS_5tupleIJybEEELb0ELb0EEEyEEvT2_T3_T4_T5_T6_T7_T8_mmmPKNSG_IJT9_bEEE,comdat
	.protected	_ZN7rocprim6detail25device_scan_by_key_kernelILNS0_25lookback_scan_determinismE0ELb0ENS0_26wrapped_scan_by_key_configINS_14default_configEiyEEPiN6hipcub22TransformInputIteratorIyNS7_6CastOpIyEEPylEESB_yNS7_8EqualityENS7_3MinENS0_19lookback_scan_stateINS_5tupleIJybEEELb0ELb0EEEyEEvT2_T3_T4_T5_T6_T7_T8_mmmPKNSG_IJT9_bEEE ; -- Begin function _ZN7rocprim6detail25device_scan_by_key_kernelILNS0_25lookback_scan_determinismE0ELb0ENS0_26wrapped_scan_by_key_configINS_14default_configEiyEEPiN6hipcub22TransformInputIteratorIyNS7_6CastOpIyEEPylEESB_yNS7_8EqualityENS7_3MinENS0_19lookback_scan_stateINS_5tupleIJybEEELb0ELb0EEEyEEvT2_T3_T4_T5_T6_T7_T8_mmmPKNSG_IJT9_bEEE
	.globl	_ZN7rocprim6detail25device_scan_by_key_kernelILNS0_25lookback_scan_determinismE0ELb0ENS0_26wrapped_scan_by_key_configINS_14default_configEiyEEPiN6hipcub22TransformInputIteratorIyNS7_6CastOpIyEEPylEESB_yNS7_8EqualityENS7_3MinENS0_19lookback_scan_stateINS_5tupleIJybEEELb0ELb0EEEyEEvT2_T3_T4_T5_T6_T7_T8_mmmPKNSG_IJT9_bEEE
	.p2align	8
	.type	_ZN7rocprim6detail25device_scan_by_key_kernelILNS0_25lookback_scan_determinismE0ELb0ENS0_26wrapped_scan_by_key_configINS_14default_configEiyEEPiN6hipcub22TransformInputIteratorIyNS7_6CastOpIyEEPylEESB_yNS7_8EqualityENS7_3MinENS0_19lookback_scan_stateINS_5tupleIJybEEELb0ELb0EEEyEEvT2_T3_T4_T5_T6_T7_T8_mmmPKNSG_IJT9_bEEE,@function
_ZN7rocprim6detail25device_scan_by_key_kernelILNS0_25lookback_scan_determinismE0ELb0ENS0_26wrapped_scan_by_key_configINS_14default_configEiyEEPiN6hipcub22TransformInputIteratorIyNS7_6CastOpIyEEPylEESB_yNS7_8EqualityENS7_3MinENS0_19lookback_scan_stateINS_5tupleIJybEEELb0ELb0EEEyEEvT2_T3_T4_T5_T6_T7_T8_mmmPKNSG_IJT9_bEEE: ; @_ZN7rocprim6detail25device_scan_by_key_kernelILNS0_25lookback_scan_determinismE0ELb0ENS0_26wrapped_scan_by_key_configINS_14default_configEiyEEPiN6hipcub22TransformInputIteratorIyNS7_6CastOpIyEEPylEESB_yNS7_8EqualityENS7_3MinENS0_19lookback_scan_stateINS_5tupleIJybEEELb0ELb0EEEyEEvT2_T3_T4_T5_T6_T7_T8_mmmPKNSG_IJT9_bEEE
; %bb.0:
	s_load_dwordx4 s[4:7], s[0:1], 0x0
	s_load_dwordx8 s[92:99], s[0:1], 0x30
	s_load_dwordx2 s[70:71], s[0:1], 0x60
	s_load_dwordx4 s[48:51], s[0:1], 0x50
	s_mul_i32 s8, s2, 0x1500
	s_mov_b32 s9, 0
	s_lshl_b64 s[10:11], s[8:9], 2
	s_waitcnt lgkmcnt(0)
	s_add_u32 s54, s4, s10
	s_addc_u32 s55, s5, s11
	s_lshl_b64 s[64:65], s[8:9], 3
	s_add_u32 s52, s6, s64
	s_addc_u32 s53, s7, s65
	s_add_u32 s4, s2, s48
	s_addc_u32 s5, 0, s49
	s_add_u32 s6, s50, -1
	s_addc_u32 s7, s51, -1
	v_mov_b64_e32 v[2:3], s[6:7]
	v_cmp_ge_u64_e64 s[90:91], s[4:5], v[2:3]
	s_mov_b64 s[10:11], -1
	s_and_b64 vcc, exec, s[90:91]
	s_mul_i32 s33, s6, 0xffffeb00
	v_lshlrev_b32_e32 v82, 2, v0
	s_cbranch_vccz .LBB72_65
; %bb.1:
	s_load_dword s3, s[54:55], 0x0
	s_add_i32 s62, s33, s98
	v_mov_b32_e32 v83, 0
	v_lshl_add_u64 v[2:3], s[54:55], 0, v[82:83]
	v_cmp_gt_u32_e64 s[4:5], s62, v0
	s_waitcnt lgkmcnt(0)
	v_mov_b32_e32 v1, s3
	s_and_saveexec_b64 s[6:7], s[4:5]
	s_cbranch_execz .LBB72_3
; %bb.2:
	global_load_dword v1, v[2:3], off
.LBB72_3:
	s_or_b64 exec, exec, s[6:7]
	v_or_b32_e32 v4, 0x100, v0
	v_cmp_gt_u32_e64 s[8:9], s62, v4
	v_mov_b32_e32 v4, s3
	s_and_saveexec_b64 s[6:7], s[8:9]
	s_cbranch_execz .LBB72_5
; %bb.4:
	global_load_dword v4, v[2:3], off offset:1024
.LBB72_5:
	s_or_b64 exec, exec, s[6:7]
	v_or_b32_e32 v5, 0x200, v0
	v_cmp_gt_u32_e64 s[14:15], s62, v5
	v_mov_b32_e32 v5, s3
	s_and_saveexec_b64 s[6:7], s[14:15]
	s_cbranch_execz .LBB72_7
; %bb.6:
	global_load_dword v5, v[2:3], off offset:2048
.LBB72_7:
	;; [unrolled: 9-line block ×3, first 2 shown]
	s_or_b64 exec, exec, s[6:7]
	v_or_b32_e32 v7, 0x400, v0
	v_cmp_gt_u32_e64 s[6:7], s62, v7
	v_mov_b32_e32 v7, s3
	s_and_saveexec_b64 s[12:13], s[6:7]
	s_cbranch_execz .LBB72_11
; %bb.10:
	v_add_co_u32_e32 v8, vcc, 0x1000, v2
	s_nop 1
	v_addc_co_u32_e32 v9, vcc, 0, v3, vcc
	global_load_dword v7, v[8:9], off
.LBB72_11:
	s_or_b64 exec, exec, s[12:13]
	v_or_b32_e32 v8, 0x500, v0
	v_cmp_gt_u32_e64 s[12:13], s62, v8
	v_mov_b32_e32 v8, s3
	s_and_saveexec_b64 s[16:17], s[12:13]
	s_cbranch_execz .LBB72_13
; %bb.12:
	v_add_co_u32_e32 v8, vcc, 0x1000, v2
	s_nop 1
	v_addc_co_u32_e32 v9, vcc, 0, v3, vcc
	global_load_dword v8, v[8:9], off offset:1024
.LBB72_13:
	s_or_b64 exec, exec, s[16:17]
	v_or_b32_e32 v9, 0x600, v0
	v_cmp_gt_u32_e64 s[16:17], s62, v9
	v_mov_b32_e32 v9, s3
	s_and_saveexec_b64 s[18:19], s[16:17]
	s_cbranch_execz .LBB72_15
; %bb.14:
	v_add_co_u32_e32 v10, vcc, 0x1000, v2
	s_nop 1
	v_addc_co_u32_e32 v11, vcc, 0, v3, vcc
	global_load_dword v9, v[10:11], off offset:2048
.LBB72_15:
	s_or_b64 exec, exec, s[18:19]
	v_or_b32_e32 v10, 0x700, v0
	v_cmp_gt_u32_e64 s[18:19], s62, v10
	v_mov_b32_e32 v10, s3
	s_and_saveexec_b64 s[20:21], s[18:19]
	s_cbranch_execz .LBB72_17
; %bb.16:
	v_add_co_u32_e32 v10, vcc, 0x1000, v2
	s_nop 1
	v_addc_co_u32_e32 v11, vcc, 0, v3, vcc
	global_load_dword v10, v[10:11], off offset:3072
.LBB72_17:
	s_or_b64 exec, exec, s[20:21]
	v_or_b32_e32 v11, 0x800, v0
	v_cmp_gt_u32_e64 s[20:21], s62, v11
	v_mov_b32_e32 v11, s3
	s_and_saveexec_b64 s[22:23], s[20:21]
	s_cbranch_execz .LBB72_19
; %bb.18:
	v_add_co_u32_e32 v12, vcc, 0x2000, v2
	s_nop 1
	v_addc_co_u32_e32 v13, vcc, 0, v3, vcc
	global_load_dword v11, v[12:13], off
.LBB72_19:
	s_or_b64 exec, exec, s[22:23]
	v_or_b32_e32 v12, 0x900, v0
	v_cmp_gt_u32_e64 s[22:23], s62, v12
	v_mov_b32_e32 v12, s3
	s_and_saveexec_b64 s[24:25], s[22:23]
	s_cbranch_execz .LBB72_21
; %bb.20:
	v_add_co_u32_e32 v12, vcc, 0x2000, v2
	s_nop 1
	v_addc_co_u32_e32 v13, vcc, 0, v3, vcc
	global_load_dword v12, v[12:13], off offset:1024
.LBB72_21:
	s_or_b64 exec, exec, s[24:25]
	v_or_b32_e32 v13, 0xa00, v0
	v_cmp_gt_u32_e64 s[24:25], s62, v13
	v_mov_b32_e32 v13, s3
	s_and_saveexec_b64 s[26:27], s[24:25]
	s_cbranch_execz .LBB72_23
; %bb.22:
	v_add_co_u32_e32 v14, vcc, 0x2000, v2
	s_nop 1
	v_addc_co_u32_e32 v15, vcc, 0, v3, vcc
	global_load_dword v13, v[14:15], off offset:2048
.LBB72_23:
	s_or_b64 exec, exec, s[26:27]
	v_or_b32_e32 v14, 0xb00, v0
	v_cmp_gt_u32_e64 s[26:27], s62, v14
	v_mov_b32_e32 v14, s3
	s_and_saveexec_b64 s[28:29], s[26:27]
	s_cbranch_execz .LBB72_25
; %bb.24:
	v_add_co_u32_e32 v14, vcc, 0x2000, v2
	s_nop 1
	v_addc_co_u32_e32 v15, vcc, 0, v3, vcc
	global_load_dword v14, v[14:15], off offset:3072
.LBB72_25:
	;; [unrolled: 48-line block ×4, first 2 shown]
	s_or_b64 exec, exec, s[46:47]
	v_or_b32_e32 v23, 0x1400, v0
	v_cmp_gt_u32_e64 s[46:47], s62, v23
	v_mov_b32_e32 v23, s3
	s_and_saveexec_b64 s[50:51], s[46:47]
	s_cbranch_execz .LBB72_43
; %bb.42:
	v_add_co_u32_e32 v2, vcc, 0x5000, v2
	s_nop 1
	v_addc_co_u32_e32 v3, vcc, 0, v3, vcc
	global_load_dword v23, v[2:3], off
.LBB72_43:
	s_or_b64 exec, exec, s[50:51]
	s_sub_u32 s50, 0, s2
	s_subb_u32 s51, 0, 0
	s_cmp_eq_u64 s[50:51], s[48:49]
	s_movk_i32 s3, 0x50
	s_cselect_b32 s50, 0, -4
	v_mad_u32_u24 v2, v0, s3, v82
	s_cselect_b32 s3, 0, -1
	s_add_u32 s50, s54, s50
	s_addc_u32 s51, s55, s3
	s_waitcnt vmcnt(0)
	ds_write2st64_b32 v82, v1, v4 offset1:4
	ds_write2st64_b32 v82, v5, v6 offset0:8 offset1:12
	ds_write2st64_b32 v82, v7, v8 offset0:16 offset1:20
	;; [unrolled: 1-line block ×9, first 2 shown]
	ds_write_b32 v82, v23 offset:20480
	s_waitcnt lgkmcnt(0)
	s_barrier
	s_load_dword s3, s[50:51], 0x0
	ds_read2_b32 v[32:33], v2 offset0:4 offset1:9
	s_movk_i32 s50, 0xffb0
	v_mad_i32_i24 v1, v0, s50, v2
	v_cmp_ne_u32_e32 vcc, 0, v0
	s_waitcnt lgkmcnt(0)
	v_mov_b32_e32 v68, s3
	ds_read2_b32 v[4:5], v2 offset0:19 offset1:20
	ds_read2_b32 v[8:9], v2 offset0:17 offset1:18
	;; [unrolled: 1-line block ×3, first 2 shown]
	ds_read_b32 v72, v2 offset:56
	ds_read2_b32 v[16:17], v2 offset0:12 offset1:13
	ds_read2_b32 v[24:25], v2 offset0:10 offset1:11
	;; [unrolled: 1-line block ×5, first 2 shown]
	ds_read2_b32 v[36:37], v2 offset1:1
	s_waitcnt lgkmcnt(9)
	ds_write_b32 v1, v5 offset:21504
	s_waitcnt lgkmcnt(0)
	s_barrier
	s_and_saveexec_b64 s[50:51], vcc
	s_cbranch_execz .LBB72_45
; %bb.44:
	ds_read_b32 v68, v1 offset:21500
.LBB72_45:
	s_or_b64 exec, exec, s[50:51]
	v_lshlrev_b32_e32 v2, 3, v0
	v_mov_b32_e32 v3, 0
	v_lshl_add_u64 v[6:7], s[52:53], 0, v[2:3]
	s_waitcnt lgkmcnt(0)
	s_barrier
	s_waitcnt lgkmcnt(0)
                                        ; implicit-def: $vgpr2_vgpr3
	s_and_saveexec_b64 s[50:51], s[4:5]
	s_cbranch_execz .LBB72_66
; %bb.46:
	global_load_dwordx2 v[2:3], v[6:7], off
	s_or_b64 exec, exec, s[50:51]
                                        ; implicit-def: $vgpr10_vgpr11
	s_and_saveexec_b64 s[4:5], s[8:9]
	s_cbranch_execnz .LBB72_67
.LBB72_47:
	s_or_b64 exec, exec, s[4:5]
                                        ; implicit-def: $vgpr14_vgpr15
	s_and_saveexec_b64 s[4:5], s[14:15]
	s_cbranch_execz .LBB72_68
.LBB72_48:
	v_add_co_u32_e32 v14, vcc, 0x1000, v6
	s_nop 1
	v_addc_co_u32_e32 v15, vcc, 0, v7, vcc
	global_load_dwordx2 v[14:15], v[14:15], off
	s_or_b64 exec, exec, s[4:5]
                                        ; implicit-def: $vgpr18_vgpr19
	s_and_saveexec_b64 s[4:5], s[10:11]
	s_cbranch_execnz .LBB72_69
.LBB72_49:
	s_or_b64 exec, exec, s[4:5]
                                        ; implicit-def: $vgpr20_vgpr21
	s_and_saveexec_b64 s[4:5], s[6:7]
	s_cbranch_execz .LBB72_70
.LBB72_50:
	v_add_co_u32_e32 v20, vcc, 0x2000, v6
	s_nop 1
	v_addc_co_u32_e32 v21, vcc, 0, v7, vcc
	global_load_dwordx2 v[20:21], v[20:21], off
	s_or_b64 exec, exec, s[4:5]
                                        ; implicit-def: $vgpr22_vgpr23
	s_and_saveexec_b64 s[4:5], s[12:13]
	s_cbranch_execnz .LBB72_71
.LBB72_51:
	s_or_b64 exec, exec, s[4:5]
                                        ; implicit-def: $vgpr26_vgpr27
	s_and_saveexec_b64 s[4:5], s[16:17]
	s_cbranch_execz .LBB72_72
.LBB72_52:
	v_add_co_u32_e32 v26, vcc, 0x3000, v6
	s_nop 1
	v_addc_co_u32_e32 v27, vcc, 0, v7, vcc
	global_load_dwordx2 v[26:27], v[26:27], off
	s_or_b64 exec, exec, s[4:5]
                                        ; implicit-def: $vgpr30_vgpr31
	s_and_saveexec_b64 s[4:5], s[18:19]
	s_cbranch_execnz .LBB72_73
.LBB72_53:
	s_or_b64 exec, exec, s[4:5]
                                        ; implicit-def: $vgpr34_vgpr35
	s_and_saveexec_b64 s[4:5], s[20:21]
	s_cbranch_execz .LBB72_74
.LBB72_54:
	v_add_co_u32_e32 v34, vcc, 0x4000, v6
	s_nop 1
	v_addc_co_u32_e32 v35, vcc, 0, v7, vcc
	global_load_dwordx2 v[34:35], v[34:35], off
	s_or_b64 exec, exec, s[4:5]
                                        ; implicit-def: $vgpr38_vgpr39
	s_and_saveexec_b64 s[4:5], s[22:23]
	s_cbranch_execnz .LBB72_75
.LBB72_55:
	s_or_b64 exec, exec, s[4:5]
                                        ; implicit-def: $vgpr42_vgpr43
	s_and_saveexec_b64 s[4:5], s[24:25]
	s_cbranch_execz .LBB72_76
.LBB72_56:
	v_add_co_u32_e32 v42, vcc, 0x5000, v6
	s_nop 1
	v_addc_co_u32_e32 v43, vcc, 0, v7, vcc
	global_load_dwordx2 v[42:43], v[42:43], off
	s_or_b64 exec, exec, s[4:5]
                                        ; implicit-def: $vgpr46_vgpr47
	s_and_saveexec_b64 s[4:5], s[26:27]
	s_cbranch_execnz .LBB72_77
.LBB72_57:
	s_or_b64 exec, exec, s[4:5]
                                        ; implicit-def: $vgpr48_vgpr49
	s_and_saveexec_b64 s[4:5], s[28:29]
	s_cbranch_execz .LBB72_78
.LBB72_58:
	v_add_co_u32_e32 v48, vcc, 0x6000, v6
	s_nop 1
	v_addc_co_u32_e32 v49, vcc, 0, v7, vcc
	global_load_dwordx2 v[48:49], v[48:49], off
	s_or_b64 exec, exec, s[4:5]
                                        ; implicit-def: $vgpr50_vgpr51
	s_and_saveexec_b64 s[4:5], s[30:31]
	s_cbranch_execnz .LBB72_79
.LBB72_59:
	s_or_b64 exec, exec, s[4:5]
                                        ; implicit-def: $vgpr52_vgpr53
	s_and_saveexec_b64 s[4:5], s[34:35]
	s_cbranch_execz .LBB72_80
.LBB72_60:
	v_add_co_u32_e32 v52, vcc, 0x7000, v6
	s_nop 1
	v_addc_co_u32_e32 v53, vcc, 0, v7, vcc
	global_load_dwordx2 v[52:53], v[52:53], off
	s_or_b64 exec, exec, s[4:5]
                                        ; implicit-def: $vgpr54_vgpr55
	s_and_saveexec_b64 s[4:5], s[36:37]
	s_cbranch_execnz .LBB72_81
.LBB72_61:
	s_or_b64 exec, exec, s[4:5]
                                        ; implicit-def: $vgpr56_vgpr57
	s_and_saveexec_b64 s[4:5], s[38:39]
	s_cbranch_execz .LBB72_82
.LBB72_62:
	v_add_co_u32_e32 v56, vcc, 0x8000, v6
	s_nop 1
	v_addc_co_u32_e32 v57, vcc, 0, v7, vcc
	global_load_dwordx2 v[56:57], v[56:57], off
	s_or_b64 exec, exec, s[4:5]
                                        ; implicit-def: $vgpr58_vgpr59
	s_and_saveexec_b64 s[4:5], s[40:41]
	s_cbranch_execnz .LBB72_83
.LBB72_63:
	s_or_b64 exec, exec, s[4:5]
                                        ; implicit-def: $vgpr60_vgpr61
	s_and_saveexec_b64 s[4:5], s[42:43]
	s_cbranch_execz .LBB72_84
.LBB72_64:
	v_add_co_u32_e32 v60, vcc, 0x9000, v6
	s_nop 1
	v_addc_co_u32_e32 v61, vcc, 0, v7, vcc
	global_load_dwordx2 v[60:61], v[60:61], off
	s_or_b64 exec, exec, s[4:5]
                                        ; implicit-def: $vgpr62_vgpr63
	s_and_saveexec_b64 s[4:5], s[44:45]
	s_cbranch_execz .LBB72_86
	s_branch .LBB72_85
.LBB72_65:
	s_mov_b64 s[8:9], 0
                                        ; implicit-def: $sgpr6_sgpr7
                                        ; implicit-def: $vgpr84
                                        ; implicit-def: $vgpr83
                                        ; implicit-def: $vgpr85
                                        ; implicit-def: $vgpr86
                                        ; implicit-def: $vgpr12_vgpr13
                                        ; implicit-def: $vgpr2_vgpr3
                                        ; implicit-def: $vgpr72_vgpr73
                                        ; implicit-def: $vgpr64_vgpr65
                                        ; implicit-def: $vgpr124
                                        ; implicit-def: $vgpr56_vgpr57
                                        ; implicit-def: $vgpr48_vgpr49
                                        ; implicit-def: $vgpr40_vgpr41
                                        ; implicit-def: $vgpr126
                                        ; implicit-def: $vgpr32_vgpr33
                                        ; implicit-def: $vgpr24_vgpr25
                                        ; implicit-def: $vgpr125
                                        ; implicit-def: $vgpr16_vgpr17
                                        ; implicit-def: $vgpr8_vgpr9
                                        ; implicit-def: $vgpr1
                                        ; implicit-def: $vgpr130
                                        ; implicit-def: $vgpr129
                                        ; implicit-def: $vgpr128
                                        ; implicit-def: $vgpr127
                                        ; implicit-def: $sgpr3
                                        ; implicit-def: $sgpr12_sgpr13
                                        ; implicit-def: $vgpr78_vgpr79
                                        ; implicit-def: $vgpr74_vgpr75
                                        ; implicit-def: $vgpr66_vgpr67
                                        ; implicit-def: $vgpr58_vgpr59
                                        ; implicit-def: $vgpr50_vgpr51
                                        ; implicit-def: $vgpr42_vgpr43
                                        ; implicit-def: $vgpr34_vgpr35
                                        ; implicit-def: $vgpr26_vgpr27
                                        ; implicit-def: $vgpr18_vgpr19
	s_and_b64 vcc, exec, s[10:11]
	v_cmp_ne_u32_e64 s[4:5], 0, v0
	s_cbranch_vccz .LBB72_132
	s_branch .LBB72_129
.LBB72_66:
	s_or_b64 exec, exec, s[50:51]
                                        ; implicit-def: $vgpr10_vgpr11
	s_and_saveexec_b64 s[4:5], s[8:9]
	s_cbranch_execz .LBB72_47
.LBB72_67:
	global_load_dwordx2 v[10:11], v[6:7], off offset:2048
	s_or_b64 exec, exec, s[4:5]
                                        ; implicit-def: $vgpr14_vgpr15
	s_and_saveexec_b64 s[4:5], s[14:15]
	s_cbranch_execnz .LBB72_48
.LBB72_68:
	s_or_b64 exec, exec, s[4:5]
                                        ; implicit-def: $vgpr18_vgpr19
	s_and_saveexec_b64 s[4:5], s[10:11]
	s_cbranch_execz .LBB72_49
.LBB72_69:
	v_add_co_u32_e32 v18, vcc, 0x1000, v6
	s_nop 1
	v_addc_co_u32_e32 v19, vcc, 0, v7, vcc
	global_load_dwordx2 v[18:19], v[18:19], off offset:2048
	s_or_b64 exec, exec, s[4:5]
                                        ; implicit-def: $vgpr20_vgpr21
	s_and_saveexec_b64 s[4:5], s[6:7]
	s_cbranch_execnz .LBB72_50
.LBB72_70:
	s_or_b64 exec, exec, s[4:5]
                                        ; implicit-def: $vgpr22_vgpr23
	s_and_saveexec_b64 s[4:5], s[12:13]
	s_cbranch_execz .LBB72_51
.LBB72_71:
	v_add_co_u32_e32 v22, vcc, 0x2000, v6
	s_nop 1
	v_addc_co_u32_e32 v23, vcc, 0, v7, vcc
	global_load_dwordx2 v[22:23], v[22:23], off offset:2048
	s_or_b64 exec, exec, s[4:5]
                                        ; implicit-def: $vgpr26_vgpr27
	s_and_saveexec_b64 s[4:5], s[16:17]
	s_cbranch_execnz .LBB72_52
.LBB72_72:
	s_or_b64 exec, exec, s[4:5]
                                        ; implicit-def: $vgpr30_vgpr31
	s_and_saveexec_b64 s[4:5], s[18:19]
	s_cbranch_execz .LBB72_53
.LBB72_73:
	v_add_co_u32_e32 v30, vcc, 0x3000, v6
	s_nop 1
	v_addc_co_u32_e32 v31, vcc, 0, v7, vcc
	global_load_dwordx2 v[30:31], v[30:31], off offset:2048
	s_or_b64 exec, exec, s[4:5]
                                        ; implicit-def: $vgpr34_vgpr35
	s_and_saveexec_b64 s[4:5], s[20:21]
	s_cbranch_execnz .LBB72_54
.LBB72_74:
	s_or_b64 exec, exec, s[4:5]
                                        ; implicit-def: $vgpr38_vgpr39
	s_and_saveexec_b64 s[4:5], s[22:23]
	s_cbranch_execz .LBB72_55
.LBB72_75:
	v_add_co_u32_e32 v38, vcc, 0x4000, v6
	s_nop 1
	v_addc_co_u32_e32 v39, vcc, 0, v7, vcc
	global_load_dwordx2 v[38:39], v[38:39], off offset:2048
	s_or_b64 exec, exec, s[4:5]
                                        ; implicit-def: $vgpr42_vgpr43
	s_and_saveexec_b64 s[4:5], s[24:25]
	s_cbranch_execnz .LBB72_56
.LBB72_76:
	s_or_b64 exec, exec, s[4:5]
                                        ; implicit-def: $vgpr46_vgpr47
	s_and_saveexec_b64 s[4:5], s[26:27]
	s_cbranch_execz .LBB72_57
.LBB72_77:
	v_add_co_u32_e32 v46, vcc, 0x5000, v6
	s_nop 1
	v_addc_co_u32_e32 v47, vcc, 0, v7, vcc
	global_load_dwordx2 v[46:47], v[46:47], off offset:2048
	s_or_b64 exec, exec, s[4:5]
                                        ; implicit-def: $vgpr48_vgpr49
	s_and_saveexec_b64 s[4:5], s[28:29]
	s_cbranch_execnz .LBB72_58
.LBB72_78:
	s_or_b64 exec, exec, s[4:5]
                                        ; implicit-def: $vgpr50_vgpr51
	s_and_saveexec_b64 s[4:5], s[30:31]
	s_cbranch_execz .LBB72_59
.LBB72_79:
	v_add_co_u32_e32 v50, vcc, 0x6000, v6
	s_nop 1
	v_addc_co_u32_e32 v51, vcc, 0, v7, vcc
	global_load_dwordx2 v[50:51], v[50:51], off offset:2048
	s_or_b64 exec, exec, s[4:5]
                                        ; implicit-def: $vgpr52_vgpr53
	s_and_saveexec_b64 s[4:5], s[34:35]
	s_cbranch_execnz .LBB72_60
.LBB72_80:
	s_or_b64 exec, exec, s[4:5]
                                        ; implicit-def: $vgpr54_vgpr55
	s_and_saveexec_b64 s[4:5], s[36:37]
	s_cbranch_execz .LBB72_61
.LBB72_81:
	v_add_co_u32_e32 v54, vcc, 0x7000, v6
	s_nop 1
	v_addc_co_u32_e32 v55, vcc, 0, v7, vcc
	global_load_dwordx2 v[54:55], v[54:55], off offset:2048
	s_or_b64 exec, exec, s[4:5]
                                        ; implicit-def: $vgpr56_vgpr57
	s_and_saveexec_b64 s[4:5], s[38:39]
	s_cbranch_execnz .LBB72_62
.LBB72_82:
	s_or_b64 exec, exec, s[4:5]
                                        ; implicit-def: $vgpr58_vgpr59
	s_and_saveexec_b64 s[4:5], s[40:41]
	s_cbranch_execz .LBB72_63
.LBB72_83:
	v_add_co_u32_e32 v58, vcc, 0x8000, v6
	s_nop 1
	v_addc_co_u32_e32 v59, vcc, 0, v7, vcc
	global_load_dwordx2 v[58:59], v[58:59], off offset:2048
	s_or_b64 exec, exec, s[4:5]
                                        ; implicit-def: $vgpr60_vgpr61
	s_and_saveexec_b64 s[4:5], s[42:43]
	s_cbranch_execnz .LBB72_64
.LBB72_84:
	s_or_b64 exec, exec, s[4:5]
                                        ; implicit-def: $vgpr62_vgpr63
	s_and_saveexec_b64 s[4:5], s[44:45]
	s_cbranch_execz .LBB72_86
.LBB72_85:
	v_add_co_u32_e32 v62, vcc, 0x9000, v6
	s_nop 1
	v_addc_co_u32_e32 v63, vcc, 0, v7, vcc
	global_load_dwordx2 v[62:63], v[62:63], off offset:2048
.LBB72_86:
	s_or_b64 exec, exec, s[4:5]
	v_mul_u32_u24_e32 v73, 21, v0
                                        ; implicit-def: $vgpr64_vgpr65
	s_and_saveexec_b64 s[4:5], s[46:47]
	s_cbranch_execz .LBB72_88
; %bb.87:
	v_add_co_u32_e32 v6, vcc, 0xa000, v6
	s_nop 1
	v_addc_co_u32_e32 v7, vcc, 0, v7, vcc
	global_load_dwordx2 v[64:65], v[6:7], off
.LBB72_88:
	s_or_b64 exec, exec, s[4:5]
	v_lshl_add_u32 v69, v0, 2, v1
	s_waitcnt vmcnt(0)
	ds_write2st64_b64 v69, v[2:3], v[10:11] offset1:4
	ds_write2st64_b64 v69, v[14:15], v[18:19] offset0:8 offset1:12
	ds_write2st64_b64 v69, v[20:21], v[22:23] offset0:16 offset1:20
	;; [unrolled: 1-line block ×9, first 2 shown]
	ds_write_b64 v69, v[64:65] offset:40960
	v_mov_b64_e32 v[2:3], 0
	v_cmp_gt_u32_e32 vcc, s62, v73
	s_mov_b64 s[8:9], 0
	s_mov_b64 s[10:11], 0
	s_mov_b32 s3, 0
	v_mov_b32_e32 v130, 0
	v_mov_b32_e32 v124, 0
	;; [unrolled: 1-line block ×5, first 2 shown]
	v_mov_b64_e32 v[10:11], v[2:3]
	v_mov_b64_e32 v[70:71], v[2:3]
	;; [unrolled: 1-line block ×9, first 2 shown]
	v_mov_b32_e32 v126, 0
	v_mov_b64_e32 v[38:39], v[2:3]
	v_mov_b64_e32 v[50:51], v[2:3]
	;; [unrolled: 1-line block ×5, first 2 shown]
	v_mov_b32_e32 v125, 0
	v_mov_b64_e32 v[34:35], v[2:3]
	v_mov_b64_e32 v[14:15], v[2:3]
	;; [unrolled: 1-line block ×5, first 2 shown]
	v_mov_b32_e32 v1, 0
	s_waitcnt lgkmcnt(0)
	s_barrier
	s_waitcnt lgkmcnt(0)
                                        ; implicit-def: $sgpr6_sgpr7
                                        ; implicit-def: $vgpr84
                                        ; implicit-def: $vgpr83
                                        ; implicit-def: $vgpr85
                                        ; implicit-def: $vgpr86
	s_and_saveexec_b64 s[12:13], vcc
	s_cbranch_execz .LBB72_128
; %bb.89:
	s_movk_i32 s4, 0xa0
	v_mad_u32_u24 v2, v0, s4, v69
	ds_read_b64 v[2:3], v2
	v_cmp_ne_u32_e32 vcc, v68, v36
	v_add_u32_e32 v6, 1, v73
	v_mov_b64_e32 v[10:11], 0
	v_cndmask_b32_e64 v1, 0, 1, vcc
	v_cmp_gt_u32_e32 vcc, s62, v6
	s_mov_b64 s[4:5], 0
	s_mov_b64 s[18:19], 0
	v_mov_b32_e32 v130, 0
	v_mov_b32_e32 v124, 0
	;; [unrolled: 1-line block ×5, first 2 shown]
	v_mov_b64_e32 v[70:71], v[10:11]
	v_mov_b64_e32 v[78:79], v[10:11]
	v_mov_b64_e32 v[62:63], v[10:11]
	v_mov_b64_e32 v[74:75], v[10:11]
	v_mov_b64_e32 v[54:55], v[10:11]
	v_mov_b64_e32 v[66:67], v[10:11]
	v_mov_b64_e32 v[46:47], v[10:11]
	v_mov_b64_e32 v[58:59], v[10:11]
	v_mov_b32_e32 v126, 0
	v_mov_b64_e32 v[38:39], v[10:11]
	v_mov_b64_e32 v[50:51], v[10:11]
	;; [unrolled: 1-line block ×5, first 2 shown]
	v_mov_b32_e32 v125, 0
	v_mov_b64_e32 v[34:35], v[10:11]
	v_mov_b64_e32 v[14:15], v[10:11]
	;; [unrolled: 1-line block ×5, first 2 shown]
                                        ; implicit-def: $sgpr6_sgpr7
                                        ; implicit-def: $vgpr84
                                        ; implicit-def: $vgpr83
                                        ; implicit-def: $vgpr85
                                        ; implicit-def: $vgpr86
	s_and_saveexec_b64 s[14:15], vcc
	s_cbranch_execz .LBB72_127
; %bb.90:
	v_mul_u32_u24_e32 v6, 0xa0, v0
	v_add_u32_e32 v48, v69, v6
	ds_read2_b64 v[18:21], v48 offset0:1 offset1:2
	v_add_u32_e32 v6, 2, v73
	v_cmp_ne_u32_e64 s[8:9], v36, v37
	v_mov_b64_e32 v[10:11], 0
	v_cmp_ne_u32_e32 vcc, v28, v29
	v_cmp_ne_u32_e64 s[4:5], v29, v32
	v_cmp_ne_u32_e64 s[6:7], v37, v28
	v_cndmask_b32_e64 v130, 0, 1, s[8:9]
	v_cmp_gt_u32_e64 s[8:9], s62, v6
	s_mov_b64 s[20:21], 0
	v_mov_b32_e32 v129, 0
	v_mov_b32_e32 v124, 0
	;; [unrolled: 1-line block ×4, first 2 shown]
	v_mov_b64_e32 v[70:71], v[10:11]
	v_mov_b64_e32 v[78:79], v[10:11]
	;; [unrolled: 1-line block ×8, first 2 shown]
	v_mov_b32_e32 v126, 0
	v_mov_b64_e32 v[38:39], v[10:11]
	v_mov_b64_e32 v[50:51], v[10:11]
	;; [unrolled: 1-line block ×5, first 2 shown]
	v_mov_b32_e32 v125, 0
	v_mov_b64_e32 v[34:35], v[10:11]
	v_mov_b64_e32 v[14:15], v[10:11]
	;; [unrolled: 1-line block ×4, first 2 shown]
                                        ; implicit-def: $sgpr22_sgpr23
                                        ; implicit-def: $vgpr84
                                        ; implicit-def: $vgpr83
                                        ; implicit-def: $vgpr85
                                        ; implicit-def: $vgpr86
	s_and_saveexec_b64 s[16:17], s[8:9]
	s_cbranch_execz .LBB72_126
; %bb.91:
	v_cndmask_b32_e64 v6, 0, 1, s[6:7]
	v_cndmask_b32_e64 v7, 0, 1, s[4:5]
	v_lshlrev_b16_e32 v6, 8, v6
	v_lshlrev_b16_e32 v7, 8, v7
	v_cndmask_b32_e64 v10, 0, 1, vcc
	v_or_b32_e32 v6, v130, v6
	v_or_b32_sdwa v7, v10, v7 dst_sel:WORD_1 dst_unused:UNUSED_PAD src0_sel:DWORD src1_sel:DWORD
	v_add_u32_e32 v10, 3, v73
	v_or_b32_sdwa v84, v6, v7 dst_sel:DWORD dst_unused:UNUSED_PAD src0_sel:WORD_0 src1_sel:DWORD
	v_cmp_gt_u32_e32 vcc, s62, v10
	v_mov_b64_e32 v[10:11], 0
	v_and_b32_e32 v130, 0xffff, v84
	s_waitcnt lgkmcnt(0)
	v_mov_b32_e32 v6, v20
	v_mov_b32_e32 v7, v21
	s_mov_b64 s[4:5], 0
	v_mov_b32_e32 v129, 0
	v_mov_b32_e32 v124, 0
	;; [unrolled: 1-line block ×4, first 2 shown]
	v_mov_b64_e32 v[70:71], v[10:11]
	v_mov_b64_e32 v[78:79], v[10:11]
	;; [unrolled: 1-line block ×8, first 2 shown]
	v_mov_b32_e32 v126, 0
	v_mov_b64_e32 v[38:39], v[10:11]
	v_mov_b64_e32 v[50:51], v[10:11]
	;; [unrolled: 1-line block ×5, first 2 shown]
	v_mov_b32_e32 v125, 0
	v_mov_b64_e32 v[34:35], v[10:11]
	v_mov_b64_e32 v[14:15], v[10:11]
	;; [unrolled: 1-line block ×3, first 2 shown]
                                        ; implicit-def: $sgpr6_sgpr7
                                        ; implicit-def: $vgpr83
                                        ; implicit-def: $vgpr85
                                        ; implicit-def: $vgpr86
	s_and_saveexec_b64 s[18:19], vcc
	s_cbranch_execz .LBB72_125
; %bb.92:
	ds_read2_b64 v[26:29], v48 offset0:3 offset1:4
	v_add_u32_e32 v10, 4, v73
	v_cmp_gt_u32_e32 vcc, s62, v10
	v_mov_b64_e32 v[10:11], 0
	v_and_b32_e32 v130, 0xffffff, v84
	s_mov_b64 s[6:7], 0
	v_mov_b32_e32 v129, 0
	v_mov_b32_e32 v124, 0
	;; [unrolled: 1-line block ×4, first 2 shown]
	v_mov_b64_e32 v[70:71], v[10:11]
	v_mov_b64_e32 v[78:79], v[10:11]
	;; [unrolled: 1-line block ×8, first 2 shown]
	v_mov_b32_e32 v126, 0
	v_mov_b64_e32 v[38:39], v[10:11]
	v_mov_b64_e32 v[50:51], v[10:11]
	;; [unrolled: 1-line block ×5, first 2 shown]
	v_mov_b32_e32 v125, 0
	v_mov_b64_e32 v[34:35], v[10:11]
	v_mov_b64_e32 v[14:15], v[10:11]
                                        ; implicit-def: $sgpr8_sgpr9
                                        ; implicit-def: $vgpr83
                                        ; implicit-def: $vgpr85
                                        ; implicit-def: $vgpr86
	s_and_saveexec_b64 s[20:21], vcc
	s_cbranch_execz .LBB72_124
; %bb.93:
	v_add_u32_e32 v10, 5, v73
	v_cmp_gt_u32_e32 vcc, s62, v10
	v_mov_b64_e32 v[10:11], 0
	s_waitcnt lgkmcnt(0)
	v_mov_b32_e32 v14, v28
	v_mov_b32_e32 v15, v29
	;; [unrolled: 1-line block ×6, first 2 shown]
	v_mov_b64_e32 v[70:71], v[10:11]
	v_mov_b64_e32 v[78:79], v[10:11]
	;; [unrolled: 1-line block ×8, first 2 shown]
	v_mov_b32_e32 v126, 0
	v_mov_b64_e32 v[38:39], v[10:11]
	v_mov_b64_e32 v[50:51], v[10:11]
	v_mov_b64_e32 v[30:31], v[10:11]
	v_mov_b64_e32 v[42:43], v[10:11]
	v_mov_b64_e32 v[22:23], v[10:11]
	v_mov_b32_e32 v125, 0
	v_mov_b64_e32 v[34:35], v[10:11]
                                        ; implicit-def: $sgpr8_sgpr9
                                        ; implicit-def: $vgpr83
                                        ; implicit-def: $vgpr85
                                        ; implicit-def: $vgpr86
	s_and_saveexec_b64 s[22:23], vcc
	s_cbranch_execz .LBB72_123
; %bb.94:
	ds_read2_b64 v[34:37], v48 offset0:5 offset1:6
	v_add_u32_e32 v10, 6, v73
	v_cmp_ne_u32_e32 vcc, v32, v44
	s_mov_b64 s[28:29], 0
	v_mov_b32_e32 v129, 0
	v_cndmask_b32_e64 v125, 0, 1, vcc
	v_cmp_gt_u32_e32 vcc, s62, v10
	v_mov_b64_e32 v[10:11], 0
	v_mov_b32_e32 v124, 0
	v_mov_b32_e32 v128, 0
	;; [unrolled: 1-line block ×3, first 2 shown]
	v_mov_b64_e32 v[70:71], v[10:11]
	v_mov_b64_e32 v[78:79], v[10:11]
	;; [unrolled: 1-line block ×8, first 2 shown]
	v_mov_b32_e32 v126, 0
	v_mov_b64_e32 v[38:39], v[10:11]
	v_mov_b64_e32 v[50:51], v[10:11]
	v_mov_b64_e32 v[30:31], v[10:11]
	v_mov_b64_e32 v[42:43], v[10:11]
	v_mov_b64_e32 v[22:23], v[10:11]
                                        ; implicit-def: $sgpr6_sgpr7
                                        ; implicit-def: $vgpr83
                                        ; implicit-def: $vgpr85
                                        ; implicit-def: $vgpr86
	s_and_saveexec_b64 s[24:25], vcc
	s_cbranch_execz .LBB72_122
; %bb.95:
	v_add_u32_e32 v10, 7, v73
	v_cmp_ne_u32_e64 s[8:9], v44, v45
	s_waitcnt lgkmcnt(0)
	v_mov_b32_e32 v22, v36
	v_mov_b32_e32 v23, v37
	v_cndmask_b32_e64 v129, 0, 1, s[8:9]
	v_cmp_gt_u32_e64 s[8:9], s62, v10
	v_mov_b64_e32 v[10:11], 0
	v_cmp_ne_u32_e32 vcc, v40, v41
	v_cmp_ne_u32_e64 s[4:5], v41, v33
	v_cmp_ne_u32_e64 s[6:7], v45, v40
	s_mov_b64 s[30:31], 0
	v_mov_b32_e32 v128, 0
	v_mov_b32_e32 v124, 0
	;; [unrolled: 1-line block ×3, first 2 shown]
	v_mov_b64_e32 v[70:71], v[10:11]
	v_mov_b64_e32 v[78:79], v[10:11]
	;; [unrolled: 1-line block ×8, first 2 shown]
	v_mov_b32_e32 v126, 0
	v_mov_b64_e32 v[38:39], v[10:11]
	v_mov_b64_e32 v[50:51], v[10:11]
	;; [unrolled: 1-line block ×4, first 2 shown]
                                        ; implicit-def: $sgpr34_sgpr35
                                        ; implicit-def: $vgpr83
                                        ; implicit-def: $vgpr85
                                        ; implicit-def: $vgpr86
	s_and_saveexec_b64 s[26:27], s[8:9]
	s_cbranch_execz .LBB72_121
; %bb.96:
	v_cndmask_b32_e64 v10, 0, 1, s[6:7]
	v_cndmask_b32_e64 v11, 0, 1, s[4:5]
	v_lshlrev_b16_e32 v10, 8, v10
	v_lshlrev_b16_e32 v11, 8, v11
	v_cndmask_b32_e64 v20, 0, 1, vcc
	ds_read2_b64 v[42:45], v48 offset0:7 offset1:8
	v_or_b32_e32 v10, v129, v10
	v_or_b32_sdwa v11, v20, v11 dst_sel:WORD_1 dst_unused:UNUSED_PAD src0_sel:DWORD src1_sel:DWORD
	s_mov_b64 s[4:5], 0
	v_or_b32_sdwa v83, v10, v11 dst_sel:DWORD dst_unused:UNUSED_PAD src0_sel:WORD_0 src1_sel:DWORD
	v_add_u32_e32 v10, 8, v73
	v_cmp_gt_u32_e32 vcc, s62, v10
	v_mov_b64_e32 v[10:11], 0
	v_and_b32_e32 v129, 0xffff, v83
	v_mov_b32_e32 v128, 0
	v_mov_b32_e32 v124, 0
	;; [unrolled: 1-line block ×3, first 2 shown]
	v_mov_b64_e32 v[70:71], v[10:11]
	v_mov_b64_e32 v[78:79], v[10:11]
	;; [unrolled: 1-line block ×8, first 2 shown]
	v_mov_b32_e32 v126, 0
	v_mov_b64_e32 v[38:39], v[10:11]
	v_mov_b64_e32 v[50:51], v[10:11]
	;; [unrolled: 1-line block ×3, first 2 shown]
                                        ; implicit-def: $sgpr6_sgpr7
                                        ; implicit-def: $vgpr85
                                        ; implicit-def: $vgpr86
	s_and_saveexec_b64 s[28:29], vcc
	s_cbranch_execz .LBB72_120
; %bb.97:
	v_add_u32_e32 v10, 9, v73
	v_cmp_gt_u32_e32 vcc, s62, v10
	v_mov_b64_e32 v[10:11], 0
	s_waitcnt lgkmcnt(0)
	v_mov_b32_e32 v30, v44
	v_mov_b32_e32 v31, v45
	v_and_b32_e32 v129, 0xffffff, v83
	s_mov_b64 s[6:7], 0
	v_mov_b32_e32 v128, 0
	v_mov_b32_e32 v124, 0
	;; [unrolled: 1-line block ×3, first 2 shown]
	v_mov_b64_e32 v[70:71], v[10:11]
	v_mov_b64_e32 v[78:79], v[10:11]
	;; [unrolled: 1-line block ×8, first 2 shown]
	v_mov_b32_e32 v126, 0
	v_mov_b64_e32 v[38:39], v[10:11]
	v_mov_b64_e32 v[50:51], v[10:11]
                                        ; implicit-def: $sgpr8_sgpr9
                                        ; implicit-def: $vgpr85
                                        ; implicit-def: $vgpr86
	s_and_saveexec_b64 s[30:31], vcc
	s_cbranch_execz .LBB72_119
; %bb.98:
	ds_read2_b64 v[50:53], v48 offset0:9 offset1:10
	v_add_u32_e32 v10, 10, v73
	v_cmp_gt_u32_e32 vcc, s62, v10
	v_mov_b64_e32 v[10:11], 0
	v_mov_b32_e32 v128, 0
	v_mov_b32_e32 v124, 0
	;; [unrolled: 1-line block ×3, first 2 shown]
	v_mov_b64_e32 v[70:71], v[10:11]
	v_mov_b64_e32 v[78:79], v[10:11]
	;; [unrolled: 1-line block ×8, first 2 shown]
	v_mov_b32_e32 v126, 0
	v_mov_b64_e32 v[38:39], v[10:11]
                                        ; implicit-def: $sgpr8_sgpr9
                                        ; implicit-def: $vgpr85
                                        ; implicit-def: $vgpr86
	s_and_saveexec_b64 s[34:35], vcc
	s_cbranch_execz .LBB72_118
; %bb.99:
	v_add_u32_e32 v10, 11, v73
	v_cmp_ne_u32_e32 vcc, v33, v24
	s_waitcnt lgkmcnt(0)
	v_mov_b32_e32 v38, v52
	v_mov_b32_e32 v39, v53
	v_cndmask_b32_e64 v126, 0, 1, vcc
	v_cmp_gt_u32_e32 vcc, s62, v10
	v_mov_b64_e32 v[10:11], 0
	s_mov_b64 s[40:41], 0
	v_mov_b32_e32 v128, 0
	v_mov_b32_e32 v124, 0
	;; [unrolled: 1-line block ×3, first 2 shown]
	v_mov_b64_e32 v[70:71], v[10:11]
	v_mov_b64_e32 v[78:79], v[10:11]
	;; [unrolled: 1-line block ×8, first 2 shown]
                                        ; implicit-def: $sgpr6_sgpr7
                                        ; implicit-def: $vgpr85
                                        ; implicit-def: $vgpr86
	s_and_saveexec_b64 s[36:37], vcc
	s_cbranch_execz .LBB72_117
; %bb.100:
	ds_read2_b64 v[58:61], v48 offset0:11 offset1:12
	v_add_u32_e32 v10, 12, v73
	v_cmp_ne_u32_e64 s[8:9], v24, v25
	v_cmp_ne_u32_e32 vcc, v16, v17
	v_cmp_ne_u32_e64 s[4:5], v17, v72
	v_cndmask_b32_e64 v128, 0, 1, s[8:9]
	v_cmp_gt_u32_e64 s[8:9], s62, v10
	v_mov_b64_e32 v[10:11], 0
	v_cmp_ne_u32_e64 s[6:7], v25, v16
	s_mov_b64 s[42:43], 0
	v_mov_b32_e32 v127, 0
	v_mov_b32_e32 v124, 0
	v_mov_b64_e32 v[70:71], v[10:11]
	v_mov_b64_e32 v[78:79], v[10:11]
	;; [unrolled: 1-line block ×7, first 2 shown]
                                        ; implicit-def: $sgpr44_sgpr45
                                        ; implicit-def: $vgpr85
                                        ; implicit-def: $vgpr86
	s_and_saveexec_b64 s[38:39], s[8:9]
	s_cbranch_execz .LBB72_116
; %bb.101:
	v_cndmask_b32_e64 v10, 0, 1, s[6:7]
	v_cndmask_b32_e64 v11, 0, 1, s[4:5]
	v_lshlrev_b16_e32 v10, 8, v10
	v_lshlrev_b16_e32 v11, 8, v11
	v_cndmask_b32_e64 v16, 0, 1, vcc
	v_or_b32_e32 v10, v128, v10
	v_or_b32_sdwa v11, v16, v11 dst_sel:WORD_1 dst_unused:UNUSED_PAD src0_sel:DWORD src1_sel:DWORD
	s_waitcnt lgkmcnt(0)
	v_mov_b32_e32 v46, v60
	v_or_b32_sdwa v85, v10, v11 dst_sel:DWORD dst_unused:UNUSED_PAD src0_sel:WORD_0 src1_sel:DWORD
	v_add_u32_e32 v10, 13, v73
	v_cmp_gt_u32_e32 vcc, s62, v10
	v_mov_b64_e32 v[10:11], 0
	v_and_b32_e32 v128, 0xffff, v85
	v_mov_b32_e32 v47, v61
	s_mov_b64 s[4:5], 0
	v_mov_b32_e32 v127, 0
	v_mov_b32_e32 v124, 0
	v_mov_b64_e32 v[70:71], v[10:11]
	v_mov_b64_e32 v[78:79], v[10:11]
	;; [unrolled: 1-line block ×6, first 2 shown]
                                        ; implicit-def: $sgpr6_sgpr7
                                        ; implicit-def: $vgpr86
	s_and_saveexec_b64 s[40:41], vcc
	s_cbranch_execz .LBB72_115
; %bb.102:
	ds_read2_b64 v[66:69], v48 offset0:13 offset1:14
	v_add_u32_e32 v10, 14, v73
	v_cmp_gt_u32_e32 vcc, s62, v10
	v_mov_b64_e32 v[10:11], 0
	s_mov_b64 s[68:69], s[64:65]
	v_and_b32_e32 v128, 0xffffff, v85
	s_mov_b64 s[6:7], 0
	v_mov_b32_e32 v127, 0
	v_mov_b32_e32 v124, 0
	v_mov_b64_e32 v[70:71], v[10:11]
	v_mov_b64_e32 v[78:79], v[10:11]
	;; [unrolled: 1-line block ×5, first 2 shown]
                                        ; implicit-def: $sgpr8_sgpr9
                                        ; implicit-def: $vgpr86
	s_and_saveexec_b64 s[42:43], vcc
	s_cbranch_execz .LBB72_114
; %bb.103:
	v_add_u32_e32 v10, 15, v73
	v_cmp_gt_u32_e32 vcc, s62, v10
	v_mov_b64_e32 v[10:11], 0
	s_waitcnt lgkmcnt(0)
	v_mov_b32_e32 v54, v68
	v_mov_b32_e32 v55, v69
	;; [unrolled: 1-line block ×4, first 2 shown]
	v_mov_b64_e32 v[70:71], v[10:11]
	v_mov_b64_e32 v[78:79], v[10:11]
	;; [unrolled: 1-line block ×4, first 2 shown]
                                        ; implicit-def: $sgpr8_sgpr9
                                        ; implicit-def: $vgpr86
	s_and_saveexec_b64 s[44:45], vcc
	s_cbranch_execz .LBB72_113
; %bb.104:
	ds_read2_b64 v[74:77], v48 offset0:15 offset1:16
	v_add_u32_e32 v10, 16, v73
	v_cmp_ne_u32_e32 vcc, v72, v12
	s_mov_b64 s[56:57], 0
	v_mov_b32_e32 v127, 0
	v_cndmask_b32_e64 v124, 0, 1, vcc
	v_cmp_gt_u32_e32 vcc, s62, v10
	v_mov_b64_e32 v[10:11], 0
	v_mov_b64_e32 v[70:71], v[10:11]
	;; [unrolled: 1-line block ×4, first 2 shown]
                                        ; implicit-def: $sgpr6_sgpr7
                                        ; implicit-def: $vgpr86
	s_and_saveexec_b64 s[46:47], vcc
	s_cbranch_execz .LBB72_112
; %bb.105:
	v_add_u32_e32 v10, 17, v73
	v_cmp_ne_u32_e64 s[8:9], v12, v13
	s_waitcnt lgkmcnt(0)
	v_mov_b32_e32 v62, v76
	v_mov_b32_e32 v63, v77
	v_cndmask_b32_e64 v127, 0, 1, s[8:9]
	v_cmp_gt_u32_e64 s[8:9], s62, v10
	v_mov_b64_e32 v[10:11], 0
	v_cmp_ne_u32_e32 vcc, v8, v9
	v_cmp_ne_u32_e64 s[4:5], v9, v4
	v_cmp_ne_u32_e64 s[6:7], v13, v8
	s_mov_b64 s[58:59], 0
	v_mov_b64_e32 v[70:71], v[10:11]
	v_mov_b64_e32 v[78:79], v[10:11]
                                        ; implicit-def: $sgpr60_sgpr61
                                        ; implicit-def: $vgpr86
	s_and_saveexec_b64 s[50:51], s[8:9]
	s_cbranch_execz .LBB72_111
; %bb.106:
	v_cndmask_b32_e64 v8, 0, 1, s[6:7]
	v_cndmask_b32_e64 v9, 0, 1, s[4:5]
	ds_read2_b64 v[78:81], v48 offset0:17 offset1:18
	v_lshlrev_b16_e32 v8, 8, v8
	v_lshlrev_b16_e32 v9, 8, v9
	v_cndmask_b32_e64 v10, 0, 1, vcc
	v_or_b32_e32 v8, v127, v8
	v_or_b32_sdwa v9, v10, v9 dst_sel:WORD_1 dst_unused:UNUSED_PAD src0_sel:DWORD src1_sel:DWORD
	v_mov_b64_e32 v[10:11], 0
	v_or_b32_sdwa v86, v8, v9 dst_sel:DWORD dst_unused:UNUSED_PAD src0_sel:WORD_0 src1_sel:DWORD
	v_add_u32_e32 v8, 18, v73
	v_and_b32_e32 v127, 0xffff, v86
	v_cmp_gt_u32_e32 vcc, s62, v8
	s_mov_b64 s[4:5], 0
	v_mov_b64_e32 v[70:71], v[10:11]
                                        ; implicit-def: $sgpr8_sgpr9
	s_and_saveexec_b64 s[6:7], vcc
	s_cbranch_execz .LBB72_110
; %bb.107:
	v_add_u32_e32 v8, 19, v73
	s_waitcnt lgkmcnt(0)
	v_mov_b32_e32 v70, v80
	v_mov_b32_e32 v71, v81
	v_cmp_gt_u32_e32 vcc, s62, v8
	v_and_b32_e32 v127, 0xffffff, v86
	v_mov_b64_e32 v[10:11], 0
                                        ; implicit-def: $sgpr8_sgpr9
	s_and_saveexec_b64 s[56:57], vcc
	s_xor_b64 s[56:57], exec, s[56:57]
	s_cbranch_execz .LBB72_109
; %bb.108:
	ds_read2_b64 v[10:13], v48 offset0:19 offset1:20
	v_add_u32_e32 v8, 20, v73
	v_cmp_ne_u32_e32 vcc, v4, v5
	v_cmp_gt_u32_e64 s[4:5], s62, v8
	s_and_b64 s[8:9], vcc, exec
	s_and_b64 s[4:5], s[4:5], exec
	s_waitcnt lgkmcnt(0)
	v_mov_b64_e32 v[72:73], v[10:11]
	v_mov_b32_e32 v127, v86
.LBB72_109:
	s_or_b64 exec, exec, s[56:57]
	s_and_b64 s[8:9], s[8:9], exec
	s_and_b64 s[58:59], s[4:5], exec
.LBB72_110:
	s_or_b64 exec, exec, s[6:7]
	s_and_b64 s[60:61], s[8:9], exec
	s_and_b64 s[56:57], s[58:59], exec
	s_waitcnt lgkmcnt(0)
	v_mov_b64_e32 v[64:65], v[78:79]
	v_mov_b64_e32 v[56:57], v[74:75]
	;; [unrolled: 1-line block ×9, first 2 shown]
.LBB72_111:
	s_or_b64 exec, exec, s[50:51]
	s_and_b64 s[6:7], s[60:61], exec
	s_and_b64 s[4:5], s[56:57], exec
.LBB72_112:
	s_or_b64 exec, exec, s[46:47]
	s_and_b64 s[8:9], s[6:7], exec
	s_and_b64 s[6:7], s[4:5], exec
.LBB72_113:
	s_or_b64 exec, exec, s[44:45]
	s_and_b64 s[8:9], s[8:9], exec
	s_and_b64 s[4:5], s[6:7], exec
	v_mov_b32_e32 v128, v85
.LBB72_114:
	s_or_b64 exec, exec, s[42:43]
	s_and_b64 s[6:7], s[8:9], exec
	s_and_b64 s[42:43], s[4:5], exec
	s_mov_b64 s[64:65], s[68:69]
.LBB72_115:
	s_or_b64 exec, exec, s[40:41]
	s_and_b64 s[44:45], s[6:7], exec
	s_and_b64 s[40:41], s[42:43], exec
.LBB72_116:
	s_or_b64 exec, exec, s[38:39]
	s_and_b64 s[6:7], s[44:45], exec
	s_and_b64 s[4:5], s[40:41], exec
.LBB72_117:
	s_or_b64 exec, exec, s[36:37]
	s_and_b64 s[8:9], s[6:7], exec
	s_and_b64 s[6:7], s[4:5], exec
.LBB72_118:
	s_or_b64 exec, exec, s[34:35]
	s_and_b64 s[8:9], s[8:9], exec
	s_and_b64 s[4:5], s[6:7], exec
	v_mov_b32_e32 v129, v83
.LBB72_119:
	s_or_b64 exec, exec, s[30:31]
	s_and_b64 s[6:7], s[8:9], exec
	s_and_b64 s[30:31], s[4:5], exec
.LBB72_120:
	s_or_b64 exec, exec, s[28:29]
	s_and_b64 s[34:35], s[6:7], exec
	s_and_b64 s[28:29], s[30:31], exec
.LBB72_121:
	s_or_b64 exec, exec, s[26:27]
	s_and_b64 s[6:7], s[34:35], exec
	s_and_b64 s[4:5], s[28:29], exec
.LBB72_122:
	s_or_b64 exec, exec, s[24:25]
	s_and_b64 s[8:9], s[6:7], exec
	s_and_b64 s[6:7], s[4:5], exec
.LBB72_123:
	s_or_b64 exec, exec, s[22:23]
	s_and_b64 s[8:9], s[8:9], exec
	s_and_b64 s[4:5], s[6:7], exec
	v_mov_b32_e32 v130, v84
.LBB72_124:
	s_or_b64 exec, exec, s[20:21]
	s_and_b64 s[6:7], s[8:9], exec
	s_and_b64 s[20:21], s[4:5], exec
.LBB72_125:
	s_or_b64 exec, exec, s[18:19]
	s_and_b64 s[22:23], s[6:7], exec
	s_and_b64 s[18:19], s[20:21], exec
.LBB72_126:
	s_or_b64 exec, exec, s[16:17]
	s_and_b64 s[6:7], s[22:23], exec
	s_and_b64 s[4:5], s[18:19], exec
.LBB72_127:
	s_or_b64 exec, exec, s[14:15]
	s_and_b64 s[6:7], s[6:7], exec
	s_and_b64 s[8:9], s[4:5], exec
.LBB72_128:
	s_or_b64 exec, exec, s[12:13]
	s_mov_b64 s[12:13], 0
	s_and_b64 vcc, exec, s[10:11]
	v_cmp_ne_u32_e64 s[4:5], 0, v0
	s_cbranch_vccz .LBB72_132
.LBB72_129:
	v_mov_b32_e32 v83, 0
	s_waitcnt lgkmcnt(0)
	v_lshl_add_u64 v[2:3], s[54:55], 0, v[82:83]
	v_add_co_u32_e32 v4, vcc, 0x1000, v2
	global_load_dword v1, v82, s[54:55]
	global_load_dword v8, v82, s[54:55] offset:1024
	global_load_dword v9, v82, s[54:55] offset:2048
	;; [unrolled: 1-line block ×3, first 2 shown]
	v_addc_co_u32_e32 v5, vcc, 0, v3, vcc
	v_add_co_u32_e32 v6, vcc, 0x2000, v2
	s_movk_i32 s7, 0x50
	s_nop 0
	v_addc_co_u32_e32 v7, vcc, 0, v3, vcc
	global_load_dword v11, v[4:5], off
	global_load_dword v12, v[4:5], off offset:1024
	global_load_dword v13, v[4:5], off offset:2048
	;; [unrolled: 1-line block ×3, first 2 shown]
	global_load_dword v15, v[6:7], off
	global_load_dword v16, v[6:7], off offset:1024
	global_load_dword v17, v[6:7], off offset:2048
	;; [unrolled: 1-line block ×3, first 2 shown]
	v_add_co_u32_e32 v4, vcc, 0x3000, v2
	s_sub_u32 s6, 0, s2
	s_nop 0
	v_addc_co_u32_e32 v5, vcc, 0, v3, vcc
	v_add_co_u32_e32 v6, vcc, 0x4000, v2
	v_mad_u32_u24 v28, v0, s7, v82
	s_nop 0
	v_addc_co_u32_e32 v7, vcc, 0, v3, vcc
	global_load_dword v19, v[4:5], off
	global_load_dword v20, v[4:5], off offset:1024
	global_load_dword v21, v[4:5], off offset:2048
	;; [unrolled: 1-line block ×3, first 2 shown]
	global_load_dword v24, v[6:7], off
	global_load_dword v25, v[6:7], off offset:1024
	global_load_dword v26, v[6:7], off offset:2048
	;; [unrolled: 1-line block ×3, first 2 shown]
	v_add_co_u32_e32 v2, vcc, 0x5000, v2
	s_subb_u32 s7, 0, 0
	s_nop 0
	v_addc_co_u32_e32 v3, vcc, 0, v3, vcc
	global_load_dword v2, v[2:3], off
	s_cmp_eq_u64 s[6:7], s[48:49]
	s_cselect_b32 s6, 0, -4
	s_cselect_b32 s7, 0, -1
	s_add_u32 s6, s54, s6
	s_addc_u32 s7, s55, s7
	s_movk_i32 s12, 0xffb0
	s_movk_i32 s11, 0x1000
	;; [unrolled: 1-line block ×6, first 2 shown]
	v_mad_i32_i24 v22, v0, s12, v28
	s_waitcnt vmcnt(19)
	ds_write2st64_b32 v82, v1, v8 offset1:4
	s_waitcnt vmcnt(17)
	ds_write2st64_b32 v82, v9, v10 offset0:8 offset1:12
	s_waitcnt vmcnt(15)
	ds_write2st64_b32 v82, v11, v12 offset0:16 offset1:20
	;; [unrolled: 2-line block ×9, first 2 shown]
	s_waitcnt vmcnt(0)
	ds_write_b32 v82, v2 offset:20480
	s_waitcnt lgkmcnt(0)
	s_barrier
	s_load_dword s6, s[6:7], 0x0
	ds_read2_b32 v[2:3], v28 offset0:4 offset1:9
	ds_read2_b32 v[20:21], v28 offset0:19 offset1:20
	;; [unrolled: 1-line block ×4, first 2 shown]
	ds_read_b32 v23, v28 offset:56
	ds_read2_b32 v[14:15], v28 offset0:12 offset1:13
	ds_read2_b32 v[12:13], v28 offset0:10 offset1:11
	;; [unrolled: 1-line block ×5, first 2 shown]
	ds_read2_b32 v[10:11], v28 offset1:1
	s_waitcnt lgkmcnt(0)
	ds_write_b32 v22, v21 offset:21504
	s_waitcnt lgkmcnt(0)
	v_mov_b32_e32 v1, s6
	s_barrier
	s_and_saveexec_b64 s[6:7], s[4:5]
	s_cbranch_execz .LBB72_131
; %bb.130:
	ds_read_b32 v1, v22 offset:21500
.LBB72_131:
	s_or_b64 exec, exec, s[6:7]
	v_lshlrev_b32_e32 v82, 3, v0
	v_lshl_add_u64 v[24:25], s[52:53], 0, v[82:83]
	v_add_co_u32_e32 v26, vcc, s11, v24
	s_waitcnt lgkmcnt(0)
	s_nop 0
	v_addc_co_u32_e32 v27, vcc, 0, v25, vcc
	v_add_co_u32_e32 v28, vcc, s10, v24
	s_barrier
	s_nop 0
	v_addc_co_u32_e32 v29, vcc, 0, v25, vcc
	v_add_co_u32_e32 v36, vcc, s9, v24
	s_nop 1
	v_addc_co_u32_e32 v37, vcc, 0, v25, vcc
	v_add_co_u32_e32 v38, vcc, s8, v24
	global_load_dwordx2 v[30:31], v82, s[52:53]
	global_load_dwordx2 v[32:33], v82, s[52:53] offset:2048
	global_load_dwordx2 v[34:35], v[28:29], off offset:-4096
	v_addc_co_u32_e32 v39, vcc, 0, v25, vcc
	global_load_dwordx2 v[40:41], v[28:29], off
	global_load_dwordx2 v[42:43], v[28:29], off offset:2048
	global_load_dwordx2 v[44:45], v[38:39], off offset:-4096
	global_load_dwordx2 v[46:47], v[38:39], off
	v_add_co_u32_e32 v28, vcc, s3, v24
	s_movk_i32 s3, 0x6000
	s_nop 0
	v_addc_co_u32_e32 v29, vcc, 0, v25, vcc
	v_add_co_u32_e32 v48, vcc, s3, v24
	s_movk_i32 s3, 0x7000
	s_nop 0
	v_addc_co_u32_e32 v49, vcc, 0, v25, vcc
	global_load_dwordx2 v[50:51], v[38:39], off offset:2048
	global_load_dwordx2 v[52:53], v[48:49], off offset:-4096
	global_load_dwordx2 v[54:55], v[48:49], off
	global_load_dwordx2 v[56:57], v[48:49], off offset:2048
	v_add_co_u32_e32 v38, vcc, s3, v24
	s_mov_b32 s3, 0x8000
	s_nop 0
	v_addc_co_u32_e32 v39, vcc, 0, v25, vcc
	v_add_co_u32_e32 v48, vcc, s3, v24
	s_mov_b32 s3, 0x9000
	s_nop 0
	v_addc_co_u32_e32 v49, vcc, 0, v25, vcc
	global_load_dwordx2 v[58:59], v[26:27], off offset:2048
	global_load_dwordx2 v[60:61], v[36:37], off offset:2048
	;; [unrolled: 1-line block ×4, first 2 shown]
	v_add_co_u32_e32 v26, vcc, s3, v24
	s_mov_b32 s3, 0xa000
	s_nop 0
	v_addc_co_u32_e32 v27, vcc, 0, v25, vcc
	v_add_co_u32_e32 v24, vcc, s3, v24
	v_cmp_ne_u32_e64 s[6:7], v20, v21
	s_nop 0
	v_addc_co_u32_e32 v25, vcc, 0, v25, vcc
	global_load_dwordx2 v[28:29], v[48:49], off offset:-4096
	global_load_dwordx2 v[36:37], v[48:49], off
	global_load_dwordx2 v[38:39], v[48:49], off offset:2048
	global_load_dwordx2 v[66:67], v[24:25], off offset:-4096
	global_load_dwordx2 v[68:69], v[26:27], off offset:2048
	global_load_dwordx2 v[70:71], v[24:25], off
	v_cmp_ne_u32_e32 vcc, v17, v18
	s_movk_i32 s3, 0xa0
	s_mov_b64 s[8:9], -1
	v_cndmask_b32_e64 v21, 0, 1, vcc
	v_cmp_ne_u32_e32 vcc, v16, v17
	v_lshlrev_b16_e32 v21, 8, v21
                                        ; implicit-def: $vgpr130
                                        ; implicit-def: $vgpr129
                                        ; implicit-def: $vgpr128
                                        ; implicit-def: $vgpr127
                                        ; implicit-def: $sgpr12_sgpr13
                                        ; implicit-def: $vgpr78_vgpr79
                                        ; implicit-def: $vgpr74_vgpr75
                                        ; implicit-def: $vgpr26_vgpr27
	s_nop 0
	v_cndmask_b32_e64 v17, 0, 1, vcc
	v_cmp_ne_u32_e32 vcc, v19, v20
	v_or_b32_e32 v17, v17, v21
	s_nop 0
	v_cndmask_b32_e64 v20, 0, 1, vcc
	v_cmp_ne_u32_e32 vcc, v18, v19
	v_lshlrev_b16_e32 v20, 8, v20
	s_nop 0
	v_cndmask_b32_e64 v18, 0, 1, vcc
	v_cmp_ne_u32_e32 vcc, v23, v16
	v_or_b32_sdwa v18, v18, v20 dst_sel:WORD_1 dst_unused:UNUSED_PAD src0_sel:DWORD src1_sel:DWORD
	s_nop 0
	v_cndmask_b32_e64 v124, 0, 1, vcc
	v_cmp_ne_u32_e32 vcc, v13, v14
	v_or_b32_sdwa v86, v17, v18 dst_sel:DWORD dst_unused:UNUSED_PAD src0_sel:WORD_0 src1_sel:DWORD
	s_nop 0
	v_cndmask_b32_e64 v16, 0, 1, vcc
	v_cmp_ne_u32_e32 vcc, v12, v13
	v_lshlrev_b16_e32 v16, 8, v16
	s_nop 0
	v_cndmask_b32_e64 v13, 0, 1, vcc
	v_cmp_ne_u32_e32 vcc, v15, v23
	v_or_b32_e32 v13, v13, v16
	s_nop 0
	v_cndmask_b32_e64 v16, 0, 1, vcc
	v_cmp_ne_u32_e32 vcc, v14, v15
	v_lshlrev_b16_e32 v16, 8, v16
	s_nop 0
	v_cndmask_b32_e64 v14, 0, 1, vcc
	v_cmp_ne_u32_e32 vcc, v3, v12
	v_or_b32_sdwa v14, v14, v16 dst_sel:WORD_1 dst_unused:UNUSED_PAD src0_sel:DWORD src1_sel:DWORD
	s_nop 0
	v_cndmask_b32_e64 v126, 0, 1, vcc
	v_cmp_ne_u32_e32 vcc, v7, v8
	v_or_b32_sdwa v85, v13, v14 dst_sel:DWORD dst_unused:UNUSED_PAD src0_sel:WORD_0 src1_sel:DWORD
	s_nop 0
	v_cndmask_b32_e64 v12, 0, 1, vcc
	v_cmp_ne_u32_e32 vcc, v6, v7
	v_lshlrev_b16_e32 v12, 8, v12
	;; [unrolled: 20-line block ×3, first 2 shown]
	s_nop 0
	v_cndmask_b32_e64 v6, 0, 1, vcc
	v_cmp_ne_u32_e32 vcc, v5, v2
	v_or_b32_e32 v11, v6, v3
	s_nop 0
	v_cndmask_b32_e64 v2, 0, 1, vcc
	v_cmp_ne_u32_e32 vcc, v4, v5
	v_lshlrev_b16_e32 v2, 8, v2
	s_nop 0
	v_cndmask_b32_e64 v3, 0, 1, vcc
	v_or_b32_sdwa v18, v3, v2 dst_sel:WORD_1 dst_unused:UNUSED_PAD src0_sel:DWORD src1_sel:DWORD
	v_lshl_add_u32 v2, v0, 2, v22
	v_mad_u32_u24 v12, v0, s3, v2
	s_waitcnt vmcnt(19)
	ds_write2st64_b64 v2, v[30:31], v[32:33] offset1:4
	s_waitcnt vmcnt(9)
	ds_write2st64_b64 v2, v[34:35], v[58:59] offset0:8 offset1:12
	ds_write2st64_b64 v2, v[40:41], v[42:43] offset0:16 offset1:20
	s_waitcnt vmcnt(8)
	ds_write2st64_b64 v2, v[44:45], v[60:61] offset0:24 offset1:28
	ds_write2st64_b64 v2, v[46:47], v[50:51] offset0:32 offset1:36
	;; [unrolled: 3-line block ×3, first 2 shown]
	s_waitcnt vmcnt(5)
	ds_write2st64_b64 v2, v[28:29], v[64:65] offset0:56 offset1:60
	s_waitcnt vmcnt(3)
	ds_write2st64_b64 v2, v[36:37], v[38:39] offset0:64 offset1:68
	;; [unrolled: 2-line block ×3, first 2 shown]
	s_waitcnt vmcnt(0)
	ds_write_b64 v2, v[70:71] offset:40960
	s_waitcnt lgkmcnt(0)
	s_barrier
	ds_read2_b64 v[2:5], v12 offset1:1
	ds_read2_b64 v[6:9], v12 offset0:2 offset1:3
	ds_read2_b64 v[14:17], v12 offset0:4 offset1:5
	;; [unrolled: 1-line block ×9, first 2 shown]
	ds_read_b64 v[12:13], v12 offset:160
	v_cmp_ne_u32_e32 vcc, v1, v10
	v_or_b32_sdwa v84, v11, v18 dst_sel:DWORD dst_unused:UNUSED_PAD src0_sel:WORD_0 src1_sel:DWORD
                                        ; implicit-def: $sgpr3
                                        ; implicit-def: $vgpr66_vgpr67
                                        ; implicit-def: $vgpr58_vgpr59
                                        ; implicit-def: $vgpr50_vgpr51
                                        ; implicit-def: $vgpr42_vgpr43
                                        ; implicit-def: $vgpr34_vgpr35
                                        ; implicit-def: $vgpr18_vgpr19
	s_nop 0
	v_cndmask_b32_e64 v1, 0, 1, vcc
.LBB72_132:
	s_waitcnt lgkmcnt(0)
	v_mov_b64_e32 v[20:21], s[12:13]
	v_mov_b32_e32 v36, s3
	s_and_saveexec_b64 s[4:5], s[8:9]
	s_cbranch_execz .LBB72_134
; %bb.133:
	v_cndmask_b32_e64 v36, 0, 1, s[6:7]
	v_mov_b64_e32 v[18:19], v[4:5]
	v_mov_b64_e32 v[26:27], v[8:9]
	;; [unrolled: 1-line block ×11, first 2 shown]
	v_mov_b32_e32 v127, v86
	v_mov_b32_e32 v128, v85
	;; [unrolled: 1-line block ×4, first 2 shown]
.LBB72_134:
	s_or_b64 exec, exec, s[4:5]
	v_and_b32_e32 v133, 1, v125
	v_and_b32_e32 v131, 1, v126
	;; [unrolled: 1-line block ×4, first 2 shown]
	s_cmp_lg_u32 s2, 0
	v_lshrrev_b32_e32 v134, 8, v130
	v_cmp_eq_u32_e32 vcc, 1, v133
	v_lshrrev_b32_e32 v132, 8, v129
	v_cmp_eq_u32_e64 s[48:49], 1, v131
	v_lshrrev_b32_e32 v41, 8, v128
	v_cmp_eq_u32_e64 s[50:51], 1, v37
	;; [unrolled: 2-line block ×3, first 2 shown]
	v_mbcnt_lo_u32_b32 v32, -1, 0
	s_barrier
	s_cbranch_scc0 .LBB72_203
; %bb.135:
	v_mov_b32_e32 v8, 0
                                        ; implicit-def: $vgpr135 : SGPR spill to VGPR lane
	v_cmp_eq_u16_sdwa s[4:5], v130, v8 src0_sel:BYTE_0 src1_sel:DWORD
	v_cmp_lt_u64_e64 s[6:7], v[2:3], v[18:19]
	v_writelane_b32 v135, s0, 0
	v_and_b32_e32 v4, 1, v1
	s_and_b64 s[6:7], s[4:5], s[6:7]
	v_writelane_b32 v135, s1, 1
	v_cmp_eq_u32_e64 s[0:1], 1, v4
	v_cndmask_b32_e64 v5, v19, v3, s[6:7]
	v_cndmask_b32_e64 v4, v18, v2, s[6:7]
	v_and_b32_e32 v9, 1, v130
	v_cmp_eq_u16_sdwa s[6:7], v134, v8 src0_sel:BYTE_0 src1_sel:DWORD
	v_cmp_lt_u64_e64 s[8:9], v[4:5], v[6:7]
	s_movk_i32 s3, 0xff
	v_cmp_eq_u32_e64 s[52:53], 1, v9
	s_and_b64 s[8:9], s[6:7], s[8:9]
	v_and_b32_e32 v9, 0x100, v130
	v_cndmask_b32_e64 v5, v7, v5, s[8:9]
	v_cndmask_b32_e64 v4, v6, v4, s[8:9]
	v_cmp_ne_u32_e64 s[56:57], 0, v9
	v_and_b32_sdwa v9, v130, s3 dst_sel:DWORD dst_unused:UNUSED_PAD src0_sel:WORD_1 src1_sel:DWORD
	v_cmp_eq_u16_e64 s[8:9], 0, v9
	v_cmp_lt_u64_e64 s[10:11], v[4:5], v[26:27]
	s_and_b64 s[10:11], s[8:9], s[10:11]
	v_cmp_eq_u16_sdwa s[14:15], v125, v8 src0_sel:BYTE_0 src1_sel:DWORD
	v_cndmask_b32_e64 v5, v27, v5, s[10:11]
	v_cndmask_b32_e64 v4, v26, v4, s[10:11]
	v_cmp_eq_u16_sdwa s[10:11], v130, v8 src0_sel:BYTE_3 src1_sel:DWORD
	v_cmp_lt_u64_e64 s[12:13], v[4:5], v[14:15]
	s_and_b64 s[12:13], s[10:11], s[12:13]
	v_and_b32_e32 v9, 0x10000, v130
	v_cndmask_b32_e64 v5, v15, v5, s[12:13]
	v_cndmask_b32_e64 v4, v14, v4, s[12:13]
	v_cmp_lt_u64_e64 s[12:13], v[4:5], v[34:35]
	s_and_b64 s[12:13], s[14:15], s[12:13]
	v_cmp_ne_u32_e64 s[58:59], 0, v9
	v_cndmask_b32_e64 v5, v35, v5, s[12:13]
	v_cndmask_b32_e64 v4, v34, v4, s[12:13]
	v_cmp_eq_u16_sdwa s[12:13], v129, v8 src0_sel:BYTE_0 src1_sel:DWORD
	v_cmp_lt_u64_e64 s[16:17], v[4:5], v[22:23]
	s_and_b64 s[16:17], s[12:13], s[16:17]
	v_and_b32_e32 v9, 0x1000000, v130
	v_cndmask_b32_e64 v5, v23, v5, s[16:17]
	v_cndmask_b32_e64 v4, v22, v4, s[16:17]
	v_cmp_ne_u32_e64 s[60:61], 0, v9
	v_and_b32_e32 v9, 1, v129
	v_cmp_eq_u16_sdwa s[16:17], v132, v8 src0_sel:BYTE_0 src1_sel:DWORD
	v_cmp_lt_u64_e64 s[18:19], v[4:5], v[42:43]
	v_cmp_eq_u32_e64 s[62:63], 1, v9
	s_and_b64 s[18:19], s[16:17], s[18:19]
	v_and_b32_e32 v9, 0x100, v129
	s_mov_b64 s[46:47], s[64:65]
	v_cndmask_b32_e64 v5, v43, v5, s[18:19]
	v_cndmask_b32_e64 v4, v42, v4, s[18:19]
	v_cmp_ne_u32_e64 s[64:65], 0, v9
	v_and_b32_sdwa v9, v129, s3 dst_sel:DWORD dst_unused:UNUSED_PAD src0_sel:WORD_1 src1_sel:DWORD
	v_cmp_eq_u16_e64 s[18:19], 0, v9
	v_cmp_lt_u64_e64 s[20:21], v[4:5], v[30:31]
	s_and_b64 s[20:21], s[18:19], s[20:21]
	v_cmp_eq_u16_sdwa s[24:25], v126, v8 src0_sel:BYTE_0 src1_sel:DWORD
	v_cndmask_b32_e64 v5, v31, v5, s[20:21]
	v_cndmask_b32_e64 v4, v30, v4, s[20:21]
	v_cmp_eq_u16_sdwa s[20:21], v129, v8 src0_sel:BYTE_3 src1_sel:DWORD
	v_cmp_lt_u64_e64 s[22:23], v[4:5], v[50:51]
	s_and_b64 s[22:23], s[20:21], s[22:23]
	v_and_b32_e32 v9, 0x10000, v129
	v_cndmask_b32_e64 v5, v51, v5, s[22:23]
	v_cndmask_b32_e64 v4, v50, v4, s[22:23]
	v_cmp_lt_u64_e64 s[22:23], v[4:5], v[38:39]
	s_and_b64 s[22:23], s[24:25], s[22:23]
	v_cmp_ne_u32_e64 s[66:67], 0, v9
	v_cndmask_b32_e64 v5, v39, v5, s[22:23]
	v_cndmask_b32_e64 v4, v38, v4, s[22:23]
	v_cmp_eq_u16_sdwa s[22:23], v128, v8 src0_sel:BYTE_0 src1_sel:DWORD
	v_cmp_lt_u64_e64 s[26:27], v[4:5], v[58:59]
	s_and_b64 s[26:27], s[22:23], s[26:27]
	v_and_b32_e32 v9, 0x1000000, v129
	v_cndmask_b32_e64 v5, v59, v5, s[26:27]
	v_cndmask_b32_e64 v4, v58, v4, s[26:27]
	v_cmp_ne_u32_e64 s[68:69], 0, v9
	v_and_b32_e32 v9, 1, v128
	v_cmp_eq_u16_sdwa s[26:27], v41, v8 src0_sel:BYTE_0 src1_sel:DWORD
	v_cmp_lt_u64_e64 s[28:29], v[4:5], v[46:47]
	v_cmp_eq_u32_e64 s[72:73], 1, v9
	s_and_b64 s[28:29], s[26:27], s[28:29]
	v_and_b32_e32 v9, 0x100, v128
	v_cndmask_b32_e64 v5, v47, v5, s[28:29]
	v_cndmask_b32_e64 v4, v46, v4, s[28:29]
	v_cmp_ne_u32_e64 s[74:75], 0, v9
	v_and_b32_sdwa v9, v128, s3 dst_sel:DWORD dst_unused:UNUSED_PAD src0_sel:WORD_1 src1_sel:DWORD
	v_cmp_eq_u16_e64 s[28:29], 0, v9
	v_cmp_lt_u64_e64 s[30:31], v[4:5], v[66:67]
	s_and_b64 s[30:31], s[28:29], s[30:31]
	v_cmp_eq_u16_sdwa s[36:37], v124, v8 src0_sel:BYTE_0 src1_sel:DWORD
	v_cndmask_b32_e64 v5, v67, v5, s[30:31]
	v_cndmask_b32_e64 v4, v66, v4, s[30:31]
	v_cmp_eq_u16_sdwa s[30:31], v128, v8 src0_sel:BYTE_3 src1_sel:DWORD
	v_cmp_lt_u64_e64 s[34:35], v[4:5], v[54:55]
	s_and_b64 s[34:35], s[30:31], s[34:35]
	v_and_b32_e32 v9, 0x10000, v128
	v_cndmask_b32_e64 v5, v55, v5, s[34:35]
	v_cndmask_b32_e64 v4, v54, v4, s[34:35]
	v_cmp_lt_u64_e64 s[34:35], v[4:5], v[74:75]
	s_and_b64 s[34:35], s[36:37], s[34:35]
	v_cmp_ne_u32_e64 s[76:77], 0, v9
	v_cndmask_b32_e64 v5, v75, v5, s[34:35]
	v_cndmask_b32_e64 v4, v74, v4, s[34:35]
	v_cmp_eq_u16_sdwa s[34:35], v127, v8 src0_sel:BYTE_0 src1_sel:DWORD
	v_cmp_lt_u64_e64 s[38:39], v[4:5], v[62:63]
	v_and_b32_e32 v9, 0x1000000, v128
	s_and_b64 s[38:39], s[34:35], s[38:39]
	v_cmp_ne_u32_e64 s[78:79], 0, v9
	v_cndmask_b32_e64 v5, v63, v5, s[38:39]
	v_cndmask_b32_e64 v4, v62, v4, s[38:39]
	v_and_b32_e32 v9, 1, v127
	v_cmp_eq_u32_e64 s[80:81], 1, v9
	v_cmp_eq_u16_sdwa s[38:39], v40, v8 src0_sel:BYTE_0 src1_sel:DWORD
	v_cmp_lt_u64_e64 s[40:41], v[4:5], v[78:79]
	v_and_b32_e32 v9, 0x100, v127
	s_and_b64 s[40:41], s[38:39], s[40:41]
	v_cmp_ne_u32_e64 s[82:83], 0, v9
	v_and_b32_sdwa v9, v127, s3 dst_sel:DWORD dst_unused:UNUSED_PAD src0_sel:WORD_1 src1_sel:DWORD
	v_cndmask_b32_e64 v5, v79, v5, s[40:41]
	v_cndmask_b32_e64 v4, v78, v4, s[40:41]
	v_cmp_eq_u16_e64 s[40:41], 0, v9
	v_and_b32_e32 v9, 0x10000, v127
	v_cmp_ne_u32_e64 s[84:85], 0, v9
	v_and_b32_e32 v9, 0x1000000, v127
	v_cmp_ne_u32_e64 s[86:87], 0, v9
	s_or_b64 s[54:55], s[54:55], s[86:87]
	s_or_b64 s[54:55], s[54:55], s[84:85]
	;; [unrolled: 1-line block ×12, first 2 shown]
	v_cmp_lt_u64_e64 s[42:43], v[4:5], v[70:71]
	s_or_b64 s[48:49], s[48:49], s[64:65]
	s_and_b64 s[42:43], s[40:41], s[42:43]
	s_or_b64 s[48:49], s[48:49], s[62:63]
	v_cndmask_b32_e64 v5, v71, v5, s[42:43]
	v_cndmask_b32_e64 v4, v70, v4, s[42:43]
	s_or_b64 s[48:49], s[48:49], vcc
	v_cmp_eq_u16_sdwa s[42:43], v127, v8 src0_sel:BYTE_3 src1_sel:DWORD
	v_cmp_lt_u64_e64 s[44:45], v[4:5], v[10:11]
	s_or_b64 s[48:49], s[48:49], s[60:61]
	s_and_b64 s[44:45], s[42:43], s[44:45]
	s_or_b64 s[48:49], s[48:49], s[58:59]
	v_cndmask_b32_e64 v5, v11, v5, s[44:45]
	v_cndmask_b32_e64 v4, v10, v4, s[44:45]
	s_or_b64 s[48:49], s[48:49], s[56:57]
	v_cmp_eq_u16_sdwa s[44:45], v36, v8 src0_sel:BYTE_0 src1_sel:DWORD
	v_cmp_lt_u64_e64 s[88:89], v[4:5], v[20:21]
	s_or_b64 s[48:49], s[48:49], s[52:53]
	s_and_b64 s[88:89], s[44:45], s[88:89]
	s_or_b64 vcc, s[48:49], s[0:1]
	v_mbcnt_hi_u32_b32 v28, -1, v32
	v_cndmask_b32_e64 v9, v21, v5, s[88:89]
	v_cndmask_b32_e64 v8, v20, v4, s[88:89]
	v_and_b32_e32 v13, 15, v28
	v_cndmask_b32_e64 v12, 0, 1, vcc
	v_cndmask_b32_e64 v16, 0, 1, vcc
	v_mov_b32_dpp v4, v8 row_shr:1 row_mask:0xf bank_mask:0xf
	v_mov_b32_dpp v5, v9 row_shr:1 row_mask:0xf bank_mask:0xf
	;; [unrolled: 1-line block ×3, first 2 shown]
	v_cmp_ne_u32_e64 s[48:49], 0, v13
	s_and_saveexec_b64 s[50:51], s[48:49]
; %bb.136:
	v_and_b32_e32 v12, 1, v17
	v_cmp_lt_u64_e64 s[48:49], v[4:5], v[8:9]
	v_or_b32_e32 v16, v12, v16
	v_and_b32_e32 v12, 0xffff, v16
	v_cndmask_b32_e64 v4, v8, v4, s[48:49]
	v_cndmask_b32_e64 v5, v9, v5, s[48:49]
	v_cndmask_b32_e32 v9, v5, v9, vcc
	v_cndmask_b32_e32 v8, v4, v8, vcc
; %bb.137:
	s_or_b64 exec, exec, s[50:51]
	s_nop 0
	v_mov_b32_dpp v4, v8 row_shr:2 row_mask:0xf bank_mask:0xf
	v_mov_b32_dpp v5, v9 row_shr:2 row_mask:0xf bank_mask:0xf
	;; [unrolled: 1-line block ×3, first 2 shown]
	v_cmp_lt_u32_e32 vcc, 1, v13
	s_and_saveexec_b64 s[50:51], vcc
	s_cbranch_execz .LBB72_139
; %bb.138:
	v_and_b32_e32 v12, 1, v16
	v_cmp_eq_u32_e32 vcc, 1, v12
	v_and_b32_e32 v12, 1, v17
	v_cmp_eq_u32_e64 s[48:49], 1, v12
	s_or_b64 s[52:53], vcc, s[48:49]
	v_cmp_eq_u16_e32 vcc, 0, v16
	v_cmp_lt_u64_e64 s[48:49], v[4:5], v[8:9]
	v_cndmask_b32_e64 v17, 0, 1, s[52:53]
	s_and_b64 vcc, vcc, s[48:49]
	v_cndmask_b32_e32 v9, v9, v5, vcc
	v_cndmask_b32_e32 v8, v8, v4, vcc
	v_cndmask_b32_e64 v12, 0, 1, s[52:53]
	v_mov_b32_e32 v16, v17
.LBB72_139:
	s_or_b64 exec, exec, s[50:51]
	v_mov_b32_dpp v4, v8 row_shr:4 row_mask:0xf bank_mask:0xf
	v_mov_b32_dpp v5, v9 row_shr:4 row_mask:0xf bank_mask:0xf
	;; [unrolled: 1-line block ×3, first 2 shown]
	v_cmp_lt_u32_e32 vcc, 3, v13
	s_and_saveexec_b64 s[50:51], vcc
	s_mov_b64 s[64:65], s[46:47]
	s_cbranch_execz .LBB72_141
; %bb.140:
	v_and_b32_e32 v12, 1, v16
	v_cmp_eq_u32_e32 vcc, 1, v12
	v_and_b32_e32 v12, 1, v17
	v_cmp_eq_u32_e64 s[48:49], 1, v12
	s_or_b64 s[52:53], vcc, s[48:49]
	v_cmp_eq_u16_e32 vcc, 0, v16
	v_cmp_lt_u64_e64 s[48:49], v[4:5], v[8:9]
	v_cndmask_b32_e64 v17, 0, 1, s[52:53]
	s_and_b64 vcc, vcc, s[48:49]
	v_cndmask_b32_e32 v9, v9, v5, vcc
	v_cndmask_b32_e32 v8, v8, v4, vcc
	v_cndmask_b32_e64 v12, 0, 1, s[52:53]
	v_mov_b32_e32 v16, v17
.LBB72_141:
	s_or_b64 exec, exec, s[50:51]
	v_mov_b32_dpp v4, v8 row_shr:8 row_mask:0xf bank_mask:0xf
	v_mov_b32_dpp v5, v9 row_shr:8 row_mask:0xf bank_mask:0xf
	;; [unrolled: 1-line block ×3, first 2 shown]
	v_cmp_lt_u32_e32 vcc, 7, v13
	s_and_saveexec_b64 s[50:51], vcc
	s_cbranch_execz .LBB72_143
; %bb.142:
	v_and_b32_e32 v12, 1, v16
	v_cmp_eq_u32_e32 vcc, 1, v12
	v_and_b32_e32 v12, 1, v17
	v_cmp_eq_u32_e64 s[48:49], 1, v12
	s_or_b64 s[52:53], vcc, s[48:49]
	v_cmp_eq_u16_e32 vcc, 0, v16
	v_cmp_lt_u64_e64 s[48:49], v[4:5], v[8:9]
	v_cndmask_b32_e64 v13, 0, 1, s[52:53]
	s_and_b64 vcc, vcc, s[48:49]
	v_cndmask_b32_e32 v9, v9, v5, vcc
	v_cndmask_b32_e32 v8, v8, v4, vcc
	v_cndmask_b32_e64 v12, 0, 1, s[52:53]
	v_mov_b32_e32 v16, v13
.LBB72_143:
	s_or_b64 exec, exec, s[50:51]
	v_and_b32_e32 v17, 16, v28
	v_mov_b32_dpp v4, v8 row_bcast:15 row_mask:0xf bank_mask:0xf
	v_mov_b32_dpp v5, v9 row_bcast:15 row_mask:0xf bank_mask:0xf
	;; [unrolled: 1-line block ×3, first 2 shown]
	v_cmp_ne_u32_e32 vcc, 0, v17
	s_and_saveexec_b64 s[50:51], vcc
	s_cbranch_execz .LBB72_145
; %bb.144:
	v_and_b32_e32 v12, 1, v16
	v_cmp_eq_u32_e32 vcc, 1, v12
	v_and_b32_e32 v12, 1, v13
	v_cmp_eq_u32_e64 s[48:49], 1, v12
	s_or_b64 s[52:53], vcc, s[48:49]
	v_cmp_eq_u16_e32 vcc, 0, v16
	v_cmp_lt_u64_e64 s[48:49], v[4:5], v[8:9]
	v_cndmask_b32_e64 v13, 0, 1, s[52:53]
	s_and_b64 vcc, vcc, s[48:49]
	v_cndmask_b32_e32 v9, v9, v5, vcc
	v_cndmask_b32_e32 v8, v8, v4, vcc
	v_cndmask_b32_e64 v12, 0, 1, s[52:53]
	v_mov_b32_e32 v16, v13
.LBB72_145:
	s_or_b64 exec, exec, s[50:51]
	v_mov_b32_dpp v4, v8 row_bcast:31 row_mask:0xf bank_mask:0xf
	v_mov_b32_dpp v5, v9 row_bcast:31 row_mask:0xf bank_mask:0xf
	v_mov_b32_dpp v12, v12 row_bcast:31 row_mask:0xf bank_mask:0xf
	v_cmp_lt_u32_e32 vcc, 31, v28
	s_and_saveexec_b64 s[50:51], vcc
	s_cbranch_execz .LBB72_147
; %bb.146:
	v_and_b32_e32 v13, 1, v16
	v_and_b32_e32 v12, 1, v12
	v_cmp_eq_u32_e32 vcc, 1, v13
	v_cmp_eq_u32_e64 s[48:49], 1, v12
	s_or_b64 s[48:49], vcc, s[48:49]
	v_cmp_eq_u16_e32 vcc, 0, v16
	v_cndmask_b32_e64 v12, 0, 1, s[48:49]
	v_cmp_lt_u64_e64 s[48:49], v[4:5], v[8:9]
	s_and_b64 vcc, vcc, s[48:49]
	v_cndmask_b32_e32 v9, v9, v5, vcc
	v_cndmask_b32_e32 v8, v8, v4, vcc
	v_mov_b32_e32 v16, v12
.LBB72_147:
	s_or_b64 exec, exec, s[50:51]
	v_or_b32_e32 v4, 63, v0
	v_lshrrev_b32_e32 v17, 6, v0
	v_cmp_eq_u32_e32 vcc, v4, v0
	s_and_saveexec_b64 s[48:49], vcc
	s_cbranch_execz .LBB72_149
; %bb.148:
	v_lshlrev_b32_e32 v4, 4, v17
	ds_write_b64 v4, v[8:9]
	ds_write_b8 v4, v16 offset:8
.LBB72_149:
	s_or_b64 exec, exec, s[48:49]
	v_cmp_gt_u32_e32 vcc, 4, v0
	s_waitcnt lgkmcnt(0)
	s_barrier
	s_and_saveexec_b64 s[50:51], vcc
	s_cbranch_execz .LBB72_155
; %bb.150:
	v_lshlrev_b32_e32 v24, 4, v0
	ds_read_b64 v[4:5], v24
	ds_read_b32 v29, v24 offset:8
	v_and_b32_e32 v44, 3, v28
	v_cmp_ne_u32_e32 vcc, 0, v44
	s_waitcnt lgkmcnt(1)
	v_mov_b32_dpp v12, v4 row_shr:1 row_mask:0xf bank_mask:0xf
	v_mov_b32_dpp v13, v5 row_shr:1 row_mask:0xf bank_mask:0xf
	s_waitcnt lgkmcnt(0)
	v_mov_b32_dpp v48, v29 row_shr:1 row_mask:0xf bank_mask:0xf
	v_mov_b32_e32 v25, v29
	v_mov_b32_e32 v45, v29
	s_and_saveexec_b64 s[48:49], vcc
; %bb.151:
	v_or_b32_e32 v45, v48, v29
	v_mov_b32_e32 v48, 0
	v_cmp_eq_u16_sdwa s[52:53], v29, v48 src0_sel:BYTE_0 src1_sel:DWORD
	v_cmp_lt_u64_e32 vcc, v[12:13], v[4:5]
	v_and_b32_e32 v25, 1, v45
	s_and_b64 vcc, s[52:53], vcc
	v_and_b32_e32 v45, 1, v45
	s_movk_i32 s3, 0xff00
	v_cndmask_b32_e32 v5, v5, v13, vcc
	v_cndmask_b32_e32 v4, v4, v12, vcc
	v_and_or_b32 v29, v29, s3, v45
; %bb.152:
	s_or_b64 exec, exec, s[48:49]
	v_mov_b32_dpp v12, v4 row_shr:2 row_mask:0xf bank_mask:0xf
	v_mov_b32_dpp v13, v5 row_shr:2 row_mask:0xf bank_mask:0xf
	;; [unrolled: 1-line block ×3, first 2 shown]
	v_cmp_lt_u32_e32 vcc, 1, v44
	s_and_saveexec_b64 s[52:53], vcc
	s_cbranch_execz .LBB72_154
; %bb.153:
	v_and_b32_e32 v25, 1, v45
	v_cmp_eq_u32_e32 vcc, 1, v25
	v_and_b32_e32 v25, 1, v29
	v_cmp_eq_u32_e64 s[48:49], 1, v25
	s_or_b64 s[48:49], vcc, s[48:49]
	v_mov_b32_e32 v29, 0
	v_cndmask_b32_e64 v25, 0, 1, s[48:49]
	v_cmp_lt_u64_e32 vcc, v[12:13], v[4:5]
	v_cmp_eq_u16_sdwa s[48:49], v45, v29 src0_sel:BYTE_0 src1_sel:DWORD
	s_nop 0
	v_cndmask_b32_e32 v13, v5, v13, vcc
	s_and_b64 vcc, s[48:49], vcc
	v_cndmask_b32_e64 v5, v5, v13, s[48:49]
	v_cndmask_b32_e32 v4, v4, v12, vcc
.LBB72_154:
	s_or_b64 exec, exec, s[52:53]
	ds_write_b64 v24, v[4:5]
	ds_write_b8 v24, v25 offset:8
.LBB72_155:
	s_or_b64 exec, exec, s[50:51]
	v_cmp_gt_u32_e32 vcc, 64, v0
	v_cmp_lt_u32_e64 s[48:49], 63, v0
	v_mov_b32_e32 v44, 0
	v_mov_b64_e32 v[4:5], 0
	s_waitcnt lgkmcnt(0)
	s_barrier
	s_and_saveexec_b64 s[52:53], s[48:49]
	s_cbranch_execz .LBB72_157
; %bb.156:
	v_lshl_add_u32 v12, v17, 4, -16
	ds_read_b64 v[4:5], v12
	ds_read_u8 v44, v12 offset:8
	v_cmp_eq_u16_e64 s[48:49], 0, v16
	s_waitcnt lgkmcnt(1)
	v_cmp_lt_u64_e64 s[50:51], v[4:5], v[8:9]
	s_waitcnt lgkmcnt(0)
	v_or_b32_e32 v12, v16, v44
	s_and_b64 s[48:49], s[48:49], s[50:51]
	v_cndmask_b32_e64 v8, v8, v4, s[48:49]
	v_cndmask_b32_e64 v9, v9, v5, s[48:49]
	v_and_b32_e32 v16, 1, v12
.LBB72_157:
	s_or_b64 exec, exec, s[52:53]
	v_add_u32_e32 v12, -1, v28
	v_and_b32_e32 v13, 64, v28
	v_cmp_lt_i32_e64 s[48:49], v12, v13
	s_nop 1
	v_cndmask_b32_e64 v12, v12, v28, s[48:49]
	v_lshlrev_b32_e32 v12, 2, v12
	ds_bpermute_b32 v45, v12, v8
	v_and_b32_e32 v8, 0xffff, v16
	ds_bpermute_b32 v48, v12, v9
	ds_bpermute_b32 v49, v12, v8
	v_cmp_eq_u32_e64 s[48:49], 0, v28
	s_and_saveexec_b64 s[52:53], vcc
	s_cbranch_execz .LBB72_200
; %bb.158:
	v_mov_b32_e32 v13, 0
	ds_read2_b64 v[80:83], v13 offset0:6 offset1:7
	s_waitcnt lgkmcnt(0)
	v_readfirstlane_b32 s3, v82
	s_and_saveexec_b64 s[50:51], s[48:49]
	s_cbranch_execz .LBB72_160
; %bb.159:
	s_add_i32 s54, s2, 64
	s_mov_b32 s55, 0
	s_lshl_b64 s[56:57], s[54:55], 4
	s_add_u32 s56, s92, s56
	s_addc_u32 s57, s93, s57
	v_mov_b32_e32 v8, s3
	global_store_dword v13, v80, s[56:57] sc1
	global_store_dword v13, v81, s[56:57] offset:4 sc1
	global_store_dword v13, v8, s[56:57] offset:8 sc1
	global_store_dword v13, v83, s[56:57] offset:12 sc1
	v_mov_b32_e32 v8, s54
	v_mov_b32_e32 v9, 1
	s_waitcnt vmcnt(0)
	global_store_byte v8, v9, s[96:97] sc1
.LBB72_160:
	s_or_b64 exec, exec, s[50:51]
	v_xad_u32 v8, v28, -1, s2
	v_add_u32_e32 v12, 64, v8
	global_load_ubyte v52, v12, s[96:97] sc1
	s_waitcnt vmcnt(0)
	v_cmp_eq_u16_e32 vcc, 0, v52
	s_and_saveexec_b64 s[50:51], vcc
	s_cbranch_execz .LBB72_164
; %bb.161:
	v_lshl_add_u64 v[16:17], s[96:97], 0, v[12:13]
	s_mov_b64 s[54:55], 0
.LBB72_162:                             ; =>This Inner Loop Header: Depth=1
	global_load_ubyte v52, v[16:17], off sc1
	s_waitcnt vmcnt(0)
	v_cmp_ne_u16_e32 vcc, 0, v52
	s_or_b64 s[54:55], vcc, s[54:55]
	s_andn2_b64 exec, exec, s[54:55]
	s_cbranch_execnz .LBB72_162
; %bb.163:
	s_or_b64 exec, exec, s[54:55]
.LBB72_164:
	s_or_b64 exec, exec, s[50:51]
	v_mov_b32_e32 v9, s95
	v_mov_b32_e32 v16, s93
	v_cmp_eq_u16_e32 vcc, 1, v52
	s_nop 1
	v_cndmask_b32_e32 v17, v9, v16, vcc
	v_mov_b32_e32 v9, s94
	v_mov_b32_e32 v16, s92
	v_cndmask_b32_e32 v16, v9, v16, vcc
	v_lshl_add_u64 v[12:13], v[12:13], 4, v[16:17]
	global_load_dword v24, v[12:13], off sc1
	global_load_dword v25, v[12:13], off offset:4 sc1
	global_load_dword v29, v[12:13], off offset:8 sc1
	;; [unrolled: 1-line block ×3, first 2 shown]
	v_cmp_eq_u16_e32 vcc, 2, v52
	v_lshlrev_b64 v[12:13], v28, -1
	s_waitcnt vmcnt(0)
	v_and_b32_e32 v9, 63, v28
	v_and_b32_e32 v16, vcc_hi, v13
	v_and_b32_e32 v56, vcc_lo, v12
	v_cmp_ne_u32_e32 vcc, 63, v9
	v_or_b32_e32 v16, 0x80000000, v16
	v_ffbl_b32_e32 v16, v16
	v_addc_co_u32_e32 v17, vcc, 0, v28, vcc
	v_lshlrev_b32_e32 v53, 2, v17
	v_add_u32_e32 v60, 32, v16
	v_ffbl_b32_e32 v56, v56
	v_min_u32_e32 v73, v56, v60
	v_add_u32_e32 v56, 1, v28
	v_cmp_le_u32_e32 vcc, v56, v73
	ds_bpermute_b32 v16, v53, v24
	ds_bpermute_b32 v17, v53, v25
	v_and_b32_e32 v77, 0xff, v29
	ds_bpermute_b32 v57, v53, v77
	s_and_saveexec_b64 s[50:51], vcc
	s_cbranch_execz .LBB72_166
; %bb.165:
	v_mov_b32_e32 v60, 0
	v_cmp_eq_u16_sdwa s[54:55], v29, v60 src0_sel:BYTE_0 src1_sel:DWORD
	s_waitcnt lgkmcnt(1)
	v_cmp_lt_u64_e32 vcc, v[16:17], v[24:25]
	s_and_b64 vcc, s[54:55], vcc
	s_nop 0
	v_cndmask_b32_e32 v24, v24, v16, vcc
	s_waitcnt lgkmcnt(0)
	v_or_b32_e32 v16, v57, v29
	v_cndmask_b32_e32 v25, v25, v17, vcc
	v_and_b32_e32 v29, 1, v16
	v_and_b32_e32 v77, 1, v16
.LBB72_166:
	s_or_b64 exec, exec, s[50:51]
	v_cmp_gt_u32_e32 vcc, 62, v9
	v_add_u32_e32 v60, 2, v28
	s_waitcnt lgkmcnt(2)
	v_cndmask_b32_e64 v16, 0, 1, vcc
	v_lshlrev_b32_e32 v16, 1, v16
	s_waitcnt lgkmcnt(0)
	v_add_lshl_u32 v57, v16, v28, 2
	ds_bpermute_b32 v16, v57, v24
	ds_bpermute_b32 v17, v57, v25
	ds_bpermute_b32 v61, v57, v77
	v_cmp_le_u32_e32 vcc, v60, v73
	s_and_saveexec_b64 s[54:55], vcc
	s_cbranch_execz .LBB72_168
; %bb.167:
	v_mov_b32_e32 v64, 0
	v_cmp_eq_u16_sdwa s[50:51], v29, v64 src0_sel:BYTE_0 src1_sel:DWORD
	s_waitcnt lgkmcnt(1)
	v_cmp_lt_u64_e32 vcc, v[16:17], v[24:25]
	s_and_b64 vcc, s[50:51], vcc
	s_nop 0
	v_cndmask_b32_e32 v24, v24, v16, vcc
	v_and_b32_e32 v16, 1, v29
	v_cndmask_b32_e32 v25, v25, v17, vcc
	v_cmp_eq_u32_e32 vcc, 1, v16
	s_waitcnt lgkmcnt(0)
	v_and_b32_e32 v16, 1, v61
	v_cmp_eq_u32_e64 s[50:51], 1, v16
	s_or_b64 s[50:51], vcc, s[50:51]
	s_nop 0
	v_cndmask_b32_e64 v29, 0, 1, s[50:51]
	v_cndmask_b32_e64 v77, 0, 1, s[50:51]
.LBB72_168:
	s_or_b64 exec, exec, s[54:55]
	v_cmp_gt_u32_e32 vcc, 60, v9
	v_add_u32_e32 v64, 4, v28
	s_waitcnt lgkmcnt(2)
	v_cndmask_b32_e64 v16, 0, 1, vcc
	v_lshlrev_b32_e32 v16, 2, v16
	s_waitcnt lgkmcnt(0)
	v_add_lshl_u32 v61, v16, v28, 2
	ds_bpermute_b32 v16, v61, v24
	ds_bpermute_b32 v17, v61, v25
	ds_bpermute_b32 v65, v61, v77
	v_cmp_le_u32_e32 vcc, v64, v73
	s_and_saveexec_b64 s[54:55], vcc
	s_cbranch_execz .LBB72_170
; %bb.169:
	v_mov_b32_e32 v68, 0
	v_cmp_eq_u16_sdwa s[50:51], v29, v68 src0_sel:BYTE_0 src1_sel:DWORD
	s_waitcnt lgkmcnt(1)
	v_cmp_lt_u64_e32 vcc, v[16:17], v[24:25]
	s_and_b64 vcc, s[50:51], vcc
	s_nop 0
	v_cndmask_b32_e32 v24, v24, v16, vcc
	v_and_b32_e32 v16, 1, v29
	v_cndmask_b32_e32 v25, v25, v17, vcc
	v_cmp_eq_u32_e32 vcc, 1, v16
	s_waitcnt lgkmcnt(0)
	v_and_b32_e32 v16, 1, v65
	v_cmp_eq_u32_e64 s[50:51], 1, v16
	s_or_b64 s[50:51], vcc, s[50:51]
	s_nop 0
	v_cndmask_b32_e64 v29, 0, 1, s[50:51]
	v_cndmask_b32_e64 v77, 0, 1, s[50:51]
.LBB72_170:
	;; [unrolled: 33-line block ×4, first 2 shown]
	s_or_b64 exec, exec, s[54:55]
	v_cmp_gt_u32_e32 vcc, 32, v9
	s_nop 1
	v_cndmask_b32_e64 v9, 0, 1, vcc
	v_lshlrev_b32_e32 v9, 5, v9
	s_waitcnt lgkmcnt(0)
	v_add_lshl_u32 v76, v9, v28, 2
	ds_bpermute_b32 v16, v76, v24
	ds_bpermute_b32 v17, v76, v25
	;; [unrolled: 1-line block ×3, first 2 shown]
	v_add_u32_e32 v77, 32, v28
	v_cmp_le_u32_e32 vcc, v77, v73
	s_and_saveexec_b64 s[54:55], vcc
	s_cbranch_execz .LBB72_176
; %bb.175:
	v_mov_b32_e32 v28, 0
	s_waitcnt lgkmcnt(1)
	v_cmp_lt_u64_e32 vcc, v[16:17], v[24:25]
	v_cmp_eq_u16_sdwa s[50:51], v29, v28 src0_sel:BYTE_0 src1_sel:DWORD
	s_waitcnt lgkmcnt(0)
	v_and_b32_e32 v9, 1, v9
	v_cndmask_b32_e32 v17, v25, v17, vcc
	s_and_b64 vcc, s[50:51], vcc
	v_cndmask_b32_e32 v24, v24, v16, vcc
	v_and_b32_e32 v16, 1, v29
	v_cndmask_b32_e64 v25, v25, v17, s[50:51]
	v_cmp_eq_u32_e32 vcc, 1, v16
	v_cmp_eq_u32_e64 s[50:51], 1, v9
	s_or_b64 s[50:51], vcc, s[50:51]
	s_nop 0
	v_cndmask_b32_e64 v29, 0, 1, s[50:51]
.LBB72_176:
	s_or_b64 exec, exec, s[54:55]
	s_waitcnt lgkmcnt(0)
	v_mov_b32_e32 v9, 0
	v_mov_b32_e32 v82, 2
	s_branch .LBB72_178
.LBB72_177:                             ;   in Loop: Header=BB72_178 Depth=1
	s_or_b64 exec, exec, s[56:57]
	v_cmp_lt_u64_e32 vcc, v[24:25], v[16:17]
	v_cmp_eq_u16_sdwa s[50:51], v73, v9 src0_sel:BYTE_0 src1_sel:DWORD
	s_waitcnt lgkmcnt(2)
	v_and_b32_e32 v28, 1, v73
	v_cndmask_b32_e32 v25, v17, v25, vcc
	s_and_b64 vcc, s[50:51], vcc
	v_cndmask_b32_e32 v24, v16, v24, vcc
	v_cmp_eq_u32_e32 vcc, 1, v28
	v_cndmask_b32_e64 v25, v17, v25, s[50:51]
	s_or_b64 s[50:51], vcc, s[54:55]
	v_subrev_u32_e32 v8, 64, v8
	s_waitcnt lgkmcnt(1)
	v_cndmask_b32_e64 v29, 0, 1, s[50:51]
.LBB72_178:                             ; =>This Loop Header: Depth=1
                                        ;     Child Loop BB72_181 Depth 2
	v_cmp_ne_u16_sdwa s[50:51], v52, v82 src0_sel:BYTE_0 src1_sel:DWORD
	v_mov_b32_e32 v73, v29
	s_nop 0
	v_cndmask_b32_e64 v16, 0, 1, s[50:51]
	;;#ASMSTART
	;;#ASMEND
	s_nop 0
	v_cmp_ne_u32_e32 vcc, 0, v16
	s_cmp_lg_u64 vcc, exec
	v_mov_b64_e32 v[16:17], v[24:25]
	s_cbranch_scc1 .LBB72_195
; %bb.179:                              ;   in Loop: Header=BB72_178 Depth=1
	global_load_ubyte v52, v8, s[96:97] sc1
	s_waitcnt vmcnt(0)
	v_cmp_eq_u16_e32 vcc, 0, v52
	s_and_saveexec_b64 s[50:51], vcc
	s_cbranch_execz .LBB72_183
; %bb.180:                              ;   in Loop: Header=BB72_178 Depth=1
	v_lshl_add_u64 v[24:25], s[96:97], 0, v[8:9]
	s_mov_b64 s[54:55], 0
.LBB72_181:                             ;   Parent Loop BB72_178 Depth=1
                                        ; =>  This Inner Loop Header: Depth=2
	global_load_ubyte v52, v[24:25], off sc1
	s_waitcnt vmcnt(0)
	v_cmp_ne_u16_e32 vcc, 0, v52
	s_or_b64 s[54:55], vcc, s[54:55]
	s_andn2_b64 exec, exec, s[54:55]
	s_cbranch_execnz .LBB72_181
; %bb.182:                              ;   in Loop: Header=BB72_178 Depth=1
	s_or_b64 exec, exec, s[54:55]
.LBB72_183:                             ;   in Loop: Header=BB72_178 Depth=1
	s_or_b64 exec, exec, s[50:51]
	v_mov_b32_e32 v24, s95
	v_mov_b32_e32 v25, s93
	v_cmp_eq_u16_e32 vcc, 1, v52
	v_mov_b32_e32 v28, s92
	s_nop 0
	v_cndmask_b32_e32 v25, v24, v25, vcc
	v_mov_b32_e32 v24, s94
	v_cndmask_b32_e32 v24, v24, v28, vcc
	v_lshl_add_u64 v[28:29], v[8:9], 4, v[24:25]
	global_load_dword v24, v[28:29], off sc1
	global_load_dword v25, v[28:29], off offset:4 sc1
	global_load_dword v86, v[28:29], off offset:8 sc1
	s_nop 0
	global_load_dword v28, v[28:29], off offset:12 sc1
	v_cmp_eq_u16_e32 vcc, 2, v52
	s_waitcnt vmcnt(2)
	ds_bpermute_b32 v29, v53, v25
	s_waitcnt vmcnt(0)
	v_and_b32_e32 v28, vcc_hi, v13
	v_or_b32_e32 v28, 0x80000000, v28
	v_ffbl_b32_e32 v28, v28
	s_waitcnt lgkmcnt(1)
	v_and_b32_e32 v85, 0xff, v86
	v_add_u32_e32 v84, 32, v28
	ds_bpermute_b32 v28, v53, v24
	ds_bpermute_b32 v87, v53, v85
	v_and_b32_e32 v83, vcc_lo, v12
	v_ffbl_b32_e32 v83, v83
	v_min_u32_e32 v83, v83, v84
	v_cmp_le_u32_e32 vcc, v56, v83
	v_mov_b32_e32 v84, v86
	s_and_saveexec_b64 s[50:51], vcc
	s_cbranch_execz .LBB72_185
; %bb.184:                              ;   in Loop: Header=BB72_178 Depth=1
	v_cmp_eq_u16_sdwa s[54:55], v86, v9 src0_sel:BYTE_0 src1_sel:DWORD
	s_waitcnt lgkmcnt(1)
	v_cmp_lt_u64_e32 vcc, v[28:29], v[24:25]
	s_and_b64 vcc, s[54:55], vcc
	s_waitcnt lgkmcnt(0)
	v_or_b32_e32 v86, v87, v86
	v_cndmask_b32_e32 v25, v25, v29, vcc
	v_cndmask_b32_e32 v24, v24, v28, vcc
	v_and_b32_e32 v84, 1, v86
	v_and_b32_e32 v85, 1, v86
.LBB72_185:                             ;   in Loop: Header=BB72_178 Depth=1
	s_or_b64 exec, exec, s[50:51]
	s_waitcnt lgkmcnt(1)
	ds_bpermute_b32 v28, v57, v24
	ds_bpermute_b32 v29, v57, v25
	s_waitcnt lgkmcnt(2)
	ds_bpermute_b32 v87, v57, v85
	v_and_b32_e32 v86, 1, v86
	v_cmp_eq_u32_e64 s[54:55], 1, v86
	v_cmp_le_u32_e32 vcc, v60, v83
	s_and_saveexec_b64 s[56:57], vcc
	s_cbranch_execz .LBB72_187
; %bb.186:                              ;   in Loop: Header=BB72_178 Depth=1
	v_cmp_eq_u16_sdwa s[50:51], v84, v9 src0_sel:BYTE_0 src1_sel:DWORD
	s_waitcnt lgkmcnt(1)
	v_cmp_lt_u64_e32 vcc, v[28:29], v[24:25]
	s_and_b64 vcc, s[50:51], vcc
	s_andn2_b64 s[54:55], s[54:55], exec
	v_cndmask_b32_e32 v24, v24, v28, vcc
	v_and_b32_e32 v28, 1, v84
	v_cndmask_b32_e32 v25, v25, v29, vcc
	v_cmp_eq_u32_e32 vcc, 1, v28
	s_waitcnt lgkmcnt(0)
	v_and_b32_e32 v28, 1, v87
	v_cmp_eq_u32_e64 s[50:51], 1, v28
	s_or_b64 s[50:51], vcc, s[50:51]
	s_nop 0
	v_cndmask_b32_e64 v84, 0, 1, s[50:51]
	v_cndmask_b32_e64 v85, 0, 1, s[50:51]
	s_and_b64 s[50:51], s[50:51], exec
	s_or_b64 s[54:55], s[54:55], s[50:51]
.LBB72_187:                             ;   in Loop: Header=BB72_178 Depth=1
	s_or_b64 exec, exec, s[56:57]
	s_waitcnt lgkmcnt(2)
	ds_bpermute_b32 v28, v61, v24
	s_waitcnt lgkmcnt(2)
	ds_bpermute_b32 v29, v61, v25
	ds_bpermute_b32 v86, v61, v85
	v_cmp_le_u32_e32 vcc, v64, v83
	s_and_saveexec_b64 s[56:57], vcc
	s_cbranch_execz .LBB72_189
; %bb.188:                              ;   in Loop: Header=BB72_178 Depth=1
	v_cmp_eq_u16_sdwa s[50:51], v84, v9 src0_sel:BYTE_0 src1_sel:DWORD
	s_waitcnt lgkmcnt(1)
	v_cmp_lt_u64_e32 vcc, v[28:29], v[24:25]
	s_and_b64 vcc, s[50:51], vcc
	s_andn2_b64 s[54:55], s[54:55], exec
	v_cndmask_b32_e32 v24, v24, v28, vcc
	v_and_b32_e32 v28, 1, v84
	v_cndmask_b32_e32 v25, v25, v29, vcc
	v_cmp_eq_u32_e32 vcc, 1, v28
	s_waitcnt lgkmcnt(0)
	v_and_b32_e32 v28, 1, v86
	v_cmp_eq_u32_e64 s[50:51], 1, v28
	s_or_b64 s[50:51], vcc, s[50:51]
	s_nop 0
	v_cndmask_b32_e64 v84, 0, 1, s[50:51]
	v_cndmask_b32_e64 v85, 0, 1, s[50:51]
	s_and_b64 s[50:51], s[50:51], exec
	s_or_b64 s[54:55], s[54:55], s[50:51]
.LBB72_189:                             ;   in Loop: Header=BB72_178 Depth=1
	s_or_b64 exec, exec, s[56:57]
	s_waitcnt lgkmcnt(2)
	ds_bpermute_b32 v28, v65, v24
	s_waitcnt lgkmcnt(2)
	ds_bpermute_b32 v29, v65, v25
	;; [unrolled: 2-line block ×3, first 2 shown]
	v_cmp_le_u32_e32 vcc, v68, v83
	s_and_saveexec_b64 s[56:57], vcc
	s_cbranch_execz .LBB72_191
; %bb.190:                              ;   in Loop: Header=BB72_178 Depth=1
	v_cmp_eq_u16_sdwa s[50:51], v84, v9 src0_sel:BYTE_0 src1_sel:DWORD
	s_waitcnt lgkmcnt(1)
	v_cmp_lt_u64_e32 vcc, v[28:29], v[24:25]
	s_and_b64 vcc, s[50:51], vcc
	s_andn2_b64 s[54:55], s[54:55], exec
	v_cndmask_b32_e32 v24, v24, v28, vcc
	v_and_b32_e32 v28, 1, v84
	v_cndmask_b32_e32 v25, v25, v29, vcc
	v_cmp_eq_u32_e32 vcc, 1, v28
	s_waitcnt lgkmcnt(0)
	v_and_b32_e32 v28, 1, v86
	v_cmp_eq_u32_e64 s[50:51], 1, v28
	s_or_b64 s[50:51], vcc, s[50:51]
	s_nop 0
	v_cndmask_b32_e64 v84, 0, 1, s[50:51]
	v_cndmask_b32_e64 v85, 0, 1, s[50:51]
	s_and_b64 s[50:51], s[50:51], exec
	s_or_b64 s[54:55], s[54:55], s[50:51]
.LBB72_191:                             ;   in Loop: Header=BB72_178 Depth=1
	s_or_b64 exec, exec, s[56:57]
	s_waitcnt lgkmcnt(2)
	ds_bpermute_b32 v28, v69, v24
	s_waitcnt lgkmcnt(2)
	ds_bpermute_b32 v29, v69, v25
	;; [unrolled: 2-line block ×3, first 2 shown]
	v_cmp_le_u32_e32 vcc, v72, v83
	s_and_saveexec_b64 s[56:57], vcc
	s_cbranch_execz .LBB72_193
; %bb.192:                              ;   in Loop: Header=BB72_178 Depth=1
	v_cmp_eq_u16_sdwa s[50:51], v84, v9 src0_sel:BYTE_0 src1_sel:DWORD
	s_waitcnt lgkmcnt(1)
	v_cmp_lt_u64_e32 vcc, v[28:29], v[24:25]
	s_and_b64 vcc, s[50:51], vcc
	s_andn2_b64 s[54:55], s[54:55], exec
	v_cndmask_b32_e32 v24, v24, v28, vcc
	v_and_b32_e32 v28, 1, v84
	v_cndmask_b32_e32 v25, v25, v29, vcc
	v_cmp_eq_u32_e32 vcc, 1, v28
	s_waitcnt lgkmcnt(0)
	v_and_b32_e32 v28, 1, v86
	v_cmp_eq_u32_e64 s[50:51], 1, v28
	s_or_b64 s[50:51], vcc, s[50:51]
	s_nop 0
	v_cndmask_b32_e64 v84, 0, 1, s[50:51]
	v_cndmask_b32_e64 v85, 0, 1, s[50:51]
	s_and_b64 s[50:51], s[50:51], exec
	s_or_b64 s[54:55], s[54:55], s[50:51]
.LBB72_193:                             ;   in Loop: Header=BB72_178 Depth=1
	s_or_b64 exec, exec, s[56:57]
	s_waitcnt lgkmcnt(2)
	ds_bpermute_b32 v28, v76, v24
	s_waitcnt lgkmcnt(2)
	ds_bpermute_b32 v29, v76, v25
	ds_bpermute_b32 v85, v76, v85
	v_cmp_le_u32_e32 vcc, v77, v83
	s_and_saveexec_b64 s[56:57], vcc
	s_cbranch_execz .LBB72_177
; %bb.194:                              ;   in Loop: Header=BB72_178 Depth=1
	s_waitcnt lgkmcnt(1)
	v_cmp_lt_u64_e32 vcc, v[28:29], v[24:25]
	v_cmp_eq_u16_sdwa s[50:51], v84, v9 src0_sel:BYTE_0 src1_sel:DWORD
	s_andn2_b64 s[54:55], s[54:55], exec
	v_cndmask_b32_e32 v29, v25, v29, vcc
	s_and_b64 vcc, s[50:51], vcc
	v_cndmask_b32_e32 v24, v24, v28, vcc
	v_and_b32_e32 v28, 1, v84
	v_cmp_eq_u32_e32 vcc, 1, v28
	s_waitcnt lgkmcnt(0)
	v_and_b32_e32 v28, 1, v85
	v_cndmask_b32_e64 v25, v25, v29, s[50:51]
	v_cmp_eq_u32_e64 s[50:51], 1, v28
	s_or_b64 s[50:51], vcc, s[50:51]
	s_and_b64 s[50:51], s[50:51], exec
	s_or_b64 s[54:55], s[54:55], s[50:51]
	s_branch .LBB72_177
.LBB72_195:                             ;   in Loop: Header=BB72_178 Depth=1
                                        ; implicit-def: $vgpr29
                                        ; implicit-def: $vgpr24_vgpr25
                                        ; implicit-def: $vgpr52
	s_cbranch_execz .LBB72_178
; %bb.196:
	s_and_saveexec_b64 s[50:51], s[48:49]
	s_cbranch_execz .LBB72_198
; %bb.197:
	s_and_b32 s54, s3, 0xff
	s_cmp_eq_u32 s54, 0
	s_cselect_b64 s[56:57], -1, 0
	v_cmp_lt_u64_e32 vcc, v[16:17], v[80:81]
	s_and_b64 vcc, s[56:57], vcc
	s_bitcmp1_b32 s3, 0
	s_mov_b32 s55, 0
	s_cselect_b64 s[56:57], -1, 0
	s_add_i32 s54, s2, 64
	s_lshl_b64 s[2:3], s[54:55], 4
	s_add_u32 s2, s94, s2
	v_cndmask_b32_e32 v8, v81, v17, vcc
	v_cndmask_b32_e32 v9, v80, v16, vcc
	v_and_b32_e32 v12, 1, v73
	s_addc_u32 s3, s95, s3
	v_mov_b32_e32 v13, 0
	v_cndmask_b32_e64 v12, v12, 1, s[56:57]
	global_store_dword v13, v9, s[2:3] sc1
	global_store_dword v13, v8, s[2:3] offset:4 sc1
	global_store_dword v13, v12, s[2:3] offset:8 sc1
	;; [unrolled: 1-line block ×3, first 2 shown]
	v_mov_b32_e32 v8, s54
	v_mov_b32_e32 v9, 2
	s_waitcnt vmcnt(0) lgkmcnt(0)
	global_store_byte v8, v9, s[96:97] sc1
.LBB72_198:
	s_or_b64 exec, exec, s[50:51]
	v_cmp_eq_u32_e32 vcc, 0, v0
	s_and_b64 exec, exec, vcc
	s_cbranch_execz .LBB72_200
; %bb.199:
	v_mov_b32_e32 v8, 0
	ds_write_b64 v8, v[16:17] offset:48
	ds_write_b8 v8, v73 offset:56
.LBB72_200:
	s_or_b64 exec, exec, s[52:53]
	v_mov_b32_e32 v16, 0
	s_waitcnt lgkmcnt(0)
	s_barrier
	ds_read_b64 v[8:9], v16 offset:48
	v_cmp_ne_u32_e32 vcc, 0, v0
	v_mov_b32_e32 v17, v1
	v_mov_b64_e32 v[12:13], v[2:3]
	s_and_saveexec_b64 s[50:51], vcc
	s_cbranch_execz .LBB72_202
; %bb.201:
	v_cndmask_b32_e64 v4, v45, v4, s[48:49]
	v_cndmask_b32_e64 v5, v48, v5, s[48:49]
	v_cmp_lt_u64_e32 vcc, v[4:5], v[2:3]
	v_cmp_eq_u16_sdwa s[2:3], v1, v16 src0_sel:BYTE_0 src1_sel:DWORD
	v_cndmask_b32_e64 v17, v49, v44, s[48:49]
	v_cndmask_b32_e32 v5, v3, v5, vcc
	s_and_b64 vcc, s[2:3], vcc
	v_cndmask_b32_e32 v12, v2, v4, vcc
	v_and_b32_e32 v4, 1, v17
	v_cmp_eq_u32_e32 vcc, 1, v4
	v_cndmask_b32_e64 v13, v3, v5, s[2:3]
	s_or_b64 s[2:3], s[0:1], vcc
	v_cndmask_b32_e64 v17, 0, 1, s[2:3]
.LBB72_202:
	s_or_b64 exec, exec, s[50:51]
	s_waitcnt lgkmcnt(0)
	v_cmp_lt_u64_e32 vcc, v[8:9], v[12:13]
	v_cmp_eq_u16_sdwa s[2:3], v17, v16 src0_sel:BYTE_0 src1_sel:DWORD
	v_readlane_b32 s0, v135, 0
	v_cndmask_b32_e32 v4, v13, v9, vcc
	s_and_b64 vcc, s[2:3], vcc
	v_cndmask_b32_e64 v123, v13, v4, s[2:3]
	v_cndmask_b32_e32 v122, v12, v8, vcc
	v_cmp_lt_u64_e32 vcc, v[122:123], v[18:19]
	v_readlane_b32 s1, v135, 1
	s_nop 0
	v_cndmask_b32_e32 v4, v19, v123, vcc
	s_and_b64 vcc, s[4:5], vcc
	v_cndmask_b32_e64 v83, v19, v4, s[4:5]
	v_cndmask_b32_e32 v82, v18, v122, vcc
	v_cmp_lt_u64_e32 vcc, v[82:83], v[6:7]
	s_nop 1
	v_cndmask_b32_e32 v4, v7, v83, vcc
	s_and_b64 vcc, s[6:7], vcc
	v_cndmask_b32_e64 v85, v7, v4, s[6:7]
	v_cndmask_b32_e32 v84, v6, v82, vcc
	v_cmp_lt_u64_e32 vcc, v[84:85], v[26:27]
	;; [unrolled: 6-line block ×19, first 2 shown]
	s_nop 1
	v_cndmask_b32_e32 v4, v21, v77, vcc
	s_and_b64 vcc, s[44:45], vcc
	v_cndmask_b32_e64 v121, v21, v4, s[44:45]
	v_cndmask_b32_e32 v120, v20, v76, vcc
	s_branch .LBB72_233
.LBB72_203:
                                        ; implicit-def: $vgpr122_vgpr123
                                        ; implicit-def: $vgpr120_vgpr121
                                        ; implicit-def: $vgpr76_vgpr77
                                        ; implicit-def: $vgpr72_vgpr73
                                        ; implicit-def: $vgpr68_vgpr69
                                        ; implicit-def: $vgpr64_vgpr65
                                        ; implicit-def: $vgpr60_vgpr61
                                        ; implicit-def: $vgpr56_vgpr57
                                        ; implicit-def: $vgpr52_vgpr53
                                        ; implicit-def: $vgpr48_vgpr49
                                        ; implicit-def: $vgpr44_vgpr45
                                        ; implicit-def: $vgpr116_vgpr117_vgpr118_vgpr119
                                        ; implicit-def: $vgpr112_vgpr113_vgpr114_vgpr115
                                        ; implicit-def: $vgpr108_vgpr109_vgpr110_vgpr111
                                        ; implicit-def: $vgpr104_vgpr105_vgpr106_vgpr107
                                        ; implicit-def: $vgpr100_vgpr101_vgpr102_vgpr103
                                        ; implicit-def: $vgpr96_vgpr97_vgpr98_vgpr99
                                        ; implicit-def: $vgpr92_vgpr93_vgpr94_vgpr95
                                        ; implicit-def: $vgpr88_vgpr89_vgpr90_vgpr91
                                        ; implicit-def: $vgpr84_vgpr85_vgpr86_vgpr87
                                        ; implicit-def: $vgpr80_vgpr81_vgpr82_vgpr83
	s_cbranch_execz .LBB72_233
; %bb.204:
	s_cmp_lg_u64 s[70:71], 0
	s_cselect_b64 s[2:3], -1, 0
	v_cmp_eq_u32_e32 vcc, 0, v0
	v_cmp_ne_u32_e64 s[4:5], 0, v0
	s_and_b64 s[2:3], vcc, s[2:3]
	s_and_saveexec_b64 s[8:9], s[2:3]
	s_cbranch_execz .LBB72_206
; %bb.205:
	v_mov_b32_e32 v4, 0
	global_load_ubyte v5, v4, s[70:71] offset:8
	s_load_dwordx2 s[10:11], s[70:71], 0x0
	v_cmp_eq_u16_sdwa s[6:7], v1, v4 src0_sel:BYTE_0 src1_sel:DWORD
	s_waitcnt lgkmcnt(0)
	v_mov_b32_e32 v8, s11
	v_cmp_lt_u64_e64 s[2:3], s[10:11], v[2:3]
	v_mov_b32_e32 v4, s10
	s_waitcnt vmcnt(0)
	v_or_b32_e32 v1, v1, v5
	v_cndmask_b32_e64 v8, v3, v8, s[2:3]
	s_and_b64 s[2:3], s[6:7], s[2:3]
	v_cndmask_b32_e64 v3, v3, v8, s[6:7]
	v_cndmask_b32_e64 v2, v2, v4, s[2:3]
	v_and_b32_e32 v1, 1, v1
.LBB72_206:
	s_or_b64 exec, exec, s[8:9]
	v_and_b32_e32 v4, 1, v1
	v_cmp_eq_u32_e64 s[48:49], 1, v4
	v_mov_b32_e32 v4, 0
	v_cmp_eq_u16_sdwa s[46:47], v130, v4 src0_sel:BYTE_0 src1_sel:DWORD
	v_cmp_lt_u64_e64 s[2:3], v[2:3], v[18:19]
	s_and_b64 s[2:3], s[46:47], s[2:3]
	v_cmp_eq_u16_sdwa s[42:43], v134, v4 src0_sel:BYTE_0 src1_sel:DWORD
	v_cndmask_b32_e64 v83, v19, v3, s[2:3]
	v_cndmask_b32_e64 v82, v18, v2, s[2:3]
	v_cmp_lt_u64_e64 s[2:3], v[82:83], v[6:7]
	s_movk_i32 s8, 0xff
	s_and_b64 s[2:3], s[42:43], s[2:3]
	v_cndmask_b32_e64 v85, v7, v83, s[2:3]
	v_cndmask_b32_e64 v84, v6, v82, s[2:3]
	v_and_b32_sdwa v5, v130, s8 dst_sel:DWORD dst_unused:UNUSED_PAD src0_sel:WORD_1 src1_sel:DWORD
	v_cmp_eq_u16_e64 s[44:45], 0, v5
	v_cmp_lt_u64_e64 s[2:3], v[84:85], v[26:27]
	s_and_b64 s[2:3], s[44:45], s[2:3]
	v_cmp_eq_u16_sdwa s[40:41], v130, v4 src0_sel:BYTE_3 src1_sel:DWORD
	v_cndmask_b32_e64 v45, v27, v85, s[2:3]
	v_cndmask_b32_e64 v44, v26, v84, s[2:3]
	v_cmp_lt_u64_e64 s[2:3], v[44:45], v[14:15]
	s_and_b64 s[2:3], s[40:41], s[2:3]
	v_cmp_eq_u16_sdwa s[36:37], v125, v4 src0_sel:BYTE_0 src1_sel:DWORD
	v_cndmask_b32_e64 v89, v15, v45, s[2:3]
	v_cndmask_b32_e64 v88, v14, v44, s[2:3]
	v_cmp_lt_u64_e64 s[2:3], v[88:89], v[34:35]
	s_and_b64 s[2:3], s[36:37], s[2:3]
	v_cmp_eq_u16_sdwa s[38:39], v129, v4 src0_sel:BYTE_0 src1_sel:DWORD
	v_cndmask_b32_e64 v49, v35, v89, s[2:3]
	v_cndmask_b32_e64 v48, v34, v88, s[2:3]
	v_cmp_lt_u64_e64 s[2:3], v[48:49], v[22:23]
	s_and_b64 s[2:3], s[38:39], s[2:3]
	v_cmp_eq_u16_sdwa s[30:31], v132, v4 src0_sel:BYTE_0 src1_sel:DWORD
	v_cndmask_b32_e64 v93, v23, v49, s[2:3]
	v_cndmask_b32_e64 v92, v22, v48, s[2:3]
	v_cmp_lt_u64_e64 s[2:3], v[92:93], v[42:43]
	s_and_b64 s[2:3], s[30:31], s[2:3]
	v_and_b32_sdwa v5, v129, s8 dst_sel:DWORD dst_unused:UNUSED_PAD src0_sel:WORD_1 src1_sel:DWORD
	v_cndmask_b32_e64 v53, v43, v93, s[2:3]
	v_cndmask_b32_e64 v52, v42, v92, s[2:3]
	v_cmp_eq_u16_e64 s[34:35], 0, v5
	v_cmp_lt_u64_e64 s[2:3], v[52:53], v[30:31]
	s_and_b64 s[2:3], s[34:35], s[2:3]
	v_cmp_eq_u16_sdwa s[28:29], v129, v4 src0_sel:BYTE_3 src1_sel:DWORD
	v_cndmask_b32_e64 v97, v31, v53, s[2:3]
	v_cndmask_b32_e64 v96, v30, v52, s[2:3]
	v_cmp_lt_u64_e64 s[2:3], v[96:97], v[50:51]
	s_and_b64 s[2:3], s[28:29], s[2:3]
	v_cmp_eq_u16_sdwa s[24:25], v126, v4 src0_sel:BYTE_0 src1_sel:DWORD
	v_cndmask_b32_e64 v57, v51, v97, s[2:3]
	v_cndmask_b32_e64 v56, v50, v96, s[2:3]
	v_cmp_lt_u64_e64 s[2:3], v[56:57], v[38:39]
	s_and_b64 s[2:3], s[24:25], s[2:3]
	v_cmp_eq_u16_sdwa s[26:27], v128, v4 src0_sel:BYTE_0 src1_sel:DWORD
	v_cndmask_b32_e64 v101, v39, v57, s[2:3]
	v_cndmask_b32_e64 v100, v38, v56, s[2:3]
	v_cmp_lt_u64_e64 s[6:7], v[100:101], v[58:59]
	s_and_b64 s[6:7], s[26:27], s[6:7]
	v_cmp_eq_u16_sdwa s[20:21], v41, v4 src0_sel:BYTE_0 src1_sel:DWORD
	v_cndmask_b32_e64 v61, v59, v101, s[6:7]
	v_cndmask_b32_e64 v60, v58, v100, s[6:7]
	v_cmp_lt_u64_e64 s[6:7], v[60:61], v[46:47]
	s_and_b64 s[6:7], s[20:21], s[6:7]
	v_and_b32_sdwa v5, v128, s8 dst_sel:DWORD dst_unused:UNUSED_PAD src0_sel:WORD_1 src1_sel:DWORD
	v_cndmask_b32_e64 v105, v47, v61, s[6:7]
	v_cndmask_b32_e64 v104, v46, v60, s[6:7]
	;; [unrolled: 26-line block ×3, first 2 shown]
	v_cmp_eq_u16_e64 s[12:13], 0, v5
	v_cmp_lt_u64_e64 s[6:7], v[72:73], v[70:71]
	s_and_b64 s[6:7], s[12:13], s[6:7]
	v_cmp_eq_u16_sdwa s[8:9], v127, v4 src0_sel:BYTE_3 src1_sel:DWORD
	v_cndmask_b32_e64 v117, v71, v73, s[6:7]
	v_cndmask_b32_e64 v116, v70, v72, s[6:7]
	v_cmp_lt_u64_e64 s[6:7], v[116:117], v[10:11]
	s_and_b64 s[6:7], s[8:9], s[6:7]
	v_mov_b32_e32 v9, 1
	v_cndmask_b32_e64 v77, v11, v117, s[6:7]
	v_cndmask_b32_e64 v76, v10, v116, s[6:7]
	v_cmp_eq_u16_sdwa s[6:7], v36, v4 src0_sel:BYTE_0 src1_sel:DWORD
	v_or_b32_e32 v4, v127, v128
	v_or3_b32 v4, v4, v129, v130
	v_lshrrev_b16_e32 v8, 7, v4
	v_and_b32_e32 v5, 1, v4
	v_and_b32_e32 v8, 2, v8
	v_or_b32_e32 v5, v5, v8
	v_lshrrev_b32_e32 v8, 23, v4
	v_and_b32_e32 v8, 2, v8
	v_and_b32_sdwa v4, v4, v9 dst_sel:DWORD dst_unused:UNUSED_PAD src0_sel:WORD_1 src1_sel:DWORD
	v_or_b32_e32 v4, v4, v8
	v_cmp_lt_u64_e64 s[54:55], v[76:77], v[20:21]
	v_lshlrev_b16_e32 v4, 2, v4
	s_and_b64 s[54:55], s[6:7], s[54:55]
	v_or_b32_e32 v4, v5, v4
	v_cndmask_b32_e64 v121, v21, v77, s[54:55]
	v_cndmask_b32_e64 v120, v20, v76, s[54:55]
	v_cmp_eq_u32_e64 s[54:55], 1, v33
	v_cmp_ne_u16_e64 s[56:57], 0, v4
	v_cmp_eq_u32_e64 s[52:53], 1, v37
	s_or_b64 s[54:55], s[56:57], s[54:55]
	v_cmp_eq_u32_e64 s[2:3], 1, v131
	s_or_b64 s[52:53], s[54:55], s[52:53]
	;; [unrolled: 2-line block ×3, first 2 shown]
	s_or_b64 s[2:3], s[2:3], s[50:51]
	s_or_b64 s[48:49], s[2:3], s[48:49]
	v_mbcnt_hi_u32_b32 v16, -1, v32
	v_and_b32_e32 v25, 15, v16
	v_cndmask_b32_e64 v24, 0, 1, s[48:49]
	v_cndmask_b32_e64 v17, 0, 1, s[48:49]
	v_mov_b32_dpp v12, v120 row_shr:1 row_mask:0xf bank_mask:0xf
	v_mov_b32_dpp v13, v121 row_shr:1 row_mask:0xf bank_mask:0xf
	;; [unrolled: 1-line block ×3, first 2 shown]
	v_cmp_ne_u32_e64 s[2:3], 0, v25
	v_mov_b32_e32 v4, v120
	v_mov_b32_e32 v5, v121
	v_mov_b64_e32 v[8:9], v[120:121]
	s_and_saveexec_b64 s[50:51], s[2:3]
; %bb.207:
	v_and_b32_e32 v4, 1, v28
	v_cmp_lt_u64_e64 s[2:3], v[12:13], v[120:121]
	v_or_b32_e32 v17, v4, v17
	v_and_b32_e32 v24, 0xffff, v17
	v_cndmask_b32_e64 v4, v120, v12, s[2:3]
	v_cndmask_b32_e64 v5, v121, v13, s[2:3]
	;; [unrolled: 1-line block ×4, first 2 shown]
	v_mov_b64_e32 v[8:9], v[4:5]
; %bb.208:
	s_or_b64 exec, exec, s[50:51]
	v_mov_b32_dpp v12, v4 row_shr:2 row_mask:0xf bank_mask:0xf
	v_mov_b32_dpp v13, v5 row_shr:2 row_mask:0xf bank_mask:0xf
	v_mov_b32_dpp v28, v24 row_shr:2 row_mask:0xf bank_mask:0xf
	v_cmp_lt_u32_e64 s[2:3], 1, v25
	s_and_saveexec_b64 s[50:51], s[2:3]
	s_cbranch_execz .LBB72_210
; %bb.209:
	v_and_b32_e32 v4, 1, v17
	v_cmp_eq_u32_e64 s[2:3], 1, v4
	v_and_b32_e32 v4, 1, v28
	v_cmp_eq_u32_e64 s[48:49], 1, v4
	s_or_b64 s[52:53], s[2:3], s[48:49]
	v_cmp_eq_u16_e64 s[2:3], 0, v17
	v_cmp_lt_u64_e64 s[48:49], v[12:13], v[8:9]
	s_and_b64 s[2:3], s[2:3], s[48:49]
	v_cndmask_b32_e64 v28, 0, 1, s[52:53]
	v_cndmask_b32_e64 v5, v9, v13, s[2:3]
	v_cndmask_b32_e64 v4, v8, v12, s[2:3]
	v_cndmask_b32_e64 v24, 0, 1, s[52:53]
	v_mov_b32_e32 v17, v28
	v_mov_b64_e32 v[8:9], v[4:5]
.LBB72_210:
	s_or_b64 exec, exec, s[50:51]
	v_mov_b32_dpp v12, v4 row_shr:4 row_mask:0xf bank_mask:0xf
	v_mov_b32_dpp v13, v5 row_shr:4 row_mask:0xf bank_mask:0xf
	v_mov_b32_dpp v28, v24 row_shr:4 row_mask:0xf bank_mask:0xf
	v_cmp_lt_u32_e64 s[2:3], 3, v25
	s_and_saveexec_b64 s[50:51], s[2:3]
	s_cbranch_execz .LBB72_212
; %bb.211:
	v_and_b32_e32 v4, 1, v17
	v_cmp_eq_u32_e64 s[2:3], 1, v4
	v_and_b32_e32 v4, 1, v28
	v_cmp_eq_u32_e64 s[48:49], 1, v4
	s_or_b64 s[52:53], s[2:3], s[48:49]
	v_cmp_eq_u16_e64 s[2:3], 0, v17
	v_cmp_lt_u64_e64 s[48:49], v[12:13], v[8:9]
	s_and_b64 s[2:3], s[2:3], s[48:49]
	v_cndmask_b32_e64 v28, 0, 1, s[52:53]
	v_cndmask_b32_e64 v5, v9, v13, s[2:3]
	v_cndmask_b32_e64 v4, v8, v12, s[2:3]
	v_cndmask_b32_e64 v24, 0, 1, s[52:53]
	v_mov_b32_e32 v17, v28
	v_mov_b64_e32 v[8:9], v[4:5]
.LBB72_212:
	;; [unrolled: 23-line block ×3, first 2 shown]
	s_or_b64 exec, exec, s[50:51]
	v_and_b32_e32 v28, 16, v16
	v_mov_b32_dpp v12, v4 row_bcast:15 row_mask:0xf bank_mask:0xf
	v_mov_b32_dpp v13, v5 row_bcast:15 row_mask:0xf bank_mask:0xf
	;; [unrolled: 1-line block ×3, first 2 shown]
	v_cmp_ne_u32_e64 s[2:3], 0, v28
	s_and_saveexec_b64 s[50:51], s[2:3]
	s_cbranch_execz .LBB72_216
; %bb.215:
	v_and_b32_e32 v4, 1, v17
	v_cmp_eq_u32_e64 s[2:3], 1, v4
	v_and_b32_e32 v4, 1, v25
	v_cmp_eq_u32_e64 s[48:49], 1, v4
	s_or_b64 s[52:53], s[2:3], s[48:49]
	v_cmp_eq_u16_e64 s[2:3], 0, v17
	v_cmp_lt_u64_e64 s[48:49], v[12:13], v[8:9]
	s_and_b64 s[2:3], s[2:3], s[48:49]
	v_cndmask_b32_e64 v25, 0, 1, s[52:53]
	v_cndmask_b32_e64 v5, v9, v13, s[2:3]
	;; [unrolled: 1-line block ×4, first 2 shown]
	v_mov_b32_e32 v17, v25
	v_mov_b64_e32 v[8:9], v[4:5]
.LBB72_216:
	s_or_b64 exec, exec, s[50:51]
	v_mov_b32_dpp v12, v4 row_bcast:31 row_mask:0xf bank_mask:0xf
	v_mov_b32_dpp v13, v5 row_bcast:31 row_mask:0xf bank_mask:0xf
	;; [unrolled: 1-line block ×3, first 2 shown]
	v_cmp_lt_u32_e64 s[2:3], 31, v16
	s_and_saveexec_b64 s[50:51], s[2:3]
	s_cbranch_execz .LBB72_218
; %bb.217:
	v_and_b32_e32 v4, 1, v17
	v_cmp_eq_u32_e64 s[2:3], 1, v4
	v_and_b32_e32 v4, 1, v24
	v_cmp_eq_u32_e64 s[48:49], 1, v4
	s_or_b64 s[2:3], s[2:3], s[48:49]
	v_cndmask_b32_e64 v24, 0, 1, s[2:3]
	v_cmp_eq_u16_e64 s[2:3], 0, v17
	v_cmp_lt_u64_e64 s[48:49], v[12:13], v[8:9]
	s_and_b64 s[2:3], s[2:3], s[48:49]
	v_cndmask_b32_e64 v5, v9, v13, s[2:3]
	v_cndmask_b32_e64 v4, v8, v12, s[2:3]
	v_mov_b32_e32 v17, v24
	v_mov_b64_e32 v[8:9], v[4:5]
.LBB72_218:
	s_or_b64 exec, exec, s[50:51]
	v_or_b32_e32 v12, 63, v0
	v_lshrrev_b32_e32 v24, 6, v0
	v_cmp_eq_u32_e64 s[2:3], v12, v0
	s_and_saveexec_b64 s[48:49], s[2:3]
	s_cbranch_execz .LBB72_220
; %bb.219:
	v_lshlrev_b32_e32 v12, 4, v24
	ds_write_b64 v12, v[8:9]
	ds_write_b8 v12, v17 offset:8
.LBB72_220:
	s_or_b64 exec, exec, s[48:49]
	v_cmp_gt_u32_e64 s[2:3], 4, v0
	s_waitcnt lgkmcnt(0)
	s_barrier
	s_and_saveexec_b64 s[50:51], s[2:3]
	s_cbranch_execz .LBB72_226
; %bb.221:
	v_lshlrev_b32_e32 v25, 4, v0
	ds_read_b64 v[8:9], v25
	ds_read_b32 v29, v25 offset:8
	v_and_b32_e32 v32, 3, v16
	v_cmp_ne_u32_e64 s[2:3], 0, v32
	s_waitcnt lgkmcnt(1)
	v_mov_b32_dpp v12, v8 row_shr:1 row_mask:0xf bank_mask:0xf
	v_mov_b32_dpp v13, v9 row_shr:1 row_mask:0xf bank_mask:0xf
	s_waitcnt lgkmcnt(0)
	v_mov_b32_dpp v36, v29 row_shr:1 row_mask:0xf bank_mask:0xf
	v_mov_b32_e32 v28, v29
	v_mov_b32_e32 v33, v29
	s_and_saveexec_b64 s[48:49], s[2:3]
; %bb.222:
	v_or_b32_e32 v33, v36, v29
	v_mov_b32_e32 v36, 0
	v_cmp_eq_u16_sdwa s[52:53], v29, v36 src0_sel:BYTE_0 src1_sel:DWORD
	v_cmp_lt_u64_e64 s[2:3], v[12:13], v[8:9]
	s_and_b64 s[2:3], s[52:53], s[2:3]
	v_and_b32_e32 v28, 1, v33
	v_cndmask_b32_e64 v9, v9, v13, s[2:3]
	v_cndmask_b32_e64 v8, v8, v12, s[2:3]
	v_and_b32_e32 v33, 1, v33
	s_movk_i32 s2, 0xff00
	v_and_or_b32 v29, v29, s2, v33
; %bb.223:
	s_or_b64 exec, exec, s[48:49]
	v_mov_b32_dpp v12, v8 row_shr:2 row_mask:0xf bank_mask:0xf
	v_mov_b32_dpp v13, v9 row_shr:2 row_mask:0xf bank_mask:0xf
	;; [unrolled: 1-line block ×3, first 2 shown]
	v_cmp_lt_u32_e64 s[2:3], 1, v32
	s_and_saveexec_b64 s[52:53], s[2:3]
	s_cbranch_execz .LBB72_225
; %bb.224:
	v_and_b32_e32 v28, 1, v33
	v_cmp_eq_u32_e64 s[2:3], 1, v28
	v_and_b32_e32 v28, 1, v29
	v_cmp_eq_u32_e64 s[48:49], 1, v28
	s_or_b64 s[2:3], s[2:3], s[48:49]
	v_mov_b32_e32 v29, 0
	v_cndmask_b32_e64 v28, 0, 1, s[2:3]
	v_cmp_lt_u64_e64 s[2:3], v[12:13], v[8:9]
	v_cmp_eq_u16_sdwa s[48:49], v33, v29 src0_sel:BYTE_0 src1_sel:DWORD
	s_nop 0
	v_cndmask_b32_e64 v13, v9, v13, s[2:3]
	s_and_b64 s[2:3], s[48:49], s[2:3]
	v_cndmask_b32_e64 v9, v9, v13, s[48:49]
	v_cndmask_b32_e64 v8, v8, v12, s[2:3]
.LBB72_225:
	s_or_b64 exec, exec, s[52:53]
	ds_write_b64 v25, v[8:9]
	ds_write_b8 v25, v28 offset:8
.LBB72_226:
	s_or_b64 exec, exec, s[50:51]
	v_cmp_lt_u32_e64 s[2:3], 63, v0
	v_mov_b64_e32 v[8:9], 0
	s_waitcnt lgkmcnt(0)
	s_barrier
	s_and_saveexec_b64 s[50:51], s[2:3]
	s_cbranch_execz .LBB72_228
; %bb.227:
	v_lshl_add_u32 v8, v24, 4, -16
	ds_read_b64 v[8:9], v8
	v_cmp_eq_u16_e64 s[2:3], 0, v17
	s_waitcnt lgkmcnt(0)
	v_cmp_lt_u64_e64 s[48:49], v[8:9], v[4:5]
	s_and_b64 s[2:3], s[2:3], s[48:49]
	v_cndmask_b32_e64 v4, v4, v8, s[2:3]
	v_cndmask_b32_e64 v5, v5, v9, s[2:3]
.LBB72_228:
	s_or_b64 exec, exec, s[50:51]
	v_add_u32_e32 v12, -1, v16
	v_and_b32_e32 v13, 64, v16
	v_cmp_lt_i32_e64 s[2:3], v12, v13
	s_nop 1
	v_cndmask_b32_e64 v12, v12, v16, s[2:3]
	v_lshlrev_b32_e32 v12, 2, v12
	ds_bpermute_b32 v4, v12, v4
	ds_bpermute_b32 v5, v12, v5
	s_and_saveexec_b64 s[48:49], s[4:5]
	s_cbranch_execz .LBB72_230
; %bb.229:
	v_cmp_eq_u32_e64 s[2:3], 0, v16
	s_waitcnt lgkmcnt(0)
	s_nop 0
	v_cndmask_b32_e64 v5, v5, v9, s[2:3]
	v_cndmask_b32_e64 v4, v4, v8, s[2:3]
	v_mov_b32_e32 v8, 0
	v_cmp_lt_u64_e64 s[2:3], v[4:5], v[2:3]
	v_cmp_eq_u16_sdwa s[4:5], v1, v8 src0_sel:BYTE_0 src1_sel:DWORD
	s_nop 0
	v_cndmask_b32_e64 v5, v3, v5, s[2:3]
	s_and_b64 s[2:3], s[4:5], s[2:3]
	v_cndmask_b32_e64 v3, v3, v5, s[4:5]
	v_cndmask_b32_e64 v2, v2, v4, s[2:3]
	v_cmp_lt_u64_e64 s[2:3], v[2:3], v[18:19]
	s_nop 1
	v_cndmask_b32_e64 v1, v19, v3, s[2:3]
	s_and_b64 s[2:3], s[46:47], s[2:3]
	v_cndmask_b32_e64 v83, v19, v1, s[46:47]
	v_cndmask_b32_e64 v82, v18, v2, s[2:3]
	v_cmp_lt_u64_e64 s[2:3], v[82:83], v[6:7]
	s_nop 1
	v_cndmask_b32_e64 v1, v7, v83, s[2:3]
	s_and_b64 s[2:3], s[42:43], s[2:3]
	v_cndmask_b32_e64 v85, v7, v1, s[42:43]
	v_cndmask_b32_e64 v84, v6, v82, s[2:3]
	v_cmp_lt_u64_e64 s[2:3], v[84:85], v[26:27]
	s_nop 1
	v_cndmask_b32_e64 v1, v27, v85, s[2:3]
	s_and_b64 s[2:3], s[44:45], s[2:3]
	v_cndmask_b32_e64 v45, v27, v1, s[44:45]
	v_cndmask_b32_e64 v44, v26, v84, s[2:3]
	v_cmp_lt_u64_e64 s[2:3], v[44:45], v[14:15]
	s_nop 1
	v_cndmask_b32_e64 v1, v15, v45, s[2:3]
	s_and_b64 s[2:3], s[40:41], s[2:3]
	v_cndmask_b32_e64 v89, v15, v1, s[40:41]
	v_cndmask_b32_e64 v88, v14, v44, s[2:3]
	v_cmp_lt_u64_e64 s[2:3], v[88:89], v[34:35]
	s_nop 1
	v_cndmask_b32_e64 v1, v35, v89, s[2:3]
	s_and_b64 s[2:3], s[36:37], s[2:3]
	v_cndmask_b32_e64 v49, v35, v1, s[36:37]
	v_cndmask_b32_e64 v48, v34, v88, s[2:3]
	v_cmp_lt_u64_e64 s[2:3], v[48:49], v[22:23]
	s_nop 1
	v_cndmask_b32_e64 v1, v23, v49, s[2:3]
	s_and_b64 s[2:3], s[38:39], s[2:3]
	v_cndmask_b32_e64 v93, v23, v1, s[38:39]
	v_cndmask_b32_e64 v92, v22, v48, s[2:3]
	v_cmp_lt_u64_e64 s[2:3], v[92:93], v[42:43]
	s_nop 1
	v_cndmask_b32_e64 v1, v43, v93, s[2:3]
	s_and_b64 s[2:3], s[30:31], s[2:3]
	v_cndmask_b32_e64 v53, v43, v1, s[30:31]
	v_cndmask_b32_e64 v52, v42, v92, s[2:3]
	v_cmp_lt_u64_e64 s[2:3], v[52:53], v[30:31]
	s_nop 1
	v_cndmask_b32_e64 v1, v31, v53, s[2:3]
	s_and_b64 s[2:3], s[34:35], s[2:3]
	v_cndmask_b32_e64 v97, v31, v1, s[34:35]
	v_cndmask_b32_e64 v96, v30, v52, s[2:3]
	v_cmp_lt_u64_e64 s[2:3], v[96:97], v[50:51]
	s_nop 1
	v_cndmask_b32_e64 v1, v51, v97, s[2:3]
	s_and_b64 s[2:3], s[28:29], s[2:3]
	v_cndmask_b32_e64 v57, v51, v1, s[28:29]
	v_cndmask_b32_e64 v56, v50, v96, s[2:3]
	v_cmp_lt_u64_e64 s[2:3], v[56:57], v[38:39]
	s_nop 1
	v_cndmask_b32_e64 v1, v39, v57, s[2:3]
	s_and_b64 s[2:3], s[24:25], s[2:3]
	v_cndmask_b32_e64 v101, v39, v1, s[24:25]
	v_cndmask_b32_e64 v100, v38, v56, s[2:3]
	v_cmp_lt_u64_e64 s[2:3], v[100:101], v[58:59]
	s_nop 1
	v_cndmask_b32_e64 v1, v59, v101, s[2:3]
	s_and_b64 s[2:3], s[26:27], s[2:3]
	v_cndmask_b32_e64 v61, v59, v1, s[26:27]
	v_cndmask_b32_e64 v60, v58, v100, s[2:3]
	v_cmp_lt_u64_e64 s[2:3], v[60:61], v[46:47]
	s_nop 1
	v_cndmask_b32_e64 v1, v47, v61, s[2:3]
	s_and_b64 s[2:3], s[20:21], s[2:3]
	v_cndmask_b32_e64 v105, v47, v1, s[20:21]
	v_cndmask_b32_e64 v104, v46, v60, s[2:3]
	v_cmp_lt_u64_e64 s[2:3], v[104:105], v[66:67]
	s_nop 1
	v_cndmask_b32_e64 v1, v67, v105, s[2:3]
	s_and_b64 s[2:3], s[22:23], s[2:3]
	v_cndmask_b32_e64 v65, v67, v1, s[22:23]
	v_cndmask_b32_e64 v64, v66, v104, s[2:3]
	v_cmp_lt_u64_e64 s[2:3], v[64:65], v[54:55]
	s_nop 1
	v_cndmask_b32_e64 v1, v55, v65, s[2:3]
	s_and_b64 s[2:3], s[18:19], s[2:3]
	v_cndmask_b32_e64 v109, v55, v1, s[18:19]
	v_cndmask_b32_e64 v108, v54, v64, s[2:3]
	v_cmp_lt_u64_e64 s[2:3], v[108:109], v[74:75]
	s_nop 1
	v_cndmask_b32_e64 v1, v75, v109, s[2:3]
	s_and_b64 s[2:3], s[14:15], s[2:3]
	v_cndmask_b32_e64 v69, v75, v1, s[14:15]
	v_cndmask_b32_e64 v68, v74, v108, s[2:3]
	v_cmp_lt_u64_e64 s[2:3], v[68:69], v[62:63]
	s_nop 1
	v_cndmask_b32_e64 v1, v63, v69, s[2:3]
	s_and_b64 s[2:3], s[16:17], s[2:3]
	v_cndmask_b32_e64 v113, v63, v1, s[16:17]
	v_cndmask_b32_e64 v112, v62, v68, s[2:3]
	v_cmp_lt_u64_e64 s[2:3], v[112:113], v[78:79]
	s_nop 1
	v_cndmask_b32_e64 v1, v79, v113, s[2:3]
	s_and_b64 s[2:3], s[10:11], s[2:3]
	v_cndmask_b32_e64 v73, v79, v1, s[10:11]
	v_cndmask_b32_e64 v72, v78, v112, s[2:3]
	v_cmp_lt_u64_e64 s[2:3], v[72:73], v[70:71]
	s_nop 1
	v_cndmask_b32_e64 v1, v71, v73, s[2:3]
	s_and_b64 s[2:3], s[12:13], s[2:3]
	v_cndmask_b32_e64 v117, v71, v1, s[12:13]
	v_cndmask_b32_e64 v116, v70, v72, s[2:3]
	v_cmp_lt_u64_e64 s[2:3], v[116:117], v[10:11]
	s_nop 1
	v_cndmask_b32_e64 v1, v11, v117, s[2:3]
	s_and_b64 s[2:3], s[8:9], s[2:3]
	v_cndmask_b32_e64 v77, v11, v1, s[8:9]
	v_cndmask_b32_e64 v76, v10, v116, s[2:3]
	v_cmp_lt_u64_e64 s[2:3], v[76:77], v[20:21]
	s_nop 1
	v_cndmask_b32_e64 v1, v21, v77, s[2:3]
	s_and_b64 s[2:3], s[6:7], s[2:3]
	v_cndmask_b32_e64 v121, v21, v1, s[6:7]
	v_cndmask_b32_e64 v120, v20, v76, s[2:3]
.LBB72_230:
	s_or_b64 exec, exec, s[48:49]
	s_and_saveexec_b64 s[2:3], vcc
	s_cbranch_execz .LBB72_232
; %bb.231:
	v_mov_b32_e32 v1, 0
	s_waitcnt lgkmcnt(0)
	ds_read_b64 v[4:5], v1 offset:48
	ds_read_u8 v6, v1 offset:56
	s_waitcnt lgkmcnt(1)
	global_store_dword v1, v4, s[94:95] offset:1024 sc1
	global_store_dword v1, v5, s[94:95] offset:1028 sc1
	s_waitcnt lgkmcnt(0)
	global_store_dword v1, v6, s[94:95] offset:1032 sc1
	global_store_dword v1, v1, s[94:95] offset:1036 sc1
	v_mov_b32_e32 v4, 2
	s_waitcnt vmcnt(0)
	global_store_byte v1, v4, s[96:97] offset:64 sc1
.LBB72_232:
	s_or_b64 exec, exec, s[2:3]
	v_mov_b64_e32 v[122:123], v[2:3]
.LBB72_233:
	s_load_dwordx2 s[0:1], s[0:1], 0x18
	v_lshlrev_b32_e32 v42, 3, v0
	s_waitcnt lgkmcnt(0)
	s_add_u32 s0, s0, s64
	s_addc_u32 s1, s1, s65
	s_and_b64 vcc, exec, s[90:91]
	s_cbranch_vccz .LBB72_275
; %bb.234:
	s_movk_i32 s2, 0xa8
	v_mul_i32_i24_e32 v50, 0xffffff60, v0
	v_mul_u32_u24_e32 v1, 0xa8, v0
	v_mad_u32_u24 v2, v0, s2, v50
	s_barrier
	ds_write2_b64 v1, v[122:123], v[82:83] offset1:1
	ds_write2_b64 v1, v[84:85], v[44:45] offset0:2 offset1:3
	ds_write2_b64 v1, v[88:89], v[48:49] offset0:4 offset1:5
	;; [unrolled: 1-line block ×9, first 2 shown]
	ds_write_b64 v1, v[120:121] offset:160
	s_waitcnt lgkmcnt(0)
	s_barrier
	ds_read2st64_b64 v[38:41], v2 offset0:4 offset1:8
	ds_read2st64_b64 v[34:37], v2 offset0:12 offset1:16
	;; [unrolled: 1-line block ×10, first 2 shown]
	s_add_i32 s33, s33, s98
	v_mov_b32_e32 v43, 0
	v_lshl_add_u64 v[46:47], s[0:1], 0, v[42:43]
	v_cmp_gt_u32_e32 vcc, s33, v0
	s_and_saveexec_b64 s[2:3], vcc
	s_cbranch_execz .LBB72_236
; %bb.235:
	v_add_u32_e32 v1, v1, v50
	ds_read_b64 v[50:51], v1
	s_waitcnt lgkmcnt(0)
	global_store_dwordx2 v[46:47], v[50:51], off
.LBB72_236:
	s_or_b64 exec, exec, s[2:3]
	v_or_b32_e32 v1, 0x100, v0
	v_cmp_gt_u32_e32 vcc, s33, v1
	s_and_saveexec_b64 s[2:3], vcc
	s_cbranch_execz .LBB72_238
; %bb.237:
	s_waitcnt lgkmcnt(9)
	global_store_dwordx2 v[46:47], v[38:39], off offset:2048
.LBB72_238:
	s_or_b64 exec, exec, s[2:3]
	v_or_b32_e32 v1, 0x200, v0
	v_cmp_gt_u32_e32 vcc, s33, v1
	s_and_saveexec_b64 s[2:3], vcc
	s_cbranch_execz .LBB72_240
; %bb.239:
	s_waitcnt lgkmcnt(9)
	v_add_co_u32_e32 v38, vcc, 0x1000, v46
	s_nop 1
	v_addc_co_u32_e32 v39, vcc, 0, v47, vcc
	global_store_dwordx2 v[38:39], v[40:41], off
.LBB72_240:
	s_or_b64 exec, exec, s[2:3]
	v_or_b32_e32 v1, 0x300, v0
	v_cmp_gt_u32_e32 vcc, s33, v1
	s_and_saveexec_b64 s[2:3], vcc
	s_cbranch_execz .LBB72_242
; %bb.241:
	s_waitcnt lgkmcnt(9)
	v_add_co_u32_e32 v38, vcc, 0x1000, v46
	s_nop 1
	v_addc_co_u32_e32 v39, vcc, 0, v47, vcc
	s_waitcnt lgkmcnt(8)
	global_store_dwordx2 v[38:39], v[34:35], off offset:2048
.LBB72_242:
	s_or_b64 exec, exec, s[2:3]
	v_or_b32_e32 v1, 0x400, v0
	v_cmp_gt_u32_e32 vcc, s33, v1
	s_and_saveexec_b64 s[2:3], vcc
	s_cbranch_execz .LBB72_244
; %bb.243:
	s_waitcnt lgkmcnt(8)
	v_add_co_u32_e32 v34, vcc, 0x2000, v46
	s_nop 1
	v_addc_co_u32_e32 v35, vcc, 0, v47, vcc
	global_store_dwordx2 v[34:35], v[36:37], off
.LBB72_244:
	s_or_b64 exec, exec, s[2:3]
	v_or_b32_e32 v1, 0x500, v0
	v_cmp_gt_u32_e32 vcc, s33, v1
	s_and_saveexec_b64 s[2:3], vcc
	s_cbranch_execz .LBB72_246
; %bb.245:
	s_waitcnt lgkmcnt(8)
	v_add_co_u32_e32 v34, vcc, 0x2000, v46
	s_nop 1
	v_addc_co_u32_e32 v35, vcc, 0, v47, vcc
	s_waitcnt lgkmcnt(7)
	global_store_dwordx2 v[34:35], v[30:31], off offset:2048
.LBB72_246:
	;; [unrolled: 25-line block ×9, first 2 shown]
	s_or_b64 exec, exec, s[2:3]
	s_waitcnt lgkmcnt(0)
	v_or_b32_e32 v2, 0x1400, v0
	v_mov_b32_e32 v1, v43
	v_cmp_gt_u32_e64 s[2:3], s33, v2
	s_branch .LBB72_277
.LBB72_275:
	s_mov_b64 s[2:3], 0
                                        ; implicit-def: $vgpr4_vgpr5
	s_cbranch_execz .LBB72_277
; %bb.276:
	v_mul_u32_u24_e32 v1, 0xa8, v0
	s_barrier
	s_movk_i32 s4, 0xa8
	ds_write2_b64 v1, v[122:123], v[82:83] offset1:1
	ds_write2_b64 v1, v[84:85], v[44:45] offset0:2 offset1:3
	ds_write2_b64 v1, v[88:89], v[48:49] offset0:4 offset1:5
	;; [unrolled: 1-line block ×9, first 2 shown]
	ds_write_b64 v1, v[120:121] offset:160
	v_mov_b32_e32 v1, 0
	v_mul_i32_i24_e32 v2, 0xffffff60, v0
	v_mad_u32_u24 v2, v0, s4, v2
	v_mov_b32_e32 v43, v1
	s_waitcnt lgkmcnt(0)
	s_barrier
	ds_read2st64_b64 v[6:9], v2 offset1:4
	ds_read2st64_b64 v[10:13], v2 offset0:8 offset1:12
	ds_read2st64_b64 v[14:17], v2 offset0:16 offset1:20
	;; [unrolled: 1-line block ×9, first 2 shown]
	ds_read_b64 v[4:5], v2 offset:40960
	v_lshl_add_u64 v[2:3], s[0:1], 0, v[42:43]
	s_movk_i32 s4, 0x1000
	s_waitcnt lgkmcnt(10)
	global_store_dwordx2 v42, v[6:7], s[0:1]
	global_store_dwordx2 v42, v[8:9], s[0:1] offset:2048
	v_add_co_u32_e32 v6, vcc, s4, v2
	s_movk_i32 s4, 0x2000
	s_nop 0
	v_addc_co_u32_e32 v7, vcc, 0, v3, vcc
	v_add_co_u32_e32 v8, vcc, s4, v2
	s_movk_i32 s4, 0x3000
	s_nop 0
	v_addc_co_u32_e32 v9, vcc, 0, v3, vcc
	s_waitcnt lgkmcnt(9)
	global_store_dwordx2 v[8:9], v[10:11], off offset:-4096
	global_store_dwordx2 v[6:7], v[12:13], off offset:2048
	s_waitcnt lgkmcnt(8)
	global_store_dwordx2 v[8:9], v[14:15], off
	global_store_dwordx2 v[8:9], v[16:17], off offset:2048
	v_add_co_u32_e32 v6, vcc, s4, v2
	s_movk_i32 s4, 0x4000
	s_nop 0
	v_addc_co_u32_e32 v7, vcc, 0, v3, vcc
	v_add_co_u32_e32 v8, vcc, s4, v2
	s_movk_i32 s4, 0x5000
	s_nop 0
	v_addc_co_u32_e32 v9, vcc, 0, v3, vcc
	s_waitcnt lgkmcnt(7)
	global_store_dwordx2 v[8:9], v[18:19], off offset:-4096
	global_store_dwordx2 v[6:7], v[20:21], off offset:2048
	s_waitcnt lgkmcnt(6)
	global_store_dwordx2 v[8:9], v[22:23], off
	global_store_dwordx2 v[8:9], v[24:25], off offset:2048
	;; [unrolled: 14-line block ×3, first 2 shown]
	v_add_co_u32_e32 v6, vcc, s4, v2
	s_or_b64 s[2:3], s[2:3], exec
	s_nop 0
	v_addc_co_u32_e32 v7, vcc, 0, v3, vcc
	s_waitcnt lgkmcnt(3)
	global_store_dwordx2 v[6:7], v[34:35], off
	global_store_dwordx2 v[6:7], v[36:37], off offset:2048
	v_add_co_u32_e32 v6, vcc, 0x8000, v2
	s_nop 1
	v_addc_co_u32_e32 v7, vcc, 0, v3, vcc
	v_add_co_u32_e32 v2, vcc, 0x9000, v2
	s_waitcnt lgkmcnt(2)
	global_store_dwordx2 v[6:7], v[38:39], off
	global_store_dwordx2 v[6:7], v[40:41], off offset:2048
	v_addc_co_u32_e32 v3, vcc, 0, v3, vcc
	s_waitcnt lgkmcnt(1)
	global_store_dwordx2 v[2:3], v[44:45], off
	global_store_dwordx2 v[2:3], v[46:47], off offset:2048
.LBB72_277:
	s_and_saveexec_b64 s[4:5], s[2:3]
	s_cbranch_execz .LBB72_279
; %bb.278:
	v_lshl_add_u64 v[0:1], v[0:1], 3, s[0:1]
	v_add_co_u32_e32 v0, vcc, 0xa000, v0
	s_nop 1
	v_addc_co_u32_e32 v1, vcc, 0, v1, vcc
	s_waitcnt lgkmcnt(0)
	global_store_dwordx2 v[0:1], v[4:5], off
	s_endpgm
.LBB72_279:
	s_endpgm
	.section	.rodata,"a",@progbits
	.p2align	6, 0x0
	.amdhsa_kernel _ZN7rocprim6detail25device_scan_by_key_kernelILNS0_25lookback_scan_determinismE0ELb0ENS0_26wrapped_scan_by_key_configINS_14default_configEiyEEPiN6hipcub22TransformInputIteratorIyNS7_6CastOpIyEEPylEESB_yNS7_8EqualityENS7_3MinENS0_19lookback_scan_stateINS_5tupleIJybEEELb0ELb0EEEyEEvT2_T3_T4_T5_T6_T7_T8_mmmPKNSG_IJT9_bEEE
		.amdhsa_group_segment_fixed_size 43008
		.amdhsa_private_segment_fixed_size 0
		.amdhsa_kernarg_size 104
		.amdhsa_user_sgpr_count 2
		.amdhsa_user_sgpr_dispatch_ptr 0
		.amdhsa_user_sgpr_queue_ptr 0
		.amdhsa_user_sgpr_kernarg_segment_ptr 1
		.amdhsa_user_sgpr_dispatch_id 0
		.amdhsa_user_sgpr_kernarg_preload_length 0
		.amdhsa_user_sgpr_kernarg_preload_offset 0
		.amdhsa_user_sgpr_private_segment_size 0
		.amdhsa_uses_dynamic_stack 0
		.amdhsa_enable_private_segment 0
		.amdhsa_system_sgpr_workgroup_id_x 1
		.amdhsa_system_sgpr_workgroup_id_y 0
		.amdhsa_system_sgpr_workgroup_id_z 0
		.amdhsa_system_sgpr_workgroup_info 0
		.amdhsa_system_vgpr_workitem_id 0
		.amdhsa_next_free_vgpr 136
		.amdhsa_next_free_sgpr 100
		.amdhsa_accum_offset 136
		.amdhsa_reserve_vcc 1
		.amdhsa_float_round_mode_32 0
		.amdhsa_float_round_mode_16_64 0
		.amdhsa_float_denorm_mode_32 3
		.amdhsa_float_denorm_mode_16_64 3
		.amdhsa_dx10_clamp 1
		.amdhsa_ieee_mode 1
		.amdhsa_fp16_overflow 0
		.amdhsa_tg_split 0
		.amdhsa_exception_fp_ieee_invalid_op 0
		.amdhsa_exception_fp_denorm_src 0
		.amdhsa_exception_fp_ieee_div_zero 0
		.amdhsa_exception_fp_ieee_overflow 0
		.amdhsa_exception_fp_ieee_underflow 0
		.amdhsa_exception_fp_ieee_inexact 0
		.amdhsa_exception_int_div_zero 0
	.end_amdhsa_kernel
	.section	.text._ZN7rocprim6detail25device_scan_by_key_kernelILNS0_25lookback_scan_determinismE0ELb0ENS0_26wrapped_scan_by_key_configINS_14default_configEiyEEPiN6hipcub22TransformInputIteratorIyNS7_6CastOpIyEEPylEESB_yNS7_8EqualityENS7_3MinENS0_19lookback_scan_stateINS_5tupleIJybEEELb0ELb0EEEyEEvT2_T3_T4_T5_T6_T7_T8_mmmPKNSG_IJT9_bEEE,"axG",@progbits,_ZN7rocprim6detail25device_scan_by_key_kernelILNS0_25lookback_scan_determinismE0ELb0ENS0_26wrapped_scan_by_key_configINS_14default_configEiyEEPiN6hipcub22TransformInputIteratorIyNS7_6CastOpIyEEPylEESB_yNS7_8EqualityENS7_3MinENS0_19lookback_scan_stateINS_5tupleIJybEEELb0ELb0EEEyEEvT2_T3_T4_T5_T6_T7_T8_mmmPKNSG_IJT9_bEEE,comdat
.Lfunc_end72:
	.size	_ZN7rocprim6detail25device_scan_by_key_kernelILNS0_25lookback_scan_determinismE0ELb0ENS0_26wrapped_scan_by_key_configINS_14default_configEiyEEPiN6hipcub22TransformInputIteratorIyNS7_6CastOpIyEEPylEESB_yNS7_8EqualityENS7_3MinENS0_19lookback_scan_stateINS_5tupleIJybEEELb0ELb0EEEyEEvT2_T3_T4_T5_T6_T7_T8_mmmPKNSG_IJT9_bEEE, .Lfunc_end72-_ZN7rocprim6detail25device_scan_by_key_kernelILNS0_25lookback_scan_determinismE0ELb0ENS0_26wrapped_scan_by_key_configINS_14default_configEiyEEPiN6hipcub22TransformInputIteratorIyNS7_6CastOpIyEEPylEESB_yNS7_8EqualityENS7_3MinENS0_19lookback_scan_stateINS_5tupleIJybEEELb0ELb0EEEyEEvT2_T3_T4_T5_T6_T7_T8_mmmPKNSG_IJT9_bEEE
                                        ; -- End function
	.section	.AMDGPU.csdata,"",@progbits
; Kernel info:
; codeLenInByte = 17872
; NumSgprs: 106
; NumVgprs: 136
; NumAgprs: 0
; TotalNumVgprs: 136
; ScratchSize: 0
; MemoryBound: 0
; FloatMode: 240
; IeeeMode: 1
; LDSByteSize: 43008 bytes/workgroup (compile time only)
; SGPRBlocks: 13
; VGPRBlocks: 16
; NumSGPRsForWavesPerEU: 106
; NumVGPRsForWavesPerEU: 136
; AccumOffset: 136
; Occupancy: 1
; WaveLimiterHint : 1
; COMPUTE_PGM_RSRC2:SCRATCH_EN: 0
; COMPUTE_PGM_RSRC2:USER_SGPR: 2
; COMPUTE_PGM_RSRC2:TRAP_HANDLER: 0
; COMPUTE_PGM_RSRC2:TGID_X_EN: 1
; COMPUTE_PGM_RSRC2:TGID_Y_EN: 0
; COMPUTE_PGM_RSRC2:TGID_Z_EN: 0
; COMPUTE_PGM_RSRC2:TIDIG_COMP_CNT: 0
; COMPUTE_PGM_RSRC3_GFX90A:ACCUM_OFFSET: 33
; COMPUTE_PGM_RSRC3_GFX90A:TG_SPLIT: 0
	.section	.text._ZN7rocprim6detail20lookback_scan_kernelILNS0_25lookback_scan_determinismE0ELb1ENS0_19wrapped_scan_configINS_14default_configEiEEN6hipcub22TransformInputIteratorIiNS6_6CastOpIiEEPilEEPlNS6_3SumEiiNS0_19lookback_scan_stateIiLb1ELb1EEEEEvT2_T3_mT5_T4_T7_jPT6_SM_bb,"axG",@progbits,_ZN7rocprim6detail20lookback_scan_kernelILNS0_25lookback_scan_determinismE0ELb1ENS0_19wrapped_scan_configINS_14default_configEiEEN6hipcub22TransformInputIteratorIiNS6_6CastOpIiEEPilEEPlNS6_3SumEiiNS0_19lookback_scan_stateIiLb1ELb1EEEEEvT2_T3_mT5_T4_T7_jPT6_SM_bb,comdat
	.protected	_ZN7rocprim6detail20lookback_scan_kernelILNS0_25lookback_scan_determinismE0ELb1ENS0_19wrapped_scan_configINS_14default_configEiEEN6hipcub22TransformInputIteratorIiNS6_6CastOpIiEEPilEEPlNS6_3SumEiiNS0_19lookback_scan_stateIiLb1ELb1EEEEEvT2_T3_mT5_T4_T7_jPT6_SM_bb ; -- Begin function _ZN7rocprim6detail20lookback_scan_kernelILNS0_25lookback_scan_determinismE0ELb1ENS0_19wrapped_scan_configINS_14default_configEiEEN6hipcub22TransformInputIteratorIiNS6_6CastOpIiEEPilEEPlNS6_3SumEiiNS0_19lookback_scan_stateIiLb1ELb1EEEEEvT2_T3_mT5_T4_T7_jPT6_SM_bb
	.globl	_ZN7rocprim6detail20lookback_scan_kernelILNS0_25lookback_scan_determinismE0ELb1ENS0_19wrapped_scan_configINS_14default_configEiEEN6hipcub22TransformInputIteratorIiNS6_6CastOpIiEEPilEEPlNS6_3SumEiiNS0_19lookback_scan_stateIiLb1ELb1EEEEEvT2_T3_mT5_T4_T7_jPT6_SM_bb
	.p2align	8
	.type	_ZN7rocprim6detail20lookback_scan_kernelILNS0_25lookback_scan_determinismE0ELb1ENS0_19wrapped_scan_configINS_14default_configEiEEN6hipcub22TransformInputIteratorIiNS6_6CastOpIiEEPilEEPlNS6_3SumEiiNS0_19lookback_scan_stateIiLb1ELb1EEEEEvT2_T3_mT5_T4_T7_jPT6_SM_bb,@function
_ZN7rocprim6detail20lookback_scan_kernelILNS0_25lookback_scan_determinismE0ELb1ENS0_19wrapped_scan_configINS_14default_configEiEEN6hipcub22TransformInputIteratorIiNS6_6CastOpIiEEPilEEPlNS6_3SumEiiNS0_19lookback_scan_stateIiLb1ELb1EEEEEvT2_T3_mT5_T4_T7_jPT6_SM_bb: ; @_ZN7rocprim6detail20lookback_scan_kernelILNS0_25lookback_scan_determinismE0ELb1ENS0_19wrapped_scan_configINS_14default_configEiEEN6hipcub22TransformInputIteratorIiNS6_6CastOpIiEEPilEEPlNS6_3SumEiiNS0_19lookback_scan_stateIiLb1ELb1EEEEEvT2_T3_mT5_T4_T7_jPT6_SM_bb
; %bb.0:
	s_endpgm
	.section	.rodata,"a",@progbits
	.p2align	6, 0x0
	.amdhsa_kernel _ZN7rocprim6detail20lookback_scan_kernelILNS0_25lookback_scan_determinismE0ELb1ENS0_19wrapped_scan_configINS_14default_configEiEEN6hipcub22TransformInputIteratorIiNS6_6CastOpIiEEPilEEPlNS6_3SumEiiNS0_19lookback_scan_stateIiLb1ELb1EEEEEvT2_T3_mT5_T4_T7_jPT6_SM_bb
		.amdhsa_group_segment_fixed_size 0
		.amdhsa_private_segment_fixed_size 0
		.amdhsa_kernarg_size 76
		.amdhsa_user_sgpr_count 2
		.amdhsa_user_sgpr_dispatch_ptr 0
		.amdhsa_user_sgpr_queue_ptr 0
		.amdhsa_user_sgpr_kernarg_segment_ptr 1
		.amdhsa_user_sgpr_dispatch_id 0
		.amdhsa_user_sgpr_kernarg_preload_length 0
		.amdhsa_user_sgpr_kernarg_preload_offset 0
		.amdhsa_user_sgpr_private_segment_size 0
		.amdhsa_uses_dynamic_stack 0
		.amdhsa_enable_private_segment 0
		.amdhsa_system_sgpr_workgroup_id_x 1
		.amdhsa_system_sgpr_workgroup_id_y 0
		.amdhsa_system_sgpr_workgroup_id_z 0
		.amdhsa_system_sgpr_workgroup_info 0
		.amdhsa_system_vgpr_workitem_id 0
		.amdhsa_next_free_vgpr 1
		.amdhsa_next_free_sgpr 0
		.amdhsa_accum_offset 4
		.amdhsa_reserve_vcc 0
		.amdhsa_float_round_mode_32 0
		.amdhsa_float_round_mode_16_64 0
		.amdhsa_float_denorm_mode_32 3
		.amdhsa_float_denorm_mode_16_64 3
		.amdhsa_dx10_clamp 1
		.amdhsa_ieee_mode 1
		.amdhsa_fp16_overflow 0
		.amdhsa_tg_split 0
		.amdhsa_exception_fp_ieee_invalid_op 0
		.amdhsa_exception_fp_denorm_src 0
		.amdhsa_exception_fp_ieee_div_zero 0
		.amdhsa_exception_fp_ieee_overflow 0
		.amdhsa_exception_fp_ieee_underflow 0
		.amdhsa_exception_fp_ieee_inexact 0
		.amdhsa_exception_int_div_zero 0
	.end_amdhsa_kernel
	.section	.text._ZN7rocprim6detail20lookback_scan_kernelILNS0_25lookback_scan_determinismE0ELb1ENS0_19wrapped_scan_configINS_14default_configEiEEN6hipcub22TransformInputIteratorIiNS6_6CastOpIiEEPilEEPlNS6_3SumEiiNS0_19lookback_scan_stateIiLb1ELb1EEEEEvT2_T3_mT5_T4_T7_jPT6_SM_bb,"axG",@progbits,_ZN7rocprim6detail20lookback_scan_kernelILNS0_25lookback_scan_determinismE0ELb1ENS0_19wrapped_scan_configINS_14default_configEiEEN6hipcub22TransformInputIteratorIiNS6_6CastOpIiEEPilEEPlNS6_3SumEiiNS0_19lookback_scan_stateIiLb1ELb1EEEEEvT2_T3_mT5_T4_T7_jPT6_SM_bb,comdat
.Lfunc_end73:
	.size	_ZN7rocprim6detail20lookback_scan_kernelILNS0_25lookback_scan_determinismE0ELb1ENS0_19wrapped_scan_configINS_14default_configEiEEN6hipcub22TransformInputIteratorIiNS6_6CastOpIiEEPilEEPlNS6_3SumEiiNS0_19lookback_scan_stateIiLb1ELb1EEEEEvT2_T3_mT5_T4_T7_jPT6_SM_bb, .Lfunc_end73-_ZN7rocprim6detail20lookback_scan_kernelILNS0_25lookback_scan_determinismE0ELb1ENS0_19wrapped_scan_configINS_14default_configEiEEN6hipcub22TransformInputIteratorIiNS6_6CastOpIiEEPilEEPlNS6_3SumEiiNS0_19lookback_scan_stateIiLb1ELb1EEEEEvT2_T3_mT5_T4_T7_jPT6_SM_bb
                                        ; -- End function
	.section	.AMDGPU.csdata,"",@progbits
; Kernel info:
; codeLenInByte = 4
; NumSgprs: 6
; NumVgprs: 0
; NumAgprs: 0
; TotalNumVgprs: 0
; ScratchSize: 0
; MemoryBound: 0
; FloatMode: 240
; IeeeMode: 1
; LDSByteSize: 0 bytes/workgroup (compile time only)
; SGPRBlocks: 0
; VGPRBlocks: 0
; NumSGPRsForWavesPerEU: 6
; NumVGPRsForWavesPerEU: 1
; AccumOffset: 4
; Occupancy: 8
; WaveLimiterHint : 0
; COMPUTE_PGM_RSRC2:SCRATCH_EN: 0
; COMPUTE_PGM_RSRC2:USER_SGPR: 2
; COMPUTE_PGM_RSRC2:TRAP_HANDLER: 0
; COMPUTE_PGM_RSRC2:TGID_X_EN: 1
; COMPUTE_PGM_RSRC2:TGID_Y_EN: 0
; COMPUTE_PGM_RSRC2:TGID_Z_EN: 0
; COMPUTE_PGM_RSRC2:TIDIG_COMP_CNT: 0
; COMPUTE_PGM_RSRC3_GFX90A:ACCUM_OFFSET: 0
; COMPUTE_PGM_RSRC3_GFX90A:TG_SPLIT: 0
	.section	.text._ZN7rocprim6detail20lookback_scan_kernelILNS0_25lookback_scan_determinismE0ELb1ENS0_19wrapped_scan_configINS_14default_configEiEEN6hipcub22TransformInputIteratorIiNS6_6CastOpIiEEPilEEPlNS6_3SumEiiNS0_19lookback_scan_stateIiLb0ELb1EEEEEvT2_T3_mT5_T4_T7_jPT6_SM_bb,"axG",@progbits,_ZN7rocprim6detail20lookback_scan_kernelILNS0_25lookback_scan_determinismE0ELb1ENS0_19wrapped_scan_configINS_14default_configEiEEN6hipcub22TransformInputIteratorIiNS6_6CastOpIiEEPilEEPlNS6_3SumEiiNS0_19lookback_scan_stateIiLb0ELb1EEEEEvT2_T3_mT5_T4_T7_jPT6_SM_bb,comdat
	.protected	_ZN7rocprim6detail20lookback_scan_kernelILNS0_25lookback_scan_determinismE0ELb1ENS0_19wrapped_scan_configINS_14default_configEiEEN6hipcub22TransformInputIteratorIiNS6_6CastOpIiEEPilEEPlNS6_3SumEiiNS0_19lookback_scan_stateIiLb0ELb1EEEEEvT2_T3_mT5_T4_T7_jPT6_SM_bb ; -- Begin function _ZN7rocprim6detail20lookback_scan_kernelILNS0_25lookback_scan_determinismE0ELb1ENS0_19wrapped_scan_configINS_14default_configEiEEN6hipcub22TransformInputIteratorIiNS6_6CastOpIiEEPilEEPlNS6_3SumEiiNS0_19lookback_scan_stateIiLb0ELb1EEEEEvT2_T3_mT5_T4_T7_jPT6_SM_bb
	.globl	_ZN7rocprim6detail20lookback_scan_kernelILNS0_25lookback_scan_determinismE0ELb1ENS0_19wrapped_scan_configINS_14default_configEiEEN6hipcub22TransformInputIteratorIiNS6_6CastOpIiEEPilEEPlNS6_3SumEiiNS0_19lookback_scan_stateIiLb0ELb1EEEEEvT2_T3_mT5_T4_T7_jPT6_SM_bb
	.p2align	8
	.type	_ZN7rocprim6detail20lookback_scan_kernelILNS0_25lookback_scan_determinismE0ELb1ENS0_19wrapped_scan_configINS_14default_configEiEEN6hipcub22TransformInputIteratorIiNS6_6CastOpIiEEPilEEPlNS6_3SumEiiNS0_19lookback_scan_stateIiLb0ELb1EEEEEvT2_T3_mT5_T4_T7_jPT6_SM_bb,@function
_ZN7rocprim6detail20lookback_scan_kernelILNS0_25lookback_scan_determinismE0ELb1ENS0_19wrapped_scan_configINS_14default_configEiEEN6hipcub22TransformInputIteratorIiNS6_6CastOpIiEEPilEEPlNS6_3SumEiiNS0_19lookback_scan_stateIiLb0ELb1EEEEEvT2_T3_mT5_T4_T7_jPT6_SM_bb: ; @_ZN7rocprim6detail20lookback_scan_kernelILNS0_25lookback_scan_determinismE0ELb1ENS0_19wrapped_scan_configINS_14default_configEiEEN6hipcub22TransformInputIteratorIiNS6_6CastOpIiEEPilEEPlNS6_3SumEiiNS0_19lookback_scan_stateIiLb0ELb1EEEEEvT2_T3_mT5_T4_T7_jPT6_SM_bb
; %bb.0:
	s_load_dword s3, s[0:1], 0x30
	s_load_dwordx2 s[14:15], s[0:1], 0x0
	s_load_dwordx4 s[8:11], s[0:1], 0x10
	s_mul_i32 s12, s2, 0x1500
	s_mov_b32 s13, 0
	s_waitcnt lgkmcnt(0)
	s_add_i32 s3, s3, -1
	s_mul_i32 s4, s3, 0x1500
	s_sub_u32 s22, s10, s4
	s_subb_u32 s23, s11, 0
	s_cmp_lg_u32 s2, s3
	s_cselect_b64 s[10:11], -1, 0
	s_lshl_b64 s[4:5], s[12:13], 2
	s_add_u32 s6, s14, s4
	s_addc_u32 s7, s15, s5
	s_mov_b64 s[4:5], -1
	s_and_b64 vcc, exec, s[10:11]
	s_cbranch_vccz .LBB74_2
; %bb.1:
	v_lshlrev_b32_e32 v2, 2, v0
	v_mov_b32_e32 v3, 0
	v_lshl_add_u64 v[4:5], s[6:7], 0, v[2:3]
	v_add_co_u32_e32 v6, vcc, 0x1000, v4
	global_load_dword v1, v2, s[6:7]
	global_load_dword v3, v2, s[6:7] offset:1024
	global_load_dword v10, v2, s[6:7] offset:2048
	;; [unrolled: 1-line block ×3, first 2 shown]
	v_addc_co_u32_e32 v7, vcc, 0, v5, vcc
	v_add_co_u32_e32 v8, vcc, 0x2000, v4
	s_mov_b64 s[4:5], 0
	s_nop 0
	v_addc_co_u32_e32 v9, vcc, 0, v5, vcc
	global_load_dword v12, v[6:7], off
	global_load_dword v13, v[6:7], off offset:1024
	global_load_dword v14, v[6:7], off offset:2048
	;; [unrolled: 1-line block ×3, first 2 shown]
	global_load_dword v16, v[8:9], off
	global_load_dword v17, v[8:9], off offset:1024
	global_load_dword v18, v[8:9], off offset:2048
	;; [unrolled: 1-line block ×3, first 2 shown]
	v_add_co_u32_e32 v6, vcc, 0x3000, v4
	s_nop 1
	v_addc_co_u32_e32 v7, vcc, 0, v5, vcc
	v_add_co_u32_e32 v8, vcc, 0x4000, v4
	s_nop 1
	v_addc_co_u32_e32 v9, vcc, 0, v5, vcc
	global_load_dword v20, v[6:7], off
	global_load_dword v21, v[6:7], off offset:1024
	global_load_dword v22, v[6:7], off offset:2048
	;; [unrolled: 1-line block ×3, first 2 shown]
	global_load_dword v24, v[8:9], off
	global_load_dword v25, v[8:9], off offset:1024
	global_load_dword v26, v[8:9], off offset:2048
	;; [unrolled: 1-line block ×3, first 2 shown]
	v_add_co_u32_e32 v4, vcc, 0x5000, v4
	s_nop 1
	v_addc_co_u32_e32 v5, vcc, 0, v5, vcc
	global_load_dword v4, v[4:5], off
	s_waitcnt vmcnt(19)
	ds_write2st64_b32 v2, v1, v3 offset1:4
	s_waitcnt vmcnt(17)
	ds_write2st64_b32 v2, v10, v11 offset0:8 offset1:12
	s_waitcnt vmcnt(15)
	ds_write2st64_b32 v2, v12, v13 offset0:16 offset1:20
	;; [unrolled: 2-line block ×9, first 2 shown]
	s_waitcnt vmcnt(0)
	ds_write_b32 v2, v4 offset:20480
	s_waitcnt lgkmcnt(0)
	s_barrier
.LBB74_2:
	s_andn2_b64 vcc, exec, s[4:5]
	v_cmp_gt_u32_e64 s[4:5], s22, v0
	s_cbranch_vccnz .LBB74_46
; %bb.3:
	s_load_dword s3, s[6:7], 0x0
	v_lshlrev_b32_e32 v2, 2, v0
	v_mov_b32_e32 v3, 0
	v_lshl_add_u64 v[4:5], s[6:7], 0, v[2:3]
	s_waitcnt lgkmcnt(0)
	v_mov_b32_e32 v1, s3
	s_and_saveexec_b64 s[6:7], s[4:5]
	s_cbranch_execz .LBB74_5
; %bb.4:
	global_load_dword v1, v[4:5], off
.LBB74_5:
	s_or_b64 exec, exec, s[6:7]
	v_or_b32_e32 v3, 0x100, v0
	v_cmp_gt_u32_e32 vcc, s22, v3
	v_mov_b32_e32 v3, s3
	s_and_saveexec_b64 s[4:5], vcc
	s_cbranch_execz .LBB74_7
; %bb.6:
	global_load_dword v3, v[4:5], off offset:1024
.LBB74_7:
	s_or_b64 exec, exec, s[4:5]
	v_or_b32_e32 v6, 0x200, v0
	v_cmp_gt_u32_e32 vcc, s22, v6
	v_mov_b32_e32 v6, s3
	s_and_saveexec_b64 s[4:5], vcc
	s_cbranch_execz .LBB74_9
; %bb.8:
	global_load_dword v6, v[4:5], off offset:2048
.LBB74_9:
	;; [unrolled: 9-line block ×3, first 2 shown]
	s_or_b64 exec, exec, s[4:5]
	v_or_b32_e32 v8, 0x400, v0
	v_cmp_gt_u32_e32 vcc, s22, v8
	v_mov_b32_e32 v8, s3
	s_and_saveexec_b64 s[4:5], vcc
	s_cbranch_execz .LBB74_13
; %bb.12:
	v_add_co_u32_e32 v8, vcc, 0x1000, v4
	s_nop 1
	v_addc_co_u32_e32 v9, vcc, 0, v5, vcc
	global_load_dword v8, v[8:9], off
.LBB74_13:
	s_or_b64 exec, exec, s[4:5]
	v_or_b32_e32 v9, 0x500, v0
	v_cmp_gt_u32_e32 vcc, s22, v9
	v_mov_b32_e32 v9, s3
	s_and_saveexec_b64 s[4:5], vcc
	s_cbranch_execz .LBB74_15
; %bb.14:
	v_add_co_u32_e32 v10, vcc, 0x1000, v4
	s_nop 1
	v_addc_co_u32_e32 v11, vcc, 0, v5, vcc
	global_load_dword v9, v[10:11], off offset:1024
.LBB74_15:
	s_or_b64 exec, exec, s[4:5]
	v_or_b32_e32 v10, 0x600, v0
	v_cmp_gt_u32_e32 vcc, s22, v10
	v_mov_b32_e32 v10, s3
	s_and_saveexec_b64 s[4:5], vcc
	s_cbranch_execz .LBB74_17
; %bb.16:
	v_add_co_u32_e32 v10, vcc, 0x1000, v4
	s_nop 1
	v_addc_co_u32_e32 v11, vcc, 0, v5, vcc
	global_load_dword v10, v[10:11], off offset:2048
.LBB74_17:
	s_or_b64 exec, exec, s[4:5]
	v_or_b32_e32 v11, 0x700, v0
	v_cmp_gt_u32_e32 vcc, s22, v11
	v_mov_b32_e32 v11, s3
	s_and_saveexec_b64 s[4:5], vcc
	s_cbranch_execz .LBB74_19
; %bb.18:
	v_add_co_u32_e32 v12, vcc, 0x1000, v4
	s_nop 1
	v_addc_co_u32_e32 v13, vcc, 0, v5, vcc
	global_load_dword v11, v[12:13], off offset:3072
.LBB74_19:
	s_or_b64 exec, exec, s[4:5]
	v_or_b32_e32 v12, 0x800, v0
	v_cmp_gt_u32_e32 vcc, s22, v12
	v_mov_b32_e32 v12, s3
	s_and_saveexec_b64 s[4:5], vcc
	s_cbranch_execz .LBB74_21
; %bb.20:
	v_add_co_u32_e32 v12, vcc, 0x2000, v4
	s_nop 1
	v_addc_co_u32_e32 v13, vcc, 0, v5, vcc
	global_load_dword v12, v[12:13], off
.LBB74_21:
	s_or_b64 exec, exec, s[4:5]
	v_or_b32_e32 v13, 0x900, v0
	v_cmp_gt_u32_e32 vcc, s22, v13
	v_mov_b32_e32 v13, s3
	s_and_saveexec_b64 s[4:5], vcc
	s_cbranch_execz .LBB74_23
; %bb.22:
	v_add_co_u32_e32 v14, vcc, 0x2000, v4
	s_nop 1
	v_addc_co_u32_e32 v15, vcc, 0, v5, vcc
	global_load_dword v13, v[14:15], off offset:1024
.LBB74_23:
	s_or_b64 exec, exec, s[4:5]
	v_or_b32_e32 v14, 0xa00, v0
	v_cmp_gt_u32_e32 vcc, s22, v14
	v_mov_b32_e32 v14, s3
	s_and_saveexec_b64 s[4:5], vcc
	s_cbranch_execz .LBB74_25
; %bb.24:
	v_add_co_u32_e32 v14, vcc, 0x2000, v4
	s_nop 1
	v_addc_co_u32_e32 v15, vcc, 0, v5, vcc
	global_load_dword v14, v[14:15], off offset:2048
.LBB74_25:
	s_or_b64 exec, exec, s[4:5]
	v_or_b32_e32 v15, 0xb00, v0
	v_cmp_gt_u32_e32 vcc, s22, v15
	v_mov_b32_e32 v15, s3
	s_and_saveexec_b64 s[4:5], vcc
	s_cbranch_execz .LBB74_27
; %bb.26:
	v_add_co_u32_e32 v16, vcc, 0x2000, v4
	s_nop 1
	v_addc_co_u32_e32 v17, vcc, 0, v5, vcc
	global_load_dword v15, v[16:17], off offset:3072
.LBB74_27:
	;; [unrolled: 48-line block ×4, first 2 shown]
	s_or_b64 exec, exec, s[4:5]
	v_or_b32_e32 v24, 0x1400, v0
	v_cmp_gt_u32_e32 vcc, s22, v24
	v_mov_b32_e32 v24, s3
	s_and_saveexec_b64 s[4:5], vcc
	s_cbranch_execz .LBB74_45
; %bb.44:
	v_add_co_u32_e32 v4, vcc, 0x5000, v4
	s_nop 1
	v_addc_co_u32_e32 v5, vcc, 0, v5, vcc
	global_load_dword v24, v[4:5], off
.LBB74_45:
	s_or_b64 exec, exec, s[4:5]
	s_waitcnt vmcnt(0)
	ds_write2st64_b32 v2, v1, v3 offset1:4
	ds_write2st64_b32 v2, v6, v7 offset0:8 offset1:12
	ds_write2st64_b32 v2, v8, v9 offset0:16 offset1:20
	;; [unrolled: 1-line block ×9, first 2 shown]
	ds_write_b32 v2, v24 offset:20480
	s_waitcnt lgkmcnt(0)
	s_barrier
.LBB74_46:
	s_load_dwordx2 s[16:17], s[0:1], 0x28
	v_mul_u32_u24_e32 v32, 21, v0
	v_lshlrev_b32_e32 v1, 2, v32
	s_waitcnt lgkmcnt(0)
	ds_read2_b32 v[20:21], v1 offset1:1
	ds_read2_b32 v[18:19], v1 offset0:2 offset1:3
	ds_read2_b32 v[16:17], v1 offset0:4 offset1:5
	;; [unrolled: 1-line block ×9, first 2 shown]
	ds_read_b32 v34, v1 offset:80
	s_waitcnt lgkmcnt(9)
	v_add3_u32 v1, v21, v20, v18
	s_cmp_lg_u32 s2, 0
	s_waitcnt lgkmcnt(8)
	v_add3_u32 v36, v1, v19, v16
	v_mbcnt_lo_u32_b32 v35, -1, 0
	v_lshrrev_b32_e32 v1, 6, v0
	v_or_b32_e32 v33, 63, v0
	s_waitcnt lgkmcnt(0)
	s_barrier
	s_cbranch_scc0 .LBB74_73
; %bb.47:
	v_add3_u32 v22, v36, v17, v14
	v_add3_u32 v22, v22, v15, v12
	;; [unrolled: 1-line block ×7, first 2 shown]
	v_mbcnt_hi_u32_b32 v25, -1, v35
	v_add3_u32 v22, v22, v3, v34
	v_and_b32_e32 v23, 15, v25
	v_cmp_ne_u32_e32 vcc, 0, v23
	v_mov_b32_dpp v24, v22 row_shr:1 row_mask:0xf bank_mask:0xf
	s_nop 0
	v_cndmask_b32_e32 v24, 0, v24, vcc
	v_add_u32_e32 v22, v24, v22
	v_cmp_lt_u32_e32 vcc, 1, v23
	s_nop 0
	v_mov_b32_dpp v24, v22 row_shr:2 row_mask:0xf bank_mask:0xf
	v_cndmask_b32_e32 v24, 0, v24, vcc
	v_add_u32_e32 v22, v22, v24
	v_cmp_lt_u32_e32 vcc, 3, v23
	s_nop 0
	v_mov_b32_dpp v24, v22 row_shr:4 row_mask:0xf bank_mask:0xf
	;; [unrolled: 5-line block ×3, first 2 shown]
	v_cndmask_b32_e32 v23, 0, v24, vcc
	v_add_u32_e32 v22, v22, v23
	v_bfe_i32 v24, v25, 4, 1
	v_cmp_lt_u32_e32 vcc, 31, v25
	v_mov_b32_dpp v23, v22 row_bcast:15 row_mask:0xf bank_mask:0xf
	v_and_b32_e32 v23, v24, v23
	v_add_u32_e32 v22, v22, v23
	s_nop 1
	v_mov_b32_dpp v23, v22 row_bcast:31 row_mask:0xf bank_mask:0xf
	v_cndmask_b32_e32 v23, 0, v23, vcc
	v_add_u32_e32 v22, v22, v23
	v_cmp_eq_u32_e32 vcc, v33, v0
	s_and_saveexec_b64 s[4:5], vcc
	s_cbranch_execz .LBB74_49
; %bb.48:
	v_lshlrev_b32_e32 v23, 2, v1
	ds_write_b32 v23, v22
.LBB74_49:
	s_or_b64 exec, exec, s[4:5]
	v_cmp_gt_u32_e32 vcc, 4, v0
	s_waitcnt lgkmcnt(0)
	s_barrier
	s_and_saveexec_b64 s[4:5], vcc
	s_cbranch_execz .LBB74_51
; %bb.50:
	v_lshlrev_b32_e32 v23, 2, v0
	ds_read_b32 v24, v23
	v_and_b32_e32 v26, 3, v25
	v_cmp_ne_u32_e32 vcc, 0, v26
	s_waitcnt lgkmcnt(0)
	v_mov_b32_dpp v27, v24 row_shr:1 row_mask:0xf bank_mask:0xf
	v_cndmask_b32_e32 v27, 0, v27, vcc
	v_add_u32_e32 v24, v27, v24
	v_cmp_lt_u32_e32 vcc, 1, v26
	s_nop 0
	v_mov_b32_dpp v27, v24 row_shr:2 row_mask:0xf bank_mask:0xf
	v_cndmask_b32_e32 v26, 0, v27, vcc
	v_add_u32_e32 v24, v24, v26
	ds_write_b32 v23, v24
.LBB74_51:
	s_or_b64 exec, exec, s[4:5]
	v_cmp_gt_u32_e32 vcc, 64, v0
	v_cmp_lt_u32_e64 s[4:5], 63, v0
	s_waitcnt lgkmcnt(0)
	s_barrier
	s_waitcnt lgkmcnt(0)
                                        ; implicit-def: $vgpr37
	s_and_saveexec_b64 s[6:7], s[4:5]
	s_cbranch_execz .LBB74_53
; %bb.52:
	v_lshl_add_u32 v23, v1, 2, -4
	ds_read_b32 v37, v23
	s_waitcnt lgkmcnt(0)
	v_add_u32_e32 v22, v37, v22
.LBB74_53:
	s_or_b64 exec, exec, s[6:7]
	v_add_u32_e32 v23, -1, v25
	v_and_b32_e32 v24, 64, v25
	v_cmp_lt_i32_e64 s[4:5], v23, v24
	s_nop 1
	v_cndmask_b32_e64 v23, v23, v25, s[4:5]
	v_lshlrev_b32_e32 v23, 2, v23
	ds_bpermute_b32 v38, v23, v22
	v_cmp_eq_u32_e64 s[4:5], 0, v25
	s_and_saveexec_b64 s[6:7], vcc
	s_cbranch_execz .LBB74_72
; %bb.54:
	v_mov_b32_e32 v29, 0
	ds_read_b32 v22, v29 offset:12
	s_and_saveexec_b64 s[18:19], s[4:5]
	s_cbranch_execz .LBB74_56
; %bb.55:
	s_add_i32 s20, s2, 64
	s_mov_b32 s21, 0
	s_lshl_b64 s[20:21], s[20:21], 3
	s_add_u32 s20, s16, s20
	s_addc_u32 s21, s17, s21
	v_mov_b32_e32 v23, 1
	s_waitcnt lgkmcnt(0)
	global_store_dwordx2 v29, v[22:23], s[20:21] sc1
.LBB74_56:
	s_or_b64 exec, exec, s[18:19]
	v_xad_u32 v24, v25, -1, s2
	v_add_u32_e32 v28, 64, v24
	v_lshl_add_u64 v[30:31], v[28:29], 3, s[16:17]
	global_load_dwordx2 v[26:27], v[30:31], off sc1
	s_waitcnt vmcnt(0)
	v_cmp_eq_u16_sdwa s[20:21], v27, v29 src0_sel:BYTE_0 src1_sel:DWORD
	s_and_saveexec_b64 s[18:19], s[20:21]
	s_cbranch_execz .LBB74_60
; %bb.57:
	s_mov_b64 s[20:21], 0
	v_mov_b32_e32 v23, 0
.LBB74_58:                              ; =>This Inner Loop Header: Depth=1
	global_load_dwordx2 v[26:27], v[30:31], off sc1
	s_waitcnt vmcnt(0)
	v_cmp_ne_u16_sdwa s[24:25], v27, v23 src0_sel:BYTE_0 src1_sel:DWORD
	s_or_b64 s[20:21], s[24:25], s[20:21]
	s_andn2_b64 exec, exec, s[20:21]
	s_cbranch_execnz .LBB74_58
; %bb.59:
	s_or_b64 exec, exec, s[20:21]
.LBB74_60:
	s_or_b64 exec, exec, s[18:19]
	v_and_b32_e32 v47, 63, v25
	v_mov_b32_e32 v23, 2
	v_cmp_ne_u32_e32 vcc, 63, v47
	v_cmp_eq_u16_sdwa s[18:19], v27, v23 src0_sel:BYTE_0 src1_sel:DWORD
	v_lshlrev_b64 v[28:29], v25, -1
	v_addc_co_u32_e32 v39, vcc, 0, v25, vcc
	v_and_b32_e32 v30, s19, v29
	v_lshlrev_b32_e32 v39, 2, v39
	v_or_b32_e32 v30, 0x80000000, v30
	ds_bpermute_b32 v41, v39, v26
	v_and_b32_e32 v31, s18, v28
	v_ffbl_b32_e32 v30, v30
	v_add_u32_e32 v30, 32, v30
	v_ffbl_b32_e32 v31, v31
	v_min_u32_e32 v30, v31, v30
	v_add_u32_e32 v40, 1, v25
	v_cmp_le_u32_e32 vcc, v40, v30
	v_add_u32_e32 v42, 2, v25
	v_add_u32_e32 v44, 4, v25
	s_waitcnt lgkmcnt(0)
	v_cndmask_b32_e32 v31, 0, v41, vcc
	v_cmp_gt_u32_e32 vcc, 62, v47
	v_add_u32_e32 v26, v31, v26
	v_add_u32_e32 v46, 8, v25
	v_cndmask_b32_e64 v31, 0, 1, vcc
	v_lshlrev_b32_e32 v31, 1, v31
	v_add_lshl_u32 v41, v31, v25, 2
	ds_bpermute_b32 v31, v41, v26
	v_cmp_le_u32_e32 vcc, v42, v30
	v_add_u32_e32 v49, 16, v25
	v_add_u32_e32 v51, 32, v25
	s_waitcnt lgkmcnt(0)
	v_cndmask_b32_e32 v31, 0, v31, vcc
	v_cmp_gt_u32_e32 vcc, 60, v47
	v_add_u32_e32 v26, v26, v31
	s_nop 0
	v_cndmask_b32_e64 v31, 0, 1, vcc
	v_lshlrev_b32_e32 v31, 2, v31
	v_add_lshl_u32 v43, v31, v25, 2
	ds_bpermute_b32 v31, v43, v26
	v_cmp_le_u32_e32 vcc, v44, v30
	s_waitcnt lgkmcnt(0)
	s_nop 0
	v_cndmask_b32_e32 v31, 0, v31, vcc
	v_cmp_gt_u32_e32 vcc, 56, v47
	v_add_u32_e32 v26, v26, v31
	s_nop 0
	v_cndmask_b32_e64 v31, 0, 1, vcc
	v_lshlrev_b32_e32 v31, 3, v31
	v_add_lshl_u32 v45, v31, v25, 2
	ds_bpermute_b32 v31, v45, v26
	v_cmp_le_u32_e32 vcc, v46, v30
	s_waitcnt lgkmcnt(0)
	s_nop 0
	;; [unrolled: 11-line block ×4, first 2 shown]
	v_cndmask_b32_e32 v25, 0, v31, vcc
	v_add_u32_e32 v26, v26, v25
	v_mov_b32_e32 v25, 0
	s_branch .LBB74_62
.LBB74_61:                              ;   in Loop: Header=BB74_62 Depth=1
	s_or_b64 exec, exec, s[18:19]
	v_cmp_eq_u16_sdwa s[18:19], v27, v23 src0_sel:BYTE_0 src1_sel:DWORD
	ds_bpermute_b32 v52, v39, v26
	v_subrev_u32_e32 v24, 64, v24
	v_and_b32_e32 v30, s19, v29
	v_or_b32_e32 v30, 0x80000000, v30
	v_and_b32_e32 v31, s18, v28
	v_ffbl_b32_e32 v30, v30
	v_add_u32_e32 v30, 32, v30
	v_ffbl_b32_e32 v31, v31
	v_min_u32_e32 v30, v31, v30
	v_cmp_le_u32_e32 vcc, v40, v30
	s_waitcnt lgkmcnt(0)
	s_nop 0
	v_cndmask_b32_e32 v31, 0, v52, vcc
	v_add_u32_e32 v26, v31, v26
	ds_bpermute_b32 v31, v41, v26
	v_cmp_le_u32_e32 vcc, v42, v30
	s_waitcnt lgkmcnt(0)
	s_nop 0
	v_cndmask_b32_e32 v31, 0, v31, vcc
	v_add_u32_e32 v26, v26, v31
	ds_bpermute_b32 v31, v43, v26
	;; [unrolled: 6-line block ×5, first 2 shown]
	v_cmp_le_u32_e32 vcc, v51, v30
	s_waitcnt lgkmcnt(0)
	s_nop 0
	v_cndmask_b32_e32 v30, 0, v31, vcc
	v_add3_u32 v26, v30, v47, v26
.LBB74_62:                              ; =>This Loop Header: Depth=1
                                        ;     Child Loop BB74_65 Depth 2
	v_cmp_ne_u16_sdwa s[18:19], v27, v23 src0_sel:BYTE_0 src1_sel:DWORD
	v_mov_b32_e32 v47, v26
	s_nop 0
	v_cndmask_b32_e64 v27, 0, 1, s[18:19]
	;;#ASMSTART
	;;#ASMEND
	s_nop 0
	v_cmp_ne_u32_e32 vcc, 0, v27
	s_cmp_lg_u64 vcc, exec
	s_cbranch_scc1 .LBB74_67
; %bb.63:                               ;   in Loop: Header=BB74_62 Depth=1
	v_lshl_add_u64 v[30:31], v[24:25], 3, s[16:17]
	global_load_dwordx2 v[26:27], v[30:31], off sc1
	s_waitcnt vmcnt(0)
	v_cmp_eq_u16_sdwa s[20:21], v27, v25 src0_sel:BYTE_0 src1_sel:DWORD
	s_and_saveexec_b64 s[18:19], s[20:21]
	s_cbranch_execz .LBB74_61
; %bb.64:                               ;   in Loop: Header=BB74_62 Depth=1
	s_mov_b64 s[20:21], 0
.LBB74_65:                              ;   Parent Loop BB74_62 Depth=1
                                        ; =>  This Inner Loop Header: Depth=2
	global_load_dwordx2 v[26:27], v[30:31], off sc1
	s_waitcnt vmcnt(0)
	v_cmp_ne_u16_sdwa s[24:25], v27, v25 src0_sel:BYTE_0 src1_sel:DWORD
	s_or_b64 s[20:21], s[24:25], s[20:21]
	s_andn2_b64 exec, exec, s[20:21]
	s_cbranch_execnz .LBB74_65
; %bb.66:                               ;   in Loop: Header=BB74_62 Depth=1
	s_or_b64 exec, exec, s[20:21]
	s_branch .LBB74_61
.LBB74_67:                              ;   in Loop: Header=BB74_62 Depth=1
                                        ; implicit-def: $vgpr26
                                        ; implicit-def: $vgpr27
	s_cbranch_execz .LBB74_62
; %bb.68:
	s_and_saveexec_b64 s[18:19], s[4:5]
	s_cbranch_execz .LBB74_70
; %bb.69:
	s_add_i32 s2, s2, 64
	s_mov_b32 s3, 0
	s_lshl_b64 s[2:3], s[2:3], 3
	s_add_u32 s2, s16, s2
	s_addc_u32 s3, s17, s3
	v_mov_b32_e32 v24, 0
	v_add_u32_e32 v22, v47, v22
	v_mov_b32_e32 v23, 2
	global_store_dwordx2 v24, v[22:23], s[2:3] sc1
.LBB74_70:
	s_or_b64 exec, exec, s[18:19]
	v_cmp_eq_u32_e32 vcc, 0, v0
	s_and_b64 exec, exec, vcc
	s_cbranch_execz .LBB74_72
; %bb.71:
	v_mov_b32_e32 v22, 0
	ds_write_b32 v22, v47 offset:12
.LBB74_72:
	s_or_b64 exec, exec, s[6:7]
	v_mov_b32_e32 v22, 0
	s_waitcnt lgkmcnt(0)
	s_barrier
	ds_read_b32 v22, v22 offset:12
	v_cndmask_b32_e64 v23, v38, v37, s[4:5]
	v_cmp_ne_u32_e32 vcc, 0, v0
	s_nop 1
	v_cndmask_b32_e32 v23, 0, v23, vcc
	s_waitcnt lgkmcnt(0)
	v_add_u32_e32 v22, v22, v23
	s_load_dwordx4 s[4:7], s[0:1], 0x38
	s_branch .LBB74_85
.LBB74_73:
                                        ; implicit-def: $vgpr22
	s_load_dwordx4 s[4:7], s[0:1], 0x38
	s_cbranch_execz .LBB74_85
; %bb.74:
	s_load_dword s2, s[0:1], 0x48
	s_load_dword s3, s[0:1], 0x20
	s_waitcnt lgkmcnt(0)
	s_bitcmp0_b32 s2, 0
	v_mov_b32_e32 v23, s3
	s_cbranch_scc1 .LBB74_76
; %bb.75:
	v_mov_b32_e32 v22, 0
	global_load_dword v22, v22, s[14:15] offset:-4
	s_load_dword s2, s[4:5], 0x0
	s_waitcnt vmcnt(0) lgkmcnt(0)
	v_add_u32_e32 v23, s2, v22
.LBB74_76:
	v_add3_u32 v22, v36, v17, v14
	v_add3_u32 v22, v22, v15, v12
	;; [unrolled: 1-line block ×8, first 2 shown]
	v_mbcnt_hi_u32_b32 v22, -1, v35
	v_and_b32_e32 v25, 15, v22
	v_mov_b32_dpp v26, v24 row_shr:1 row_mask:0xf bank_mask:0xf
	v_cmp_ne_u32_e32 vcc, 0, v25
	s_nop 1
	v_cndmask_b32_e32 v26, 0, v26, vcc
	v_add_u32_e32 v24, v26, v24
	v_cmp_lt_u32_e32 vcc, 1, v25
	s_nop 0
	v_mov_b32_dpp v26, v24 row_shr:2 row_mask:0xf bank_mask:0xf
	v_cndmask_b32_e32 v26, 0, v26, vcc
	v_add_u32_e32 v24, v24, v26
	v_cmp_lt_u32_e32 vcc, 3, v25
	s_nop 0
	v_mov_b32_dpp v26, v24 row_shr:4 row_mask:0xf bank_mask:0xf
	;; [unrolled: 5-line block ×3, first 2 shown]
	v_cndmask_b32_e32 v25, 0, v26, vcc
	v_add_u32_e32 v24, v24, v25
	v_bfe_i32 v26, v22, 4, 1
	v_cmp_lt_u32_e32 vcc, 31, v22
	v_mov_b32_dpp v25, v24 row_bcast:15 row_mask:0xf bank_mask:0xf
	v_and_b32_e32 v25, v26, v25
	v_add_u32_e32 v24, v24, v25
	s_nop 1
	v_mov_b32_dpp v25, v24 row_bcast:31 row_mask:0xf bank_mask:0xf
	v_cndmask_b32_e32 v25, 0, v25, vcc
	v_add_u32_e32 v24, v24, v25
	v_cmp_eq_u32_e32 vcc, v33, v0
	s_and_saveexec_b64 s[2:3], vcc
	s_cbranch_execz .LBB74_78
; %bb.77:
	v_lshlrev_b32_e32 v25, 2, v1
	ds_write_b32 v25, v24
.LBB74_78:
	s_or_b64 exec, exec, s[2:3]
	v_cmp_gt_u32_e32 vcc, 4, v0
	s_waitcnt lgkmcnt(0)
	s_barrier
	s_and_saveexec_b64 s[2:3], vcc
	s_cbranch_execz .LBB74_80
; %bb.79:
	v_lshlrev_b32_e32 v25, 2, v0
	ds_read_b32 v26, v25
	v_and_b32_e32 v27, 3, v22
	v_cmp_ne_u32_e32 vcc, 0, v27
	s_waitcnt lgkmcnt(0)
	v_mov_b32_dpp v28, v26 row_shr:1 row_mask:0xf bank_mask:0xf
	v_cndmask_b32_e32 v28, 0, v28, vcc
	v_add_u32_e32 v26, v28, v26
	v_cmp_lt_u32_e32 vcc, 1, v27
	s_nop 0
	v_mov_b32_dpp v28, v26 row_shr:2 row_mask:0xf bank_mask:0xf
	v_cndmask_b32_e32 v27, 0, v28, vcc
	v_add_u32_e32 v26, v26, v27
	ds_write_b32 v25, v26
.LBB74_80:
	s_or_b64 exec, exec, s[2:3]
	v_cmp_lt_u32_e32 vcc, 63, v0
	v_mov_b32_e32 v25, v23
	s_waitcnt lgkmcnt(0)
	s_barrier
	s_and_saveexec_b64 s[2:3], vcc
	s_cbranch_execz .LBB74_82
; %bb.81:
	v_lshl_add_u32 v1, v1, 2, -4
	ds_read_b32 v1, v1
	s_waitcnt lgkmcnt(0)
	v_add_u32_e32 v25, v1, v23
.LBB74_82:
	s_or_b64 exec, exec, s[2:3]
	v_add_u32_e32 v1, v25, v24
	v_add_u32_e32 v24, -1, v22
	v_and_b32_e32 v26, 64, v22
	v_cmp_lt_i32_e32 vcc, v24, v26
	s_nop 1
	v_cndmask_b32_e32 v24, v24, v22, vcc
	v_lshlrev_b32_e32 v24, 2, v24
	ds_bpermute_b32 v1, v24, v1
	v_cmp_eq_u32_e32 vcc, 0, v22
	s_waitcnt lgkmcnt(0)
	s_nop 0
	v_cndmask_b32_e32 v22, v1, v25, vcc
	v_cmp_eq_u32_e32 vcc, 0, v0
	s_and_saveexec_b64 s[2:3], vcc
	s_cbranch_execz .LBB74_84
; %bb.83:
	v_mov_b32_e32 v1, 0
	ds_read_b32 v22, v1 offset:12
	v_mov_b32_e32 v25, 2
	s_waitcnt lgkmcnt(0)
	v_add_u32_e32 v24, v22, v23
	v_mov_b32_e32 v22, v23
	global_store_dwordx2 v1, v[24:25], s[16:17] offset:512 sc1
.LBB74_84:
	s_or_b64 exec, exec, s[2:3]
.LBB74_85:
	v_add_u32_e32 v1, v22, v20
	v_add_u32_e32 v20, v1, v21
	;; [unrolled: 1-line block ×18, first 2 shown]
	s_lshl_b64 s[2:3], s[12:13], 3
	v_add_u32_e32 v21, v5, v2
	s_add_u32 s2, s8, s2
	v_add_u32_e32 v23, v21, v3
	s_addc_u32 s3, s9, s3
	s_waitcnt lgkmcnt(0)
	s_mov_b64 s[4:5], -1
	s_and_b64 vcc, exec, s[10:11]
	v_lshlrev_b32_e32 v2, 3, v0
	s_barrier
	s_cbranch_vccz .LBB74_87
; %bb.86:
	v_mul_u32_u24_e32 v3, 0x54, v0
	s_movk_i32 s4, 0x54
	ds_write2_b32 v3, v22, v1 offset1:1
	ds_write2_b32 v3, v20, v18 offset0:2 offset1:3
	ds_write2_b32 v3, v19, v16 offset0:4 offset1:5
	;; [unrolled: 1-line block ×9, first 2 shown]
	ds_write_b32 v3, v23 offset:80
	v_mul_i32_i24_e32 v3, 0xffffffb0, v0
	v_mad_u32_u24 v3, v0, s4, v3
	s_waitcnt lgkmcnt(0)
	s_barrier
	ds_read2st64_b32 v[24:25], v3 offset1:4
	ds_read2st64_b32 v[28:29], v3 offset0:8 offset1:12
	ds_read2st64_b32 v[38:39], v3 offset0:24 offset1:28
	;; [unrolled: 1-line block ×4, first 2 shown]
	s_waitcnt lgkmcnt(4)
	v_ashrrev_i32_e32 v27, 31, v24
	v_mov_b32_e32 v26, v24
	v_ashrrev_i32_e32 v31, 31, v25
	v_mov_b32_e32 v30, v25
	ds_read2st64_b32 v[24:25], v3 offset0:16 offset1:20
	s_waitcnt lgkmcnt(4)
	v_ashrrev_i32_e32 v35, 31, v28
	v_mov_b32_e32 v34, v28
	v_ashrrev_i32_e32 v37, 31, v29
	v_mov_b32_e32 v36, v29
	s_waitcnt lgkmcnt(0)
	v_ashrrev_i32_e32 v29, 31, v24
	v_mov_b32_e32 v28, v24
	v_ashrrev_i32_e32 v41, 31, v25
	v_mov_b32_e32 v40, v25
	ds_read2st64_b32 v[24:25], v3 offset0:32 offset1:36
	v_ashrrev_i32_e32 v43, 31, v38
	v_mov_b32_e32 v42, v38
	v_ashrrev_i32_e32 v45, 31, v39
	v_mov_b32_e32 v44, v39
	s_waitcnt lgkmcnt(0)
	v_ashrrev_i32_e32 v39, 31, v24
	v_mov_b32_e32 v38, v24
	v_ashrrev_i32_e32 v49, 31, v25
	v_mov_b32_e32 v48, v25
	ds_read2st64_b32 v[24:25], v3 offset0:48 offset1:52
	;; [unrolled: 10-line block ×3, first 2 shown]
	ds_read2st64_b32 v[62:63], v3 offset0:72 offset1:76
	v_ashrrev_i32_e32 v59, 31, v54
	v_mov_b32_e32 v58, v54
	v_ashrrev_i32_e32 v61, 31, v55
	v_mov_b32_e32 v60, v55
	s_waitcnt lgkmcnt(1)
	v_ashrrev_i32_e32 v55, 31, v24
	v_mov_b32_e32 v54, v24
	ds_read_b32 v24, v3 offset:20480
	v_mov_b32_e32 v3, 0
	s_waitcnt lgkmcnt(1)
	v_ashrrev_i32_e32 v67, 31, v62
	v_mov_b32_e32 v66, v62
	v_ashrrev_i32_e32 v69, 31, v63
	v_mov_b32_e32 v68, v63
	v_lshl_add_u64 v[62:63], s[2:3], 0, v[2:3]
	s_movk_i32 s4, 0x1000
	global_store_dwordx2 v2, v[26:27], s[2:3]
	global_store_dwordx2 v2, v[30:31], s[2:3] offset:2048
	v_add_co_u32_e32 v26, vcc, s4, v62
	s_movk_i32 s4, 0x2000
	s_nop 0
	v_addc_co_u32_e32 v27, vcc, 0, v63, vcc
	v_add_co_u32_e32 v30, vcc, s4, v62
	s_movk_i32 s4, 0x3000
	s_nop 0
	v_addc_co_u32_e32 v31, vcc, 0, v63, vcc
	global_store_dwordx2 v[30:31], v[34:35], off offset:-4096
	global_store_dwordx2 v[26:27], v[36:37], off offset:2048
	global_store_dwordx2 v[30:31], v[28:29], off
	global_store_dwordx2 v[30:31], v[40:41], off offset:2048
	v_add_co_u32_e32 v26, vcc, s4, v62
	s_movk_i32 s4, 0x4000
	s_nop 0
	v_addc_co_u32_e32 v27, vcc, 0, v63, vcc
	v_add_co_u32_e32 v28, vcc, s4, v62
	s_movk_i32 s4, 0x5000
	s_nop 0
	v_addc_co_u32_e32 v29, vcc, 0, v63, vcc
	global_store_dwordx2 v[28:29], v[42:43], off offset:-4096
	global_store_dwordx2 v[26:27], v[44:45], off offset:2048
	global_store_dwordx2 v[28:29], v[38:39], off
	global_store_dwordx2 v[28:29], v[48:49], off offset:2048
	;; [unrolled: 12-line block ×3, first 2 shown]
	v_add_co_u32_e32 v26, vcc, s4, v62
	s_mov_b32 s4, 0x8000
	s_nop 0
	v_addc_co_u32_e32 v27, vcc, 0, v63, vcc
	v_add_co_u32_e32 v28, vcc, s4, v62
	v_ashrrev_i32_e32 v65, 31, v25
	s_nop 0
	v_addc_co_u32_e32 v29, vcc, 0, v63, vcc
	v_mov_b32_e32 v64, v25
	global_store_dwordx2 v[28:29], v[58:59], off offset:-4096
	global_store_dwordx2 v[26:27], v[60:61], off offset:2048
	global_store_dwordx2 v[28:29], v[54:55], off
	global_store_dwordx2 v[28:29], v[64:65], off offset:2048
	v_add_co_u32_e32 v26, vcc, 0x9000, v62
	s_waitcnt lgkmcnt(0)
	v_ashrrev_i32_e32 v25, 31, v24
	v_addc_co_u32_e32 v27, vcc, 0, v63, vcc
	global_store_dwordx2 v[26:27], v[66:67], off
	global_store_dwordx2 v[26:27], v[68:69], off offset:2048
	v_add_co_u32_e32 v26, vcc, 0xa000, v62
	s_mov_b64 s[4:5], 0
	s_nop 0
	v_addc_co_u32_e32 v27, vcc, 0, v63, vcc
	global_store_dwordx2 v[26:27], v[24:25], off
.LBB74_87:
	s_andn2_b64 vcc, exec, s[4:5]
	s_cbranch_vccnz .LBB74_208
; %bb.88:
	v_mul_u32_u24_e32 v3, 0x54, v0
	s_movk_i32 s4, 0x54
	ds_write2_b32 v3, v22, v1 offset1:1
	ds_write2_b32 v3, v20, v18 offset0:2 offset1:3
	ds_write2_b32 v3, v19, v16 offset0:4 offset1:5
	;; [unrolled: 1-line block ×9, first 2 shown]
	ds_write_b32 v3, v23 offset:80
	v_mul_i32_i24_e32 v1, 0xffffffb0, v0
	v_mad_u32_u24 v1, v0, s4, v1
	s_waitcnt lgkmcnt(0)
	s_barrier
	ds_read2st64_b32 v[6:7], v1 offset1:4
	ds_read2st64_b32 v[8:9], v1 offset0:8 offset1:12
	ds_read2st64_b32 v[10:11], v1 offset0:16 offset1:20
	;; [unrolled: 1-line block ×9, first 2 shown]
	ds_read_b32 v24, v1 offset:20480
	v_mov_b32_e32 v3, 0
	v_lshl_add_u64 v[26:27], s[2:3], 0, v[2:3]
	v_cmp_gt_u32_e32 vcc, s22, v0
	s_and_saveexec_b64 s[2:3], vcc
	s_cbranch_execz .LBB74_90
; %bb.89:
	s_waitcnt lgkmcnt(10)
	v_ashrrev_i32_e32 v29, 31, v6
	v_mov_b32_e32 v28, v6
	global_store_dwordx2 v[26:27], v[28:29], off
.LBB74_90:
	s_or_b64 exec, exec, s[2:3]
	v_or_b32_e32 v1, 0x100, v0
	v_cmp_gt_u32_e32 vcc, s22, v1
	s_and_saveexec_b64 s[2:3], vcc
	s_cbranch_execz .LBB74_92
; %bb.91:
	s_waitcnt lgkmcnt(10)
	v_ashrrev_i32_e32 v29, 31, v7
	v_mov_b32_e32 v28, v7
	global_store_dwordx2 v[26:27], v[28:29], off offset:2048
.LBB74_92:
	s_or_b64 exec, exec, s[2:3]
	v_or_b32_e32 v1, 0x200, v0
	v_cmp_gt_u32_e32 vcc, s22, v1
	s_and_saveexec_b64 s[2:3], vcc
	s_cbranch_execz .LBB74_94
; %bb.93:
	v_add_co_u32_e32 v30, vcc, 0x1000, v26
	s_waitcnt lgkmcnt(9)
	v_ashrrev_i32_e32 v29, 31, v8
	v_mov_b32_e32 v28, v8
	v_addc_co_u32_e32 v31, vcc, 0, v27, vcc
	global_store_dwordx2 v[30:31], v[28:29], off
.LBB74_94:
	s_or_b64 exec, exec, s[2:3]
	v_or_b32_e32 v1, 0x300, v0
	v_cmp_gt_u32_e32 vcc, s22, v1
	s_and_saveexec_b64 s[2:3], vcc
	s_cbranch_execz .LBB74_96
; %bb.95:
	v_add_co_u32_e32 v30, vcc, 0x1000, v26
	s_waitcnt lgkmcnt(9)
	v_ashrrev_i32_e32 v29, 31, v9
	v_mov_b32_e32 v28, v9
	v_addc_co_u32_e32 v31, vcc, 0, v27, vcc
	global_store_dwordx2 v[30:31], v[28:29], off offset:2048
.LBB74_96:
	s_or_b64 exec, exec, s[2:3]
	v_or_b32_e32 v1, 0x400, v0
	v_cmp_gt_u32_e32 vcc, s22, v1
	s_and_saveexec_b64 s[2:3], vcc
	s_cbranch_execz .LBB74_98
; %bb.97:
	v_add_co_u32_e32 v30, vcc, 0x2000, v26
	s_waitcnt lgkmcnt(8)
	v_ashrrev_i32_e32 v29, 31, v10
	v_mov_b32_e32 v28, v10
	v_addc_co_u32_e32 v31, vcc, 0, v27, vcc
	global_store_dwordx2 v[30:31], v[28:29], off
.LBB74_98:
	s_or_b64 exec, exec, s[2:3]
	v_or_b32_e32 v1, 0x500, v0
	v_cmp_gt_u32_e32 vcc, s22, v1
	s_and_saveexec_b64 s[2:3], vcc
	s_cbranch_execz .LBB74_100
; %bb.99:
	v_add_co_u32_e32 v30, vcc, 0x2000, v26
	s_waitcnt lgkmcnt(8)
	v_ashrrev_i32_e32 v29, 31, v11
	v_mov_b32_e32 v28, v11
	v_addc_co_u32_e32 v31, vcc, 0, v27, vcc
	global_store_dwordx2 v[30:31], v[28:29], off offset:2048
.LBB74_100:
	;; [unrolled: 26-line block ×9, first 2 shown]
	s_or_b64 exec, exec, s[2:3]
	v_or_b32_e32 v1, 0x1400, v0
	v_cmp_gt_u32_e32 vcc, s22, v1
	s_and_saveexec_b64 s[2:3], vcc
	s_cbranch_execz .LBB74_130
; %bb.129:
	v_add_co_u32_e32 v26, vcc, 0xa000, v26
	s_waitcnt lgkmcnt(0)
	v_ashrrev_i32_e32 v25, 31, v24
	v_addc_co_u32_e32 v27, vcc, 0, v27, vcc
	global_store_dwordx2 v[26:27], v[24:25], off
.LBB74_130:
	s_or_b64 exec, exec, s[2:3]
	s_load_dword s0, s[0:1], 0x48
	s_waitcnt lgkmcnt(0)
	s_bfe_u32 s0, s0, 0x10008
	s_cmp_eq_u32 s0, 0
	s_cbranch_scc1 .LBB74_208
; %bb.131:
	s_add_u32 s0, s22, -1
	s_addc_u32 s1, s23, -1
	s_add_u32 s2, 0, 0x30c26c00
	s_addc_u32 s3, 0, 44
	s_add_i32 s3, s3, 0xc30c2e0
	s_mul_hi_u32 s9, s2, 0xffffffeb
	s_sub_i32 s9, s9, s2
	s_mul_i32 s10, s3, 0xffffffeb
	s_mul_i32 s4, s2, 0xffffffeb
	s_add_i32 s9, s9, s10
	s_mul_hi_u32 s5, s3, s4
	s_mul_i32 s8, s3, s4
	s_mul_i32 s11, s2, s9
	s_mul_hi_u32 s4, s2, s4
	s_mul_hi_u32 s10, s2, s9
	s_add_u32 s4, s4, s11
	s_addc_u32 s10, 0, s10
	s_add_u32 s4, s4, s8
	s_mul_hi_u32 s11, s3, s9
	s_addc_u32 s4, s10, s5
	s_addc_u32 s5, s11, 0
	s_mul_i32 s8, s3, s9
	s_add_u32 s4, s4, s8
	v_mov_b32_e32 v2, s4
	s_addc_u32 s5, 0, s5
	v_add_co_u32_e32 v2, vcc, s2, v2
	s_cmp_lg_u64 vcc, 0
	s_addc_u32 s2, s3, s5
	v_readfirstlane_b32 s5, v2
	s_mul_i32 s4, s0, s2
	s_mul_hi_u32 s8, s0, s5
	s_mul_hi_u32 s3, s0, s2
	s_add_u32 s4, s8, s4
	s_addc_u32 s3, 0, s3
	s_mul_hi_u32 s9, s1, s5
	s_mul_i32 s5, s1, s5
	s_add_u32 s4, s4, s5
	s_mul_hi_u32 s8, s1, s2
	s_addc_u32 s3, s3, s9
	s_addc_u32 s4, s8, 0
	s_mul_i32 s2, s1, s2
	s_add_u32 s2, s3, s2
	s_addc_u32 s3, 0, s4
	s_add_u32 s4, s2, 1
	s_addc_u32 s5, s3, 0
	s_add_u32 s8, s2, 2
	s_mul_i32 s10, s3, 21
	s_mul_hi_u32 s11, s2, 21
	s_addc_u32 s9, s3, 0
	s_add_i32 s11, s11, s10
	s_mul_i32 s10, s2, 21
	v_mov_b32_e32 v2, s10
	v_sub_co_u32_e32 v2, vcc, s0, v2
	s_cmp_lg_u64 vcc, 0
	v_mov_b32_e32 v1, v3
	s_subb_u32 s10, s1, s11
	v_subrev_co_u32_e32 v3, vcc, 21, v2
	s_cmp_lg_u64 vcc, 0
	s_subb_u32 s11, s10, 0
	v_readfirstlane_b32 s12, v3
	s_cmp_gt_u32 s12, 20
	s_cselect_b32 s12, -1, 0
	s_cmp_eq_u32 s11, 0
	s_cselect_b32 s11, s12, -1
	s_cmp_lg_u32 s11, 0
	s_cselect_b32 s4, s8, s4
	v_readfirstlane_b32 s8, v2
	s_cselect_b32 s5, s9, s5
	s_cmp_gt_u32 s8, 20
	s_cselect_b32 s8, -1, 0
	s_cmp_eq_u32 s10, 0
	s_cselect_b32 s8, s8, -1
	s_cmp_lg_u32 s8, 0
	s_cselect_b32 s3, s5, s3
	s_cselect_b32 s2, s4, s2
	v_cmp_eq_u64_e32 vcc, s[2:3], v[0:1]
	s_and_saveexec_b64 s[2:3], vcc
	s_cbranch_execz .LBB74_208
; %bb.132:
	v_mul_hi_u32_u24_e32 v1, 21, v0
	v_mov_b32_e32 v2, s1
	v_sub_co_u32_e32 v0, vcc, s0, v32
	s_nop 1
	v_subb_co_u32_e32 v1, vcc, v2, v1, vcc
	v_cmp_lt_i64_e32 vcc, 10, v[0:1]
	s_and_saveexec_b64 s[0:1], vcc
	s_xor_b64 s[0:1], exec, s[0:1]
	s_cbranch_execz .LBB74_170
; %bb.133:
	v_cmp_lt_i64_e32 vcc, 15, v[0:1]
	s_and_saveexec_b64 s[2:3], vcc
	s_xor_b64 s[2:3], exec, s[2:3]
	s_cbranch_execz .LBB74_151
; %bb.134:
	;; [unrolled: 5-line block ×5, first 2 shown]
	v_mov_b32_e32 v0, 0
	global_store_dword v0, v24, s[6:7]
                                        ; implicit-def: $vgpr20_vgpr21
.LBB74_138:
	s_andn2_saveexec_b64 s[10:11], s[10:11]
	s_cbranch_execz .LBB74_140
; %bb.139:
	v_mov_b32_e32 v0, 0
	global_store_dword v0, v21, s[6:7]
.LBB74_140:
	s_or_b64 exec, exec, s[10:11]
                                        ; implicit-def: $vgpr20_vgpr21
.LBB74_141:
	s_andn2_saveexec_b64 s[8:9], s[8:9]
	s_cbranch_execz .LBB74_143
; %bb.142:
	v_mov_b32_e32 v0, 0
	global_store_dword v0, v20, s[6:7]
.LBB74_143:
	s_or_b64 exec, exec, s[8:9]
                                        ; implicit-def: $vgpr22_vgpr23
                                        ; implicit-def: $vgpr0_vgpr1
.LBB74_144:
	s_andn2_saveexec_b64 s[4:5], s[4:5]
	s_cbranch_execz .LBB74_150
; %bb.145:
	v_cmp_lt_i64_e32 vcc, 16, v[0:1]
	s_and_saveexec_b64 s[8:9], vcc
	s_xor_b64 s[8:9], exec, s[8:9]
	s_cbranch_execz .LBB74_147
; %bb.146:
	v_mov_b32_e32 v0, 0
	global_store_dword v0, v23, s[6:7]
                                        ; implicit-def: $vgpr22_vgpr23
.LBB74_147:
	s_andn2_saveexec_b64 s[8:9], s[8:9]
	s_cbranch_execz .LBB74_149
; %bb.148:
	v_mov_b32_e32 v0, 0
	global_store_dword v0, v22, s[6:7]
.LBB74_149:
	s_or_b64 exec, exec, s[8:9]
.LBB74_150:
	s_or_b64 exec, exec, s[4:5]
                                        ; implicit-def: $vgpr0_vgpr1
                                        ; implicit-def: $vgpr4_vgpr5
                                        ; implicit-def: $vgpr16_vgpr17
                                        ; implicit-def: $vgpr18_vgpr19
.LBB74_151:
	s_andn2_saveexec_b64 s[2:3], s[2:3]
	s_cbranch_execz .LBB74_169
; %bb.152:
	v_cmp_lt_i64_e32 vcc, 12, v[0:1]
	s_and_saveexec_b64 s[4:5], vcc
	s_xor_b64 s[4:5], exec, s[4:5]
	s_cbranch_execz .LBB74_162
; %bb.153:
	v_cmp_lt_i64_e32 vcc, 13, v[0:1]
	s_and_saveexec_b64 s[8:9], vcc
	s_xor_b64 s[8:9], exec, s[8:9]
	s_cbranch_execz .LBB74_159
; %bb.154:
	v_cmp_lt_i64_e32 vcc, 14, v[0:1]
	s_and_saveexec_b64 s[10:11], vcc
	s_xor_b64 s[10:11], exec, s[10:11]
	s_cbranch_execz .LBB74_156
; %bb.155:
	v_mov_b32_e32 v0, 0
	global_store_dword v0, v19, s[6:7]
                                        ; implicit-def: $vgpr18_vgpr19
.LBB74_156:
	s_andn2_saveexec_b64 s[10:11], s[10:11]
	s_cbranch_execz .LBB74_158
; %bb.157:
	v_mov_b32_e32 v0, 0
	global_store_dword v0, v18, s[6:7]
.LBB74_158:
	s_or_b64 exec, exec, s[10:11]
                                        ; implicit-def: $vgpr16_vgpr17
.LBB74_159:
	s_andn2_saveexec_b64 s[8:9], s[8:9]
	s_cbranch_execz .LBB74_161
; %bb.160:
	v_mov_b32_e32 v0, 0
	global_store_dword v0, v17, s[6:7]
.LBB74_161:
	s_or_b64 exec, exec, s[8:9]
                                        ; implicit-def: $vgpr4_vgpr5
                                        ; implicit-def: $vgpr0_vgpr1
                                        ; implicit-def: $vgpr16_vgpr17
.LBB74_162:
	s_andn2_saveexec_b64 s[4:5], s[4:5]
	s_cbranch_execz .LBB74_168
; %bb.163:
	v_cmp_lt_i64_e32 vcc, 11, v[0:1]
	s_and_saveexec_b64 s[8:9], vcc
	s_xor_b64 s[8:9], exec, s[8:9]
	s_cbranch_execz .LBB74_165
; %bb.164:
	v_mov_b32_e32 v0, 0
	global_store_dword v0, v16, s[6:7]
                                        ; implicit-def: $vgpr4_vgpr5
.LBB74_165:
	s_andn2_saveexec_b64 s[8:9], s[8:9]
	s_cbranch_execz .LBB74_167
; %bb.166:
	v_mov_b32_e32 v0, 0
	global_store_dword v0, v5, s[6:7]
.LBB74_167:
	s_or_b64 exec, exec, s[8:9]
.LBB74_168:
	s_or_b64 exec, exec, s[4:5]
.LBB74_169:
	s_or_b64 exec, exec, s[2:3]
                                        ; implicit-def: $vgpr0_vgpr1
                                        ; implicit-def: $vgpr14_vgpr15
                                        ; implicit-def: $vgpr8_vgpr9
                                        ; implicit-def: $vgpr6_vgpr7
                                        ; implicit-def: $vgpr12_vgpr13
                                        ; implicit-def: $vgpr10_vgpr11
                                        ; implicit-def: $vgpr4_vgpr5
.LBB74_170:
	s_andn2_saveexec_b64 s[0:1], s[0:1]
	s_cbranch_execz .LBB74_208
; %bb.171:
	v_cmp_lt_i64_e32 vcc, 5, v[0:1]
	s_and_saveexec_b64 s[0:1], vcc
	s_xor_b64 s[0:1], exec, s[0:1]
	s_cbranch_execz .LBB74_189
; %bb.172:
	v_cmp_lt_i64_e32 vcc, 7, v[0:1]
	s_and_saveexec_b64 s[2:3], vcc
	s_xor_b64 s[2:3], exec, s[2:3]
	;; [unrolled: 5-line block ×4, first 2 shown]
	s_cbranch_execz .LBB74_176
; %bb.175:
	v_mov_b32_e32 v0, 0
	global_store_dword v0, v4, s[6:7]
                                        ; implicit-def: $vgpr12_vgpr13
.LBB74_176:
	s_andn2_saveexec_b64 s[8:9], s[8:9]
	s_cbranch_execz .LBB74_178
; %bb.177:
	v_mov_b32_e32 v0, 0
	global_store_dword v0, v13, s[6:7]
.LBB74_178:
	s_or_b64 exec, exec, s[8:9]
                                        ; implicit-def: $vgpr12_vgpr13
.LBB74_179:
	s_andn2_saveexec_b64 s[4:5], s[4:5]
	s_cbranch_execz .LBB74_181
; %bb.180:
	v_mov_b32_e32 v0, 0
	global_store_dword v0, v12, s[6:7]
.LBB74_181:
	s_or_b64 exec, exec, s[4:5]
                                        ; implicit-def: $vgpr14_vgpr15
                                        ; implicit-def: $vgpr0_vgpr1
.LBB74_182:
	s_andn2_saveexec_b64 s[2:3], s[2:3]
	s_cbranch_execz .LBB74_188
; %bb.183:
	v_cmp_lt_i64_e32 vcc, 6, v[0:1]
	s_and_saveexec_b64 s[4:5], vcc
	s_xor_b64 s[4:5], exec, s[4:5]
	s_cbranch_execz .LBB74_185
; %bb.184:
	v_mov_b32_e32 v0, 0
	global_store_dword v0, v15, s[6:7]
                                        ; implicit-def: $vgpr14_vgpr15
.LBB74_185:
	s_andn2_saveexec_b64 s[4:5], s[4:5]
	s_cbranch_execz .LBB74_187
; %bb.186:
	v_mov_b32_e32 v0, 0
	global_store_dword v0, v14, s[6:7]
.LBB74_187:
	s_or_b64 exec, exec, s[4:5]
.LBB74_188:
	s_or_b64 exec, exec, s[2:3]
                                        ; implicit-def: $vgpr0_vgpr1
                                        ; implicit-def: $vgpr8_vgpr9
                                        ; implicit-def: $vgpr6_vgpr7
                                        ; implicit-def: $vgpr10_vgpr11
.LBB74_189:
	s_andn2_saveexec_b64 s[0:1], s[0:1]
	s_cbranch_execz .LBB74_208
; %bb.190:
	v_cmp_lt_i64_e32 vcc, 2, v[0:1]
	s_and_saveexec_b64 s[0:1], vcc
	s_xor_b64 s[0:1], exec, s[0:1]
	s_cbranch_execz .LBB74_200
; %bb.191:
	v_cmp_lt_i64_e32 vcc, 3, v[0:1]
	s_and_saveexec_b64 s[2:3], vcc
	s_xor_b64 s[2:3], exec, s[2:3]
	;; [unrolled: 5-line block ×3, first 2 shown]
	s_cbranch_execz .LBB74_194
; %bb.193:
	v_mov_b32_e32 v0, 0
	global_store_dword v0, v11, s[6:7]
                                        ; implicit-def: $vgpr10_vgpr11
.LBB74_194:
	s_andn2_saveexec_b64 s[4:5], s[4:5]
	s_cbranch_execz .LBB74_196
; %bb.195:
	v_mov_b32_e32 v0, 0
	global_store_dword v0, v10, s[6:7]
.LBB74_196:
	s_or_b64 exec, exec, s[4:5]
                                        ; implicit-def: $vgpr8_vgpr9
.LBB74_197:
	s_andn2_saveexec_b64 s[2:3], s[2:3]
	s_cbranch_execz .LBB74_199
; %bb.198:
	v_mov_b32_e32 v0, 0
	global_store_dword v0, v9, s[6:7]
.LBB74_199:
	s_or_b64 exec, exec, s[2:3]
                                        ; implicit-def: $vgpr0_vgpr1
                                        ; implicit-def: $vgpr8_vgpr9
                                        ; implicit-def: $vgpr6_vgpr7
.LBB74_200:
	s_andn2_saveexec_b64 s[0:1], s[0:1]
	s_cbranch_execz .LBB74_208
; %bb.201:
	v_cmp_lt_i64_e32 vcc, 1, v[0:1]
	s_and_saveexec_b64 s[0:1], vcc
	s_xor_b64 s[0:1], exec, s[0:1]
	s_cbranch_execz .LBB74_203
; %bb.202:
	v_mov_b32_e32 v0, 0
	global_store_dword v0, v8, s[6:7]
                                        ; implicit-def: $vgpr6_vgpr7
                                        ; implicit-def: $vgpr0_vgpr1
.LBB74_203:
	s_andn2_saveexec_b64 s[0:1], s[0:1]
	s_cbranch_execz .LBB74_208
; %bb.204:
	v_cmp_ne_u64_e32 vcc, 1, v[0:1]
	s_and_saveexec_b64 s[0:1], vcc
	s_xor_b64 s[0:1], exec, s[0:1]
	s_cbranch_execz .LBB74_206
; %bb.205:
	v_mov_b32_e32 v0, 0
	global_store_dword v0, v6, s[6:7]
                                        ; implicit-def: $vgpr6_vgpr7
.LBB74_206:
	s_andn2_saveexec_b64 s[0:1], s[0:1]
	s_cbranch_execz .LBB74_208
; %bb.207:
	v_mov_b32_e32 v0, 0
	global_store_dword v0, v7, s[6:7]
.LBB74_208:
	s_endpgm
	.section	.rodata,"a",@progbits
	.p2align	6, 0x0
	.amdhsa_kernel _ZN7rocprim6detail20lookback_scan_kernelILNS0_25lookback_scan_determinismE0ELb1ENS0_19wrapped_scan_configINS_14default_configEiEEN6hipcub22TransformInputIteratorIiNS6_6CastOpIiEEPilEEPlNS6_3SumEiiNS0_19lookback_scan_stateIiLb0ELb1EEEEEvT2_T3_mT5_T4_T7_jPT6_SM_bb
		.amdhsa_group_segment_fixed_size 21504
		.amdhsa_private_segment_fixed_size 0
		.amdhsa_kernarg_size 76
		.amdhsa_user_sgpr_count 2
		.amdhsa_user_sgpr_dispatch_ptr 0
		.amdhsa_user_sgpr_queue_ptr 0
		.amdhsa_user_sgpr_kernarg_segment_ptr 1
		.amdhsa_user_sgpr_dispatch_id 0
		.amdhsa_user_sgpr_kernarg_preload_length 0
		.amdhsa_user_sgpr_kernarg_preload_offset 0
		.amdhsa_user_sgpr_private_segment_size 0
		.amdhsa_uses_dynamic_stack 0
		.amdhsa_enable_private_segment 0
		.amdhsa_system_sgpr_workgroup_id_x 1
		.amdhsa_system_sgpr_workgroup_id_y 0
		.amdhsa_system_sgpr_workgroup_id_z 0
		.amdhsa_system_sgpr_workgroup_info 0
		.amdhsa_system_vgpr_workitem_id 0
		.amdhsa_next_free_vgpr 70
		.amdhsa_next_free_sgpr 26
		.amdhsa_accum_offset 72
		.amdhsa_reserve_vcc 1
		.amdhsa_float_round_mode_32 0
		.amdhsa_float_round_mode_16_64 0
		.amdhsa_float_denorm_mode_32 3
		.amdhsa_float_denorm_mode_16_64 3
		.amdhsa_dx10_clamp 1
		.amdhsa_ieee_mode 1
		.amdhsa_fp16_overflow 0
		.amdhsa_tg_split 0
		.amdhsa_exception_fp_ieee_invalid_op 0
		.amdhsa_exception_fp_denorm_src 0
		.amdhsa_exception_fp_ieee_div_zero 0
		.amdhsa_exception_fp_ieee_overflow 0
		.amdhsa_exception_fp_ieee_underflow 0
		.amdhsa_exception_fp_ieee_inexact 0
		.amdhsa_exception_int_div_zero 0
	.end_amdhsa_kernel
	.section	.text._ZN7rocprim6detail20lookback_scan_kernelILNS0_25lookback_scan_determinismE0ELb1ENS0_19wrapped_scan_configINS_14default_configEiEEN6hipcub22TransformInputIteratorIiNS6_6CastOpIiEEPilEEPlNS6_3SumEiiNS0_19lookback_scan_stateIiLb0ELb1EEEEEvT2_T3_mT5_T4_T7_jPT6_SM_bb,"axG",@progbits,_ZN7rocprim6detail20lookback_scan_kernelILNS0_25lookback_scan_determinismE0ELb1ENS0_19wrapped_scan_configINS_14default_configEiEEN6hipcub22TransformInputIteratorIiNS6_6CastOpIiEEPilEEPlNS6_3SumEiiNS0_19lookback_scan_stateIiLb0ELb1EEEEEvT2_T3_mT5_T4_T7_jPT6_SM_bb,comdat
.Lfunc_end74:
	.size	_ZN7rocprim6detail20lookback_scan_kernelILNS0_25lookback_scan_determinismE0ELb1ENS0_19wrapped_scan_configINS_14default_configEiEEN6hipcub22TransformInputIteratorIiNS6_6CastOpIiEEPilEEPlNS6_3SumEiiNS0_19lookback_scan_stateIiLb0ELb1EEEEEvT2_T3_mT5_T4_T7_jPT6_SM_bb, .Lfunc_end74-_ZN7rocprim6detail20lookback_scan_kernelILNS0_25lookback_scan_determinismE0ELb1ENS0_19wrapped_scan_configINS_14default_configEiEEN6hipcub22TransformInputIteratorIiNS6_6CastOpIiEEPilEEPlNS6_3SumEiiNS0_19lookback_scan_stateIiLb0ELb1EEEEEvT2_T3_mT5_T4_T7_jPT6_SM_bb
                                        ; -- End function
	.section	.AMDGPU.csdata,"",@progbits
; Kernel info:
; codeLenInByte = 7304
; NumSgprs: 32
; NumVgprs: 70
; NumAgprs: 0
; TotalNumVgprs: 70
; ScratchSize: 0
; MemoryBound: 0
; FloatMode: 240
; IeeeMode: 1
; LDSByteSize: 21504 bytes/workgroup (compile time only)
; SGPRBlocks: 3
; VGPRBlocks: 8
; NumSGPRsForWavesPerEU: 32
; NumVGPRsForWavesPerEU: 70
; AccumOffset: 72
; Occupancy: 3
; WaveLimiterHint : 1
; COMPUTE_PGM_RSRC2:SCRATCH_EN: 0
; COMPUTE_PGM_RSRC2:USER_SGPR: 2
; COMPUTE_PGM_RSRC2:TRAP_HANDLER: 0
; COMPUTE_PGM_RSRC2:TGID_X_EN: 1
; COMPUTE_PGM_RSRC2:TGID_Y_EN: 0
; COMPUTE_PGM_RSRC2:TGID_Z_EN: 0
; COMPUTE_PGM_RSRC2:TIDIG_COMP_CNT: 0
; COMPUTE_PGM_RSRC3_GFX90A:ACCUM_OFFSET: 17
; COMPUTE_PGM_RSRC3_GFX90A:TG_SPLIT: 0
	.section	.text._ZN7rocprim6detail18single_scan_kernelILb1ENS0_19wrapped_scan_configINS_14default_configEiEEN6hipcub22TransformInputIteratorIiNS5_6CastOpIiEEPilEEPlNS5_3SumEiiEEvT1_mT4_T2_T3_,"axG",@progbits,_ZN7rocprim6detail18single_scan_kernelILb1ENS0_19wrapped_scan_configINS_14default_configEiEEN6hipcub22TransformInputIteratorIiNS5_6CastOpIiEEPilEEPlNS5_3SumEiiEEvT1_mT4_T2_T3_,comdat
	.protected	_ZN7rocprim6detail18single_scan_kernelILb1ENS0_19wrapped_scan_configINS_14default_configEiEEN6hipcub22TransformInputIteratorIiNS5_6CastOpIiEEPilEEPlNS5_3SumEiiEEvT1_mT4_T2_T3_ ; -- Begin function _ZN7rocprim6detail18single_scan_kernelILb1ENS0_19wrapped_scan_configINS_14default_configEiEEN6hipcub22TransformInputIteratorIiNS5_6CastOpIiEEPilEEPlNS5_3SumEiiEEvT1_mT4_T2_T3_
	.globl	_ZN7rocprim6detail18single_scan_kernelILb1ENS0_19wrapped_scan_configINS_14default_configEiEEN6hipcub22TransformInputIteratorIiNS5_6CastOpIiEEPilEEPlNS5_3SumEiiEEvT1_mT4_T2_T3_
	.p2align	8
	.type	_ZN7rocprim6detail18single_scan_kernelILb1ENS0_19wrapped_scan_configINS_14default_configEiEEN6hipcub22TransformInputIteratorIiNS5_6CastOpIiEEPilEEPlNS5_3SumEiiEEvT1_mT4_T2_T3_,@function
_ZN7rocprim6detail18single_scan_kernelILb1ENS0_19wrapped_scan_configINS_14default_configEiEEN6hipcub22TransformInputIteratorIiNS5_6CastOpIiEEPilEEPlNS5_3SumEiiEEvT1_mT4_T2_T3_: ; @_ZN7rocprim6detail18single_scan_kernelILb1ENS0_19wrapped_scan_configINS_14default_configEiEEN6hipcub22TransformInputIteratorIiNS5_6CastOpIiEEPilEEPlNS5_3SumEiiEEvT1_mT4_T2_T3_
; %bb.0:
	s_load_dwordx2 s[2:3], s[0:1], 0x0
	s_load_dword s33, s[0:1], 0x10
	v_mov_b32_e32 v3, 0
	v_lshlrev_b32_e32 v2, 2, v0
	s_waitcnt lgkmcnt(0)
	s_load_dword s46, s[2:3], 0x0
	v_lshl_add_u64 v[4:5], s[2:3], 0, v[2:3]
	v_cmp_gt_u32_e64 s[2:3], s33, v0
	s_waitcnt lgkmcnt(0)
	v_mov_b32_e32 v1, s46
	s_and_saveexec_b64 s[4:5], s[2:3]
	s_cbranch_execz .LBB75_2
; %bb.1:
	global_load_dword v1, v[4:5], off
.LBB75_2:
	s_or_b64 exec, exec, s[4:5]
	v_or_b32_e32 v3, 0x100, v0
	v_cmp_gt_u32_e64 s[4:5], s33, v3
	v_mov_b32_e32 v3, s46
	s_and_saveexec_b64 s[6:7], s[4:5]
	s_cbranch_execz .LBB75_4
; %bb.3:
	global_load_dword v3, v[4:5], off offset:1024
.LBB75_4:
	s_or_b64 exec, exec, s[6:7]
	v_or_b32_e32 v6, 0x200, v0
	v_cmp_gt_u32_e64 s[10:11], s33, v6
	v_mov_b32_e32 v6, s46
	s_and_saveexec_b64 s[6:7], s[10:11]
	s_cbranch_execz .LBB75_6
; %bb.5:
	global_load_dword v6, v[4:5], off offset:2048
.LBB75_6:
	;; [unrolled: 9-line block ×3, first 2 shown]
	s_or_b64 exec, exec, s[8:9]
	v_or_b32_e32 v8, 0x400, v0
	v_cmp_gt_u32_e64 s[44:45], s33, v8
	v_mov_b32_e32 v8, s46
	s_and_saveexec_b64 s[8:9], s[44:45]
	s_cbranch_execz .LBB75_10
; %bb.9:
	v_add_co_u32_e32 v8, vcc, 0x1000, v4
	s_nop 1
	v_addc_co_u32_e32 v9, vcc, 0, v5, vcc
	global_load_dword v8, v[8:9], off
.LBB75_10:
	s_or_b64 exec, exec, s[8:9]
	v_or_b32_e32 v9, 0x500, v0
	v_cmp_gt_u32_e64 s[8:9], s33, v9
	v_mov_b32_e32 v9, s46
	s_and_saveexec_b64 s[12:13], s[8:9]
	s_cbranch_execz .LBB75_12
; %bb.11:
	v_add_co_u32_e32 v10, vcc, 0x1000, v4
	s_nop 1
	v_addc_co_u32_e32 v11, vcc, 0, v5, vcc
	global_load_dword v9, v[10:11], off offset:1024
.LBB75_12:
	s_or_b64 exec, exec, s[12:13]
	v_or_b32_e32 v10, 0x600, v0
	v_cmp_gt_u32_e64 s[12:13], s33, v10
	v_mov_b32_e32 v10, s46
	s_and_saveexec_b64 s[14:15], s[12:13]
	s_cbranch_execz .LBB75_14
; %bb.13:
	v_add_co_u32_e32 v10, vcc, 0x1000, v4
	s_nop 1
	v_addc_co_u32_e32 v11, vcc, 0, v5, vcc
	global_load_dword v10, v[10:11], off offset:2048
.LBB75_14:
	s_or_b64 exec, exec, s[14:15]
	v_or_b32_e32 v11, 0x700, v0
	v_cmp_gt_u32_e64 s[14:15], s33, v11
	v_mov_b32_e32 v11, s46
	s_and_saveexec_b64 s[16:17], s[14:15]
	s_cbranch_execz .LBB75_16
; %bb.15:
	v_add_co_u32_e32 v12, vcc, 0x1000, v4
	s_nop 1
	v_addc_co_u32_e32 v13, vcc, 0, v5, vcc
	global_load_dword v11, v[12:13], off offset:3072
.LBB75_16:
	s_or_b64 exec, exec, s[16:17]
	v_or_b32_e32 v12, 0x800, v0
	v_cmp_gt_u32_e64 s[16:17], s33, v12
	v_mov_b32_e32 v12, s46
	s_and_saveexec_b64 s[18:19], s[16:17]
	s_cbranch_execz .LBB75_18
; %bb.17:
	v_add_co_u32_e32 v12, vcc, 0x2000, v4
	s_nop 1
	v_addc_co_u32_e32 v13, vcc, 0, v5, vcc
	global_load_dword v12, v[12:13], off
.LBB75_18:
	s_or_b64 exec, exec, s[18:19]
	v_or_b32_e32 v13, 0x900, v0
	v_cmp_gt_u32_e64 s[18:19], s33, v13
	v_mov_b32_e32 v13, s46
	s_and_saveexec_b64 s[20:21], s[18:19]
	s_cbranch_execz .LBB75_20
; %bb.19:
	v_add_co_u32_e32 v14, vcc, 0x2000, v4
	s_nop 1
	v_addc_co_u32_e32 v15, vcc, 0, v5, vcc
	global_load_dword v13, v[14:15], off offset:1024
.LBB75_20:
	s_or_b64 exec, exec, s[20:21]
	v_or_b32_e32 v14, 0xa00, v0
	v_cmp_gt_u32_e64 s[20:21], s33, v14
	v_mov_b32_e32 v14, s46
	s_and_saveexec_b64 s[22:23], s[20:21]
	s_cbranch_execz .LBB75_22
; %bb.21:
	v_add_co_u32_e32 v14, vcc, 0x2000, v4
	s_nop 1
	v_addc_co_u32_e32 v15, vcc, 0, v5, vcc
	global_load_dword v14, v[14:15], off offset:2048
.LBB75_22:
	s_or_b64 exec, exec, s[22:23]
	v_or_b32_e32 v15, 0xb00, v0
	v_cmp_gt_u32_e64 s[22:23], s33, v15
	v_mov_b32_e32 v15, s46
	s_and_saveexec_b64 s[24:25], s[22:23]
	s_cbranch_execz .LBB75_24
; %bb.23:
	v_add_co_u32_e32 v16, vcc, 0x2000, v4
	s_nop 1
	v_addc_co_u32_e32 v17, vcc, 0, v5, vcc
	global_load_dword v15, v[16:17], off offset:3072
.LBB75_24:
	;; [unrolled: 48-line block ×4, first 2 shown]
	s_or_b64 exec, exec, s[42:43]
	v_or_b32_e32 v24, 0x1400, v0
	v_cmp_gt_u32_e64 s[42:43], s33, v24
	v_mov_b32_e32 v24, s46
	s_and_saveexec_b64 s[46:47], s[42:43]
	s_cbranch_execz .LBB75_42
; %bb.41:
	v_add_co_u32_e32 v4, vcc, 0x5000, v4
	s_nop 1
	v_addc_co_u32_e32 v5, vcc, 0, v5, vcc
	global_load_dword v24, v[4:5], off
.LBB75_42:
	s_or_b64 exec, exec, s[46:47]
	s_movk_i32 s33, 0x50
	s_waitcnt vmcnt(0)
	ds_write2st64_b32 v2, v1, v3 offset1:4
	ds_write2st64_b32 v2, v6, v7 offset0:8 offset1:12
	ds_write2st64_b32 v2, v8, v9 offset0:16 offset1:20
	;; [unrolled: 1-line block ×9, first 2 shown]
	ds_write_b32 v2, v24 offset:20480
	v_mad_u32_u24 v1, v0, s33, v2
	s_waitcnt lgkmcnt(0)
	s_barrier
	ds_read2_b32 v[22:23], v1 offset1:1
	ds_read2_b32 v[20:21], v1 offset0:2 offset1:3
	ds_read2_b32 v[18:19], v1 offset0:4 offset1:5
	;; [unrolled: 1-line block ×9, first 2 shown]
	ds_read_b32 v1, v1 offset:80
	s_waitcnt lgkmcnt(9)
	v_add3_u32 v3, v23, v22, v20
	s_waitcnt lgkmcnt(8)
	v_add3_u32 v3, v3, v21, v18
	;; [unrolled: 2-line block ×10, first 2 shown]
	v_mbcnt_lo_u32_b32 v1, -1, 0
	v_mbcnt_hi_u32_b32 v1, -1, v1
	v_and_b32_e32 v24, 15, v1
	v_mov_b32_dpp v25, v3 row_shr:1 row_mask:0xf bank_mask:0xf
	v_cmp_ne_u32_e32 vcc, 0, v24
	s_barrier
	s_nop 0
	v_cndmask_b32_e32 v25, 0, v25, vcc
	v_add_u32_e32 v3, v25, v3
	v_cmp_lt_u32_e32 vcc, 1, v24
	s_nop 0
	v_mov_b32_dpp v25, v3 row_shr:2 row_mask:0xf bank_mask:0xf
	v_cndmask_b32_e32 v25, 0, v25, vcc
	v_add_u32_e32 v3, v3, v25
	v_cmp_lt_u32_e32 vcc, 3, v24
	s_nop 0
	v_mov_b32_dpp v25, v3 row_shr:4 row_mask:0xf bank_mask:0xf
	;; [unrolled: 5-line block ×3, first 2 shown]
	v_cndmask_b32_e32 v24, 0, v25, vcc
	v_add_u32_e32 v3, v3, v24
	v_bfe_i32 v25, v1, 4, 1
	v_cmp_lt_u32_e32 vcc, 31, v1
	v_mov_b32_dpp v24, v3 row_bcast:15 row_mask:0xf bank_mask:0xf
	v_and_b32_e32 v24, v25, v24
	v_add_u32_e32 v3, v3, v24
	v_lshrrev_b32_e32 v25, 6, v0
	s_nop 0
	v_mov_b32_dpp v24, v3 row_bcast:31 row_mask:0xf bank_mask:0xf
	v_cndmask_b32_e32 v24, 0, v24, vcc
	v_add_u32_e32 v24, v3, v24
	v_or_b32_e32 v3, 63, v0
	v_cmp_eq_u32_e32 vcc, v3, v0
	s_and_saveexec_b64 s[46:47], vcc
	s_cbranch_execz .LBB75_44
; %bb.43:
	v_lshlrev_b32_e32 v3, 2, v25
	ds_write_b32 v3, v24
.LBB75_44:
	s_or_b64 exec, exec, s[46:47]
	v_cmp_gt_u32_e32 vcc, 4, v0
	s_waitcnt lgkmcnt(0)
	s_barrier
	s_and_saveexec_b64 s[46:47], vcc
	s_cbranch_execz .LBB75_46
; %bb.45:
	ds_read_b32 v3, v2
	v_and_b32_e32 v26, 3, v1
	v_cmp_ne_u32_e32 vcc, 0, v26
	s_waitcnt lgkmcnt(0)
	v_mov_b32_dpp v27, v3 row_shr:1 row_mask:0xf bank_mask:0xf
	v_cndmask_b32_e32 v27, 0, v27, vcc
	v_add_u32_e32 v3, v27, v3
	v_cmp_lt_u32_e32 vcc, 1, v26
	s_nop 0
	v_mov_b32_dpp v27, v3 row_shr:2 row_mask:0xf bank_mask:0xf
	v_cndmask_b32_e32 v26, 0, v27, vcc
	v_add_u32_e32 v3, v3, v26
	ds_write_b32 v2, v3
.LBB75_46:
	s_or_b64 exec, exec, s[46:47]
	s_load_dword s33, s[0:1], 0x18
	v_mul_u32_u24_e32 v3, 0x50, v0
	v_cmp_lt_u32_e32 vcc, 63, v0
	s_waitcnt lgkmcnt(0)
	s_barrier
	v_mov_b32_e32 v26, s33
	s_and_saveexec_b64 s[46:47], vcc
	s_cbranch_execz .LBB75_48
; %bb.47:
	v_lshl_add_u32 v25, v25, 2, -4
	ds_read_b32 v25, v25
	s_waitcnt lgkmcnt(0)
	v_add_u32_e32 v26, s33, v25
.LBB75_48:
	s_or_b64 exec, exec, s[46:47]
	v_add_u32_e32 v25, -1, v1
	v_and_b32_e32 v27, 64, v1
	v_cmp_lt_i32_e32 vcc, v25, v27
	v_add_u32_e32 v24, v26, v24
	v_add_u32_e32 v3, v2, v3
	v_cndmask_b32_e32 v25, v25, v1, vcc
	v_lshlrev_b32_e32 v25, 2, v25
	ds_bpermute_b32 v24, v25, v24
	v_cmp_eq_u32_e32 vcc, 0, v1
	s_waitcnt lgkmcnt(0)
	s_barrier
	v_cndmask_b32_e32 v1, v24, v26, vcc
	v_mov_b32_e32 v24, s33
	v_cmp_eq_u32_e32 vcc, 0, v0
	s_load_dwordx2 s[0:1], s[0:1], 0x20
	v_lshlrev_b32_e32 v0, 3, v0
	v_cndmask_b32_e32 v1, v1, v24, vcc
	v_add_u32_e32 v22, v1, v22
	v_add_u32_e32 v23, v22, v23
	;; [unrolled: 1-line block ×20, first 2 shown]
	ds_write2_b32 v3, v1, v22 offset1:1
	ds_write2_b32 v3, v23, v20 offset0:2 offset1:3
	ds_write2_b32 v3, v21, v18 offset0:4 offset1:5
	;; [unrolled: 1-line block ×9, first 2 shown]
	ds_write_b32 v3, v5 offset:80
	s_waitcnt lgkmcnt(0)
	s_barrier
	ds_read2st64_b32 v[22:23], v2 offset0:4 offset1:8
	ds_read2st64_b32 v[20:21], v2 offset0:12 offset1:16
	;; [unrolled: 1-line block ×10, first 2 shown]
	v_mov_b32_e32 v1, 0
	v_lshl_add_u64 v[0:1], s[0:1], 0, v[0:1]
	s_and_saveexec_b64 s[0:1], s[2:3]
	s_cbranch_execnz .LBB75_70
; %bb.49:
	s_or_b64 exec, exec, s[0:1]
	s_and_saveexec_b64 s[0:1], s[4:5]
	s_cbranch_execnz .LBB75_71
.LBB75_50:
	s_or_b64 exec, exec, s[0:1]
	s_and_saveexec_b64 s[0:1], s[10:11]
	s_cbranch_execnz .LBB75_72
.LBB75_51:
	s_or_b64 exec, exec, s[0:1]
	s_and_saveexec_b64 s[0:1], s[6:7]
	s_cbranch_execnz .LBB75_73
.LBB75_52:
	s_or_b64 exec, exec, s[0:1]
	s_and_saveexec_b64 s[0:1], s[44:45]
	s_cbranch_execnz .LBB75_74
.LBB75_53:
	s_or_b64 exec, exec, s[0:1]
	s_and_saveexec_b64 s[0:1], s[8:9]
	s_cbranch_execnz .LBB75_75
.LBB75_54:
	s_or_b64 exec, exec, s[0:1]
	s_and_saveexec_b64 s[0:1], s[12:13]
	s_cbranch_execnz .LBB75_76
.LBB75_55:
	s_or_b64 exec, exec, s[0:1]
	s_and_saveexec_b64 s[0:1], s[14:15]
	s_cbranch_execnz .LBB75_77
.LBB75_56:
	s_or_b64 exec, exec, s[0:1]
	s_and_saveexec_b64 s[0:1], s[16:17]
	s_cbranch_execnz .LBB75_78
.LBB75_57:
	s_or_b64 exec, exec, s[0:1]
	s_and_saveexec_b64 s[0:1], s[18:19]
	s_cbranch_execnz .LBB75_79
.LBB75_58:
	s_or_b64 exec, exec, s[0:1]
	s_and_saveexec_b64 s[0:1], s[20:21]
	s_cbranch_execnz .LBB75_80
.LBB75_59:
	s_or_b64 exec, exec, s[0:1]
	s_and_saveexec_b64 s[0:1], s[22:23]
	s_cbranch_execnz .LBB75_81
.LBB75_60:
	s_or_b64 exec, exec, s[0:1]
	s_and_saveexec_b64 s[0:1], s[24:25]
	s_cbranch_execnz .LBB75_82
.LBB75_61:
	s_or_b64 exec, exec, s[0:1]
	s_and_saveexec_b64 s[0:1], s[26:27]
	s_cbranch_execnz .LBB75_83
.LBB75_62:
	s_or_b64 exec, exec, s[0:1]
	s_and_saveexec_b64 s[0:1], s[28:29]
	s_cbranch_execnz .LBB75_84
.LBB75_63:
	s_or_b64 exec, exec, s[0:1]
	s_and_saveexec_b64 s[0:1], s[30:31]
	s_cbranch_execnz .LBB75_85
.LBB75_64:
	s_or_b64 exec, exec, s[0:1]
	s_and_saveexec_b64 s[0:1], s[34:35]
	s_cbranch_execnz .LBB75_86
.LBB75_65:
	s_or_b64 exec, exec, s[0:1]
	s_and_saveexec_b64 s[0:1], s[36:37]
	s_cbranch_execnz .LBB75_87
.LBB75_66:
	s_or_b64 exec, exec, s[0:1]
	s_and_saveexec_b64 s[0:1], s[38:39]
	s_cbranch_execnz .LBB75_88
.LBB75_67:
	s_or_b64 exec, exec, s[0:1]
	s_and_saveexec_b64 s[0:1], s[40:41]
	s_cbranch_execnz .LBB75_89
.LBB75_68:
	s_or_b64 exec, exec, s[0:1]
	s_and_saveexec_b64 s[0:1], s[42:43]
	s_cbranch_execnz .LBB75_90
.LBB75_69:
	s_endpgm
.LBB75_70:
	ds_read_b32 v2, v2
	s_waitcnt lgkmcnt(0)
	v_ashrrev_i32_e32 v3, 31, v2
	global_store_dwordx2 v[0:1], v[2:3], off
	s_or_b64 exec, exec, s[0:1]
	s_and_saveexec_b64 s[0:1], s[4:5]
	s_cbranch_execz .LBB75_50
.LBB75_71:
	s_waitcnt lgkmcnt(9)
	v_ashrrev_i32_e32 v3, 31, v22
	v_mov_b32_e32 v2, v22
	global_store_dwordx2 v[0:1], v[2:3], off offset:2048
	s_or_b64 exec, exec, s[0:1]
	s_and_saveexec_b64 s[0:1], s[10:11]
	s_cbranch_execz .LBB75_51
.LBB75_72:
	s_waitcnt lgkmcnt(9)
	v_add_co_u32_e32 v22, vcc, 0x1000, v0
	v_ashrrev_i32_e32 v3, 31, v23
	v_mov_b32_e32 v2, v23
	v_addc_co_u32_e32 v23, vcc, 0, v1, vcc
	global_store_dwordx2 v[22:23], v[2:3], off
	s_or_b64 exec, exec, s[0:1]
	s_and_saveexec_b64 s[0:1], s[6:7]
	s_cbranch_execz .LBB75_52
.LBB75_73:
	s_waitcnt lgkmcnt(9)
	v_add_co_u32_e32 v22, vcc, 0x1000, v0
	s_waitcnt lgkmcnt(8)
	v_ashrrev_i32_e32 v3, 31, v20
	v_mov_b32_e32 v2, v20
	v_addc_co_u32_e32 v23, vcc, 0, v1, vcc
	global_store_dwordx2 v[22:23], v[2:3], off offset:2048
	s_or_b64 exec, exec, s[0:1]
	s_and_saveexec_b64 s[0:1], s[44:45]
	s_cbranch_execz .LBB75_53
.LBB75_74:
	s_waitcnt lgkmcnt(8)
	v_add_co_u32_e32 v20, vcc, 0x2000, v0
	v_ashrrev_i32_e32 v3, 31, v21
	v_mov_b32_e32 v2, v21
	v_addc_co_u32_e32 v21, vcc, 0, v1, vcc
	global_store_dwordx2 v[20:21], v[2:3], off
	s_or_b64 exec, exec, s[0:1]
	s_and_saveexec_b64 s[0:1], s[8:9]
	s_cbranch_execz .LBB75_54
.LBB75_75:
	s_waitcnt lgkmcnt(8)
	v_add_co_u32_e32 v20, vcc, 0x2000, v0
	s_waitcnt lgkmcnt(7)
	v_ashrrev_i32_e32 v3, 31, v18
	v_mov_b32_e32 v2, v18
	v_addc_co_u32_e32 v21, vcc, 0, v1, vcc
	global_store_dwordx2 v[20:21], v[2:3], off offset:2048
	s_or_b64 exec, exec, s[0:1]
	s_and_saveexec_b64 s[0:1], s[12:13]
	s_cbranch_execz .LBB75_55
.LBB75_76:
	s_waitcnt lgkmcnt(7)
	v_add_co_u32_e32 v18, vcc, 0x3000, v0
	v_ashrrev_i32_e32 v3, 31, v19
	v_mov_b32_e32 v2, v19
	v_addc_co_u32_e32 v19, vcc, 0, v1, vcc
	global_store_dwordx2 v[18:19], v[2:3], off
	s_or_b64 exec, exec, s[0:1]
	s_and_saveexec_b64 s[0:1], s[14:15]
	s_cbranch_execz .LBB75_56
.LBB75_77:
	s_waitcnt lgkmcnt(7)
	v_add_co_u32_e32 v18, vcc, 0x3000, v0
	s_waitcnt lgkmcnt(6)
	v_ashrrev_i32_e32 v3, 31, v16
	v_mov_b32_e32 v2, v16
	v_addc_co_u32_e32 v19, vcc, 0, v1, vcc
	global_store_dwordx2 v[18:19], v[2:3], off offset:2048
	s_or_b64 exec, exec, s[0:1]
	s_and_saveexec_b64 s[0:1], s[16:17]
	s_cbranch_execz .LBB75_57
.LBB75_78:
	s_waitcnt lgkmcnt(6)
	v_add_co_u32_e32 v16, vcc, 0x4000, v0
	v_ashrrev_i32_e32 v3, 31, v17
	v_mov_b32_e32 v2, v17
	v_addc_co_u32_e32 v17, vcc, 0, v1, vcc
	global_store_dwordx2 v[16:17], v[2:3], off
	s_or_b64 exec, exec, s[0:1]
	s_and_saveexec_b64 s[0:1], s[18:19]
	s_cbranch_execz .LBB75_58
.LBB75_79:
	s_waitcnt lgkmcnt(6)
	v_add_co_u32_e32 v16, vcc, 0x4000, v0
	s_waitcnt lgkmcnt(5)
	v_ashrrev_i32_e32 v3, 31, v14
	v_mov_b32_e32 v2, v14
	v_addc_co_u32_e32 v17, vcc, 0, v1, vcc
	global_store_dwordx2 v[16:17], v[2:3], off offset:2048
	s_or_b64 exec, exec, s[0:1]
	s_and_saveexec_b64 s[0:1], s[20:21]
	s_cbranch_execz .LBB75_59
.LBB75_80:
	s_waitcnt lgkmcnt(5)
	v_add_co_u32_e32 v14, vcc, 0x5000, v0
	v_ashrrev_i32_e32 v3, 31, v15
	v_mov_b32_e32 v2, v15
	v_addc_co_u32_e32 v15, vcc, 0, v1, vcc
	global_store_dwordx2 v[14:15], v[2:3], off
	s_or_b64 exec, exec, s[0:1]
	s_and_saveexec_b64 s[0:1], s[22:23]
	s_cbranch_execz .LBB75_60
.LBB75_81:
	s_waitcnt lgkmcnt(5)
	v_add_co_u32_e32 v14, vcc, 0x5000, v0
	s_waitcnt lgkmcnt(4)
	v_ashrrev_i32_e32 v3, 31, v12
	v_mov_b32_e32 v2, v12
	v_addc_co_u32_e32 v15, vcc, 0, v1, vcc
	global_store_dwordx2 v[14:15], v[2:3], off offset:2048
	s_or_b64 exec, exec, s[0:1]
	s_and_saveexec_b64 s[0:1], s[24:25]
	s_cbranch_execz .LBB75_61
.LBB75_82:
	s_waitcnt lgkmcnt(4)
	v_add_co_u32_e32 v12, vcc, 0x6000, v0
	v_ashrrev_i32_e32 v3, 31, v13
	v_mov_b32_e32 v2, v13
	v_addc_co_u32_e32 v13, vcc, 0, v1, vcc
	global_store_dwordx2 v[12:13], v[2:3], off
	s_or_b64 exec, exec, s[0:1]
	s_and_saveexec_b64 s[0:1], s[26:27]
	s_cbranch_execz .LBB75_62
.LBB75_83:
	s_waitcnt lgkmcnt(4)
	v_add_co_u32_e32 v12, vcc, 0x6000, v0
	s_waitcnt lgkmcnt(3)
	v_ashrrev_i32_e32 v3, 31, v10
	v_mov_b32_e32 v2, v10
	v_addc_co_u32_e32 v13, vcc, 0, v1, vcc
	global_store_dwordx2 v[12:13], v[2:3], off offset:2048
	s_or_b64 exec, exec, s[0:1]
	s_and_saveexec_b64 s[0:1], s[28:29]
	s_cbranch_execz .LBB75_63
.LBB75_84:
	s_waitcnt lgkmcnt(3)
	v_add_co_u32_e32 v10, vcc, 0x7000, v0
	v_ashrrev_i32_e32 v3, 31, v11
	v_mov_b32_e32 v2, v11
	v_addc_co_u32_e32 v11, vcc, 0, v1, vcc
	global_store_dwordx2 v[10:11], v[2:3], off
	s_or_b64 exec, exec, s[0:1]
	s_and_saveexec_b64 s[0:1], s[30:31]
	s_cbranch_execz .LBB75_64
.LBB75_85:
	s_waitcnt lgkmcnt(3)
	v_add_co_u32_e32 v10, vcc, 0x7000, v0
	s_waitcnt lgkmcnt(2)
	v_ashrrev_i32_e32 v3, 31, v8
	v_mov_b32_e32 v2, v8
	v_addc_co_u32_e32 v11, vcc, 0, v1, vcc
	global_store_dwordx2 v[10:11], v[2:3], off offset:2048
	s_or_b64 exec, exec, s[0:1]
	s_and_saveexec_b64 s[0:1], s[34:35]
	s_cbranch_execz .LBB75_65
.LBB75_86:
	s_waitcnt lgkmcnt(2)
	v_add_co_u32_e32 v8, vcc, 0x8000, v0
	v_ashrrev_i32_e32 v3, 31, v9
	v_mov_b32_e32 v2, v9
	v_addc_co_u32_e32 v9, vcc, 0, v1, vcc
	global_store_dwordx2 v[8:9], v[2:3], off
	s_or_b64 exec, exec, s[0:1]
	s_and_saveexec_b64 s[0:1], s[36:37]
	s_cbranch_execz .LBB75_66
.LBB75_87:
	s_waitcnt lgkmcnt(2)
	v_add_co_u32_e32 v8, vcc, 0x8000, v0
	s_waitcnt lgkmcnt(1)
	v_ashrrev_i32_e32 v3, 31, v6
	v_mov_b32_e32 v2, v6
	v_addc_co_u32_e32 v9, vcc, 0, v1, vcc
	global_store_dwordx2 v[8:9], v[2:3], off offset:2048
	s_or_b64 exec, exec, s[0:1]
	s_and_saveexec_b64 s[0:1], s[38:39]
	s_cbranch_execz .LBB75_67
.LBB75_88:
	s_waitcnt lgkmcnt(1)
	v_add_co_u32_e32 v6, vcc, 0x9000, v0
	v_ashrrev_i32_e32 v3, 31, v7
	v_mov_b32_e32 v2, v7
	v_addc_co_u32_e32 v7, vcc, 0, v1, vcc
	global_store_dwordx2 v[6:7], v[2:3], off
	s_or_b64 exec, exec, s[0:1]
	s_and_saveexec_b64 s[0:1], s[40:41]
	s_cbranch_execz .LBB75_68
.LBB75_89:
	s_waitcnt lgkmcnt(1)
	v_add_co_u32_e32 v6, vcc, 0x9000, v0
	s_waitcnt lgkmcnt(0)
	v_ashrrev_i32_e32 v3, 31, v4
	v_mov_b32_e32 v2, v4
	v_addc_co_u32_e32 v7, vcc, 0, v1, vcc
	global_store_dwordx2 v[6:7], v[2:3], off offset:2048
	s_or_b64 exec, exec, s[0:1]
	s_and_saveexec_b64 s[0:1], s[42:43]
	s_cbranch_execz .LBB75_69
.LBB75_90:
	v_add_co_u32_e32 v0, vcc, 0xa000, v0
	s_waitcnt lgkmcnt(0)
	v_ashrrev_i32_e32 v3, 31, v5
	v_mov_b32_e32 v2, v5
	v_addc_co_u32_e32 v1, vcc, 0, v1, vcc
	global_store_dwordx2 v[0:1], v[2:3], off
	s_endpgm
	.section	.rodata,"a",@progbits
	.p2align	6, 0x0
	.amdhsa_kernel _ZN7rocprim6detail18single_scan_kernelILb1ENS0_19wrapped_scan_configINS_14default_configEiEEN6hipcub22TransformInputIteratorIiNS5_6CastOpIiEEPilEEPlNS5_3SumEiiEEvT1_mT4_T2_T3_
		.amdhsa_group_segment_fixed_size 21504
		.amdhsa_private_segment_fixed_size 0
		.amdhsa_kernarg_size 44
		.amdhsa_user_sgpr_count 2
		.amdhsa_user_sgpr_dispatch_ptr 0
		.amdhsa_user_sgpr_queue_ptr 0
		.amdhsa_user_sgpr_kernarg_segment_ptr 1
		.amdhsa_user_sgpr_dispatch_id 0
		.amdhsa_user_sgpr_kernarg_preload_length 0
		.amdhsa_user_sgpr_kernarg_preload_offset 0
		.amdhsa_user_sgpr_private_segment_size 0
		.amdhsa_uses_dynamic_stack 0
		.amdhsa_enable_private_segment 0
		.amdhsa_system_sgpr_workgroup_id_x 1
		.amdhsa_system_sgpr_workgroup_id_y 0
		.amdhsa_system_sgpr_workgroup_id_z 0
		.amdhsa_system_sgpr_workgroup_info 0
		.amdhsa_system_vgpr_workitem_id 0
		.amdhsa_next_free_vgpr 28
		.amdhsa_next_free_sgpr 48
		.amdhsa_accum_offset 28
		.amdhsa_reserve_vcc 1
		.amdhsa_float_round_mode_32 0
		.amdhsa_float_round_mode_16_64 0
		.amdhsa_float_denorm_mode_32 3
		.amdhsa_float_denorm_mode_16_64 3
		.amdhsa_dx10_clamp 1
		.amdhsa_ieee_mode 1
		.amdhsa_fp16_overflow 0
		.amdhsa_tg_split 0
		.amdhsa_exception_fp_ieee_invalid_op 0
		.amdhsa_exception_fp_denorm_src 0
		.amdhsa_exception_fp_ieee_div_zero 0
		.amdhsa_exception_fp_ieee_overflow 0
		.amdhsa_exception_fp_ieee_underflow 0
		.amdhsa_exception_fp_ieee_inexact 0
		.amdhsa_exception_int_div_zero 0
	.end_amdhsa_kernel
	.section	.text._ZN7rocprim6detail18single_scan_kernelILb1ENS0_19wrapped_scan_configINS_14default_configEiEEN6hipcub22TransformInputIteratorIiNS5_6CastOpIiEEPilEEPlNS5_3SumEiiEEvT1_mT4_T2_T3_,"axG",@progbits,_ZN7rocprim6detail18single_scan_kernelILb1ENS0_19wrapped_scan_configINS_14default_configEiEEN6hipcub22TransformInputIteratorIiNS5_6CastOpIiEEPilEEPlNS5_3SumEiiEEvT1_mT4_T2_T3_,comdat
.Lfunc_end75:
	.size	_ZN7rocprim6detail18single_scan_kernelILb1ENS0_19wrapped_scan_configINS_14default_configEiEEN6hipcub22TransformInputIteratorIiNS5_6CastOpIiEEPilEEPlNS5_3SumEiiEEvT1_mT4_T2_T3_, .Lfunc_end75-_ZN7rocprim6detail18single_scan_kernelILb1ENS0_19wrapped_scan_configINS_14default_configEiEEN6hipcub22TransformInputIteratorIiNS5_6CastOpIiEEPilEEPlNS5_3SumEiiEEvT1_mT4_T2_T3_
                                        ; -- End function
	.section	.AMDGPU.csdata,"",@progbits
; Kernel info:
; codeLenInByte = 3364
; NumSgprs: 54
; NumVgprs: 28
; NumAgprs: 0
; TotalNumVgprs: 28
; ScratchSize: 0
; MemoryBound: 0
; FloatMode: 240
; IeeeMode: 1
; LDSByteSize: 21504 bytes/workgroup (compile time only)
; SGPRBlocks: 6
; VGPRBlocks: 3
; NumSGPRsForWavesPerEU: 54
; NumVGPRsForWavesPerEU: 28
; AccumOffset: 28
; Occupancy: 3
; WaveLimiterHint : 0
; COMPUTE_PGM_RSRC2:SCRATCH_EN: 0
; COMPUTE_PGM_RSRC2:USER_SGPR: 2
; COMPUTE_PGM_RSRC2:TRAP_HANDLER: 0
; COMPUTE_PGM_RSRC2:TGID_X_EN: 1
; COMPUTE_PGM_RSRC2:TGID_Y_EN: 0
; COMPUTE_PGM_RSRC2:TGID_Z_EN: 0
; COMPUTE_PGM_RSRC2:TIDIG_COMP_CNT: 0
; COMPUTE_PGM_RSRC3_GFX90A:ACCUM_OFFSET: 6
; COMPUTE_PGM_RSRC3_GFX90A:TG_SPLIT: 0
	.section	.text._ZN7rocprim6detail20lookback_scan_kernelILNS0_25lookback_scan_determinismE0ELb1ENS0_19wrapped_scan_configINS_14default_configE6__halfEEPS5_S7_N6hipcub3MaxES5_S5_NS0_19lookback_scan_stateIS5_Lb1ELb1EEEEEvT2_T3_mT5_T4_T7_jPT6_SI_bb,"axG",@progbits,_ZN7rocprim6detail20lookback_scan_kernelILNS0_25lookback_scan_determinismE0ELb1ENS0_19wrapped_scan_configINS_14default_configE6__halfEEPS5_S7_N6hipcub3MaxES5_S5_NS0_19lookback_scan_stateIS5_Lb1ELb1EEEEEvT2_T3_mT5_T4_T7_jPT6_SI_bb,comdat
	.protected	_ZN7rocprim6detail20lookback_scan_kernelILNS0_25lookback_scan_determinismE0ELb1ENS0_19wrapped_scan_configINS_14default_configE6__halfEEPS5_S7_N6hipcub3MaxES5_S5_NS0_19lookback_scan_stateIS5_Lb1ELb1EEEEEvT2_T3_mT5_T4_T7_jPT6_SI_bb ; -- Begin function _ZN7rocprim6detail20lookback_scan_kernelILNS0_25lookback_scan_determinismE0ELb1ENS0_19wrapped_scan_configINS_14default_configE6__halfEEPS5_S7_N6hipcub3MaxES5_S5_NS0_19lookback_scan_stateIS5_Lb1ELb1EEEEEvT2_T3_mT5_T4_T7_jPT6_SI_bb
	.globl	_ZN7rocprim6detail20lookback_scan_kernelILNS0_25lookback_scan_determinismE0ELb1ENS0_19wrapped_scan_configINS_14default_configE6__halfEEPS5_S7_N6hipcub3MaxES5_S5_NS0_19lookback_scan_stateIS5_Lb1ELb1EEEEEvT2_T3_mT5_T4_T7_jPT6_SI_bb
	.p2align	8
	.type	_ZN7rocprim6detail20lookback_scan_kernelILNS0_25lookback_scan_determinismE0ELb1ENS0_19wrapped_scan_configINS_14default_configE6__halfEEPS5_S7_N6hipcub3MaxES5_S5_NS0_19lookback_scan_stateIS5_Lb1ELb1EEEEEvT2_T3_mT5_T4_T7_jPT6_SI_bb,@function
_ZN7rocprim6detail20lookback_scan_kernelILNS0_25lookback_scan_determinismE0ELb1ENS0_19wrapped_scan_configINS_14default_configE6__halfEEPS5_S7_N6hipcub3MaxES5_S5_NS0_19lookback_scan_stateIS5_Lb1ELb1EEEEEvT2_T3_mT5_T4_T7_jPT6_SI_bb: ; @_ZN7rocprim6detail20lookback_scan_kernelILNS0_25lookback_scan_determinismE0ELb1ENS0_19wrapped_scan_configINS_14default_configE6__halfEEPS5_S7_N6hipcub3MaxES5_S5_NS0_19lookback_scan_stateIS5_Lb1ELb1EEEEEvT2_T3_mT5_T4_T7_jPT6_SI_bb
; %bb.0:
	s_endpgm
	.section	.rodata,"a",@progbits
	.p2align	6, 0x0
	.amdhsa_kernel _ZN7rocprim6detail20lookback_scan_kernelILNS0_25lookback_scan_determinismE0ELb1ENS0_19wrapped_scan_configINS_14default_configE6__halfEEPS5_S7_N6hipcub3MaxES5_S5_NS0_19lookback_scan_stateIS5_Lb1ELb1EEEEEvT2_T3_mT5_T4_T7_jPT6_SI_bb
		.amdhsa_group_segment_fixed_size 0
		.amdhsa_private_segment_fixed_size 0
		.amdhsa_kernarg_size 68
		.amdhsa_user_sgpr_count 2
		.amdhsa_user_sgpr_dispatch_ptr 0
		.amdhsa_user_sgpr_queue_ptr 0
		.amdhsa_user_sgpr_kernarg_segment_ptr 1
		.amdhsa_user_sgpr_dispatch_id 0
		.amdhsa_user_sgpr_kernarg_preload_length 0
		.amdhsa_user_sgpr_kernarg_preload_offset 0
		.amdhsa_user_sgpr_private_segment_size 0
		.amdhsa_uses_dynamic_stack 0
		.amdhsa_enable_private_segment 0
		.amdhsa_system_sgpr_workgroup_id_x 1
		.amdhsa_system_sgpr_workgroup_id_y 0
		.amdhsa_system_sgpr_workgroup_id_z 0
		.amdhsa_system_sgpr_workgroup_info 0
		.amdhsa_system_vgpr_workitem_id 0
		.amdhsa_next_free_vgpr 1
		.amdhsa_next_free_sgpr 0
		.amdhsa_accum_offset 4
		.amdhsa_reserve_vcc 0
		.amdhsa_float_round_mode_32 0
		.amdhsa_float_round_mode_16_64 0
		.amdhsa_float_denorm_mode_32 3
		.amdhsa_float_denorm_mode_16_64 3
		.amdhsa_dx10_clamp 1
		.amdhsa_ieee_mode 1
		.amdhsa_fp16_overflow 0
		.amdhsa_tg_split 0
		.amdhsa_exception_fp_ieee_invalid_op 0
		.amdhsa_exception_fp_denorm_src 0
		.amdhsa_exception_fp_ieee_div_zero 0
		.amdhsa_exception_fp_ieee_overflow 0
		.amdhsa_exception_fp_ieee_underflow 0
		.amdhsa_exception_fp_ieee_inexact 0
		.amdhsa_exception_int_div_zero 0
	.end_amdhsa_kernel
	.section	.text._ZN7rocprim6detail20lookback_scan_kernelILNS0_25lookback_scan_determinismE0ELb1ENS0_19wrapped_scan_configINS_14default_configE6__halfEEPS5_S7_N6hipcub3MaxES5_S5_NS0_19lookback_scan_stateIS5_Lb1ELb1EEEEEvT2_T3_mT5_T4_T7_jPT6_SI_bb,"axG",@progbits,_ZN7rocprim6detail20lookback_scan_kernelILNS0_25lookback_scan_determinismE0ELb1ENS0_19wrapped_scan_configINS_14default_configE6__halfEEPS5_S7_N6hipcub3MaxES5_S5_NS0_19lookback_scan_stateIS5_Lb1ELb1EEEEEvT2_T3_mT5_T4_T7_jPT6_SI_bb,comdat
.Lfunc_end76:
	.size	_ZN7rocprim6detail20lookback_scan_kernelILNS0_25lookback_scan_determinismE0ELb1ENS0_19wrapped_scan_configINS_14default_configE6__halfEEPS5_S7_N6hipcub3MaxES5_S5_NS0_19lookback_scan_stateIS5_Lb1ELb1EEEEEvT2_T3_mT5_T4_T7_jPT6_SI_bb, .Lfunc_end76-_ZN7rocprim6detail20lookback_scan_kernelILNS0_25lookback_scan_determinismE0ELb1ENS0_19wrapped_scan_configINS_14default_configE6__halfEEPS5_S7_N6hipcub3MaxES5_S5_NS0_19lookback_scan_stateIS5_Lb1ELb1EEEEEvT2_T3_mT5_T4_T7_jPT6_SI_bb
                                        ; -- End function
	.section	.AMDGPU.csdata,"",@progbits
; Kernel info:
; codeLenInByte = 4
; NumSgprs: 6
; NumVgprs: 0
; NumAgprs: 0
; TotalNumVgprs: 0
; ScratchSize: 0
; MemoryBound: 0
; FloatMode: 240
; IeeeMode: 1
; LDSByteSize: 0 bytes/workgroup (compile time only)
; SGPRBlocks: 0
; VGPRBlocks: 0
; NumSGPRsForWavesPerEU: 6
; NumVGPRsForWavesPerEU: 1
; AccumOffset: 4
; Occupancy: 8
; WaveLimiterHint : 0
; COMPUTE_PGM_RSRC2:SCRATCH_EN: 0
; COMPUTE_PGM_RSRC2:USER_SGPR: 2
; COMPUTE_PGM_RSRC2:TRAP_HANDLER: 0
; COMPUTE_PGM_RSRC2:TGID_X_EN: 1
; COMPUTE_PGM_RSRC2:TGID_Y_EN: 0
; COMPUTE_PGM_RSRC2:TGID_Z_EN: 0
; COMPUTE_PGM_RSRC2:TIDIG_COMP_CNT: 0
; COMPUTE_PGM_RSRC3_GFX90A:ACCUM_OFFSET: 0
; COMPUTE_PGM_RSRC3_GFX90A:TG_SPLIT: 0
	.section	.text._ZN7rocprim6detail20lookback_scan_kernelILNS0_25lookback_scan_determinismE0ELb1ENS0_19wrapped_scan_configINS_14default_configE6__halfEEPS5_S7_N6hipcub3MaxES5_S5_NS0_19lookback_scan_stateIS5_Lb0ELb1EEEEEvT2_T3_mT5_T4_T7_jPT6_SI_bb,"axG",@progbits,_ZN7rocprim6detail20lookback_scan_kernelILNS0_25lookback_scan_determinismE0ELb1ENS0_19wrapped_scan_configINS_14default_configE6__halfEEPS5_S7_N6hipcub3MaxES5_S5_NS0_19lookback_scan_stateIS5_Lb0ELb1EEEEEvT2_T3_mT5_T4_T7_jPT6_SI_bb,comdat
	.protected	_ZN7rocprim6detail20lookback_scan_kernelILNS0_25lookback_scan_determinismE0ELb1ENS0_19wrapped_scan_configINS_14default_configE6__halfEEPS5_S7_N6hipcub3MaxES5_S5_NS0_19lookback_scan_stateIS5_Lb0ELb1EEEEEvT2_T3_mT5_T4_T7_jPT6_SI_bb ; -- Begin function _ZN7rocprim6detail20lookback_scan_kernelILNS0_25lookback_scan_determinismE0ELb1ENS0_19wrapped_scan_configINS_14default_configE6__halfEEPS5_S7_N6hipcub3MaxES5_S5_NS0_19lookback_scan_stateIS5_Lb0ELb1EEEEEvT2_T3_mT5_T4_T7_jPT6_SI_bb
	.globl	_ZN7rocprim6detail20lookback_scan_kernelILNS0_25lookback_scan_determinismE0ELb1ENS0_19wrapped_scan_configINS_14default_configE6__halfEEPS5_S7_N6hipcub3MaxES5_S5_NS0_19lookback_scan_stateIS5_Lb0ELb1EEEEEvT2_T3_mT5_T4_T7_jPT6_SI_bb
	.p2align	8
	.type	_ZN7rocprim6detail20lookback_scan_kernelILNS0_25lookback_scan_determinismE0ELb1ENS0_19wrapped_scan_configINS_14default_configE6__halfEEPS5_S7_N6hipcub3MaxES5_S5_NS0_19lookback_scan_stateIS5_Lb0ELb1EEEEEvT2_T3_mT5_T4_T7_jPT6_SI_bb,@function
_ZN7rocprim6detail20lookback_scan_kernelILNS0_25lookback_scan_determinismE0ELb1ENS0_19wrapped_scan_configINS_14default_configE6__halfEEPS5_S7_N6hipcub3MaxES5_S5_NS0_19lookback_scan_stateIS5_Lb0ELb1EEEEEvT2_T3_mT5_T4_T7_jPT6_SI_bb: ; @_ZN7rocprim6detail20lookback_scan_kernelILNS0_25lookback_scan_determinismE0ELb1ENS0_19wrapped_scan_configINS_14default_configE6__halfEEPS5_S7_N6hipcub3MaxES5_S5_NS0_19lookback_scan_stateIS5_Lb0ELb1EEEEEvT2_T3_mT5_T4_T7_jPT6_SI_bb
; %bb.0:
	s_load_dword s3, s[0:1], 0x28
	s_load_dwordx4 s[20:23], s[0:1], 0x0
	s_load_dwordx2 s[4:5], s[0:1], 0x10
	s_mul_i32 s6, s2, 0x1800
	s_mov_b32 s7, 0
	s_waitcnt lgkmcnt(0)
	s_add_i32 s3, s3, -1
	s_mul_i32 s8, s3, 0x1800
	s_sub_u32 s30, s4, s8
	s_subb_u32 s31, s5, 0
	s_cmp_lg_u32 s2, s3
	s_cselect_b64 s[18:19], -1, 0
	s_lshl_b64 s[24:25], s[6:7], 1
	s_add_u32 s6, s20, s24
	s_addc_u32 s7, s21, s25
	s_mov_b64 s[4:5], -1
	s_and_b64 vcc, exec, s[18:19]
	v_lshlrev_b32_e32 v14, 1, v0
	s_cbranch_vccz .LBB77_2
; %bb.1:
	v_mov_b32_e32 v15, 0
	v_lshl_add_u64 v[2:3], s[6:7], 0, v[14:15]
	v_add_co_u32_e32 v4, vcc, 0x1000, v2
	global_load_ushort v1, v14, s[6:7]
	global_load_ushort v6, v14, s[6:7] offset:512
	global_load_ushort v7, v14, s[6:7] offset:1024
	global_load_ushort v8, v14, s[6:7] offset:1536
	global_load_ushort v9, v14, s[6:7] offset:2048
	global_load_ushort v10, v14, s[6:7] offset:2560
	global_load_ushort v11, v14, s[6:7] offset:3072
	global_load_ushort v12, v14, s[6:7] offset:3584
	v_addc_co_u32_e32 v5, vcc, 0, v3, vcc
	v_add_co_u32_e32 v2, vcc, 0x2000, v2
	global_load_ushort v13, v[4:5], off
	global_load_ushort v15, v[4:5], off offset:512
	global_load_ushort v16, v[4:5], off offset:1024
	;; [unrolled: 1-line block ×7, first 2 shown]
	v_addc_co_u32_e32 v3, vcc, 0, v3, vcc
	global_load_ushort v4, v[2:3], off
	global_load_ushort v5, v[2:3], off offset:512
	global_load_ushort v22, v[2:3], off offset:1024
	;; [unrolled: 1-line block ×7, first 2 shown]
	s_mov_b64 s[4:5], 0
	s_waitcnt vmcnt(23)
	ds_write_b16 v14, v1
	s_waitcnt vmcnt(22)
	ds_write_b16 v14, v6 offset:512
	s_waitcnt vmcnt(21)
	ds_write_b16 v14, v7 offset:1024
	;; [unrolled: 2-line block ×23, first 2 shown]
	s_waitcnt lgkmcnt(0)
	s_barrier
.LBB77_2:
	s_andn2_b64 vcc, exec, s[4:5]
	v_cmp_gt_u32_e64 s[4:5], s30, v0
	s_cbranch_vccnz .LBB77_52
; %bb.3:
	v_mov_b32_e32 v15, 0
	global_load_ushort v1, v15, s[6:7]
	v_lshl_add_u64 v[2:3], s[6:7], 0, v[14:15]
	s_waitcnt vmcnt(0)
	v_mov_b32_e32 v4, v1
	s_and_saveexec_b64 s[6:7], s[4:5]
	s_cbranch_execz .LBB77_5
; %bb.4:
	global_load_ushort v4, v[2:3], off
.LBB77_5:
	s_or_b64 exec, exec, s[6:7]
	v_or_b32_e32 v5, 0x100, v0
	v_cmp_gt_u32_e32 vcc, s30, v5
	v_mov_b32_e32 v5, v1
	s_and_saveexec_b64 s[4:5], vcc
	s_cbranch_execz .LBB77_7
; %bb.6:
	global_load_ushort v5, v[2:3], off offset:512
.LBB77_7:
	s_or_b64 exec, exec, s[4:5]
	v_or_b32_e32 v6, 0x200, v0
	v_cmp_gt_u32_e32 vcc, s30, v6
	v_mov_b32_e32 v6, v1
	s_and_saveexec_b64 s[4:5], vcc
	s_cbranch_execz .LBB77_9
; %bb.8:
	global_load_ushort v6, v[2:3], off offset:1024
.LBB77_9:
	;; [unrolled: 9-line block ×7, first 2 shown]
	s_or_b64 exec, exec, s[4:5]
	v_or_b32_e32 v12, 0x800, v0
	v_cmp_gt_u32_e32 vcc, s30, v12
	v_mov_b32_e32 v12, v1
	s_and_saveexec_b64 s[4:5], vcc
	s_cbranch_execz .LBB77_21
; %bb.20:
	v_add_co_u32_e32 v12, vcc, 0x1000, v2
	s_nop 1
	v_addc_co_u32_e32 v13, vcc, 0, v3, vcc
	global_load_ushort v12, v[12:13], off
.LBB77_21:
	s_or_b64 exec, exec, s[4:5]
	v_or_b32_e32 v13, 0x900, v0
	v_cmp_gt_u32_e32 vcc, s30, v13
	v_mov_b32_e32 v13, v1
	s_and_saveexec_b64 s[4:5], vcc
	s_cbranch_execz .LBB77_23
; %bb.22:
	v_add_co_u32_e32 v16, vcc, 0x1000, v2
	s_nop 1
	v_addc_co_u32_e32 v17, vcc, 0, v3, vcc
	global_load_ushort v13, v[16:17], off offset:512
.LBB77_23:
	s_or_b64 exec, exec, s[4:5]
	v_or_b32_e32 v15, 0xa00, v0
	v_cmp_gt_u32_e32 vcc, s30, v15
	v_mov_b32_e32 v15, v1
	s_and_saveexec_b64 s[4:5], vcc
	s_cbranch_execz .LBB77_25
; %bb.24:
	v_add_co_u32_e32 v16, vcc, 0x1000, v2
	s_nop 1
	v_addc_co_u32_e32 v17, vcc, 0, v3, vcc
	global_load_ushort v15, v[16:17], off offset:1024
.LBB77_25:
	;; [unrolled: 12-line block ×7, first 2 shown]
	s_or_b64 exec, exec, s[4:5]
	v_or_b32_e32 v21, 0x1000, v0
	v_cmp_gt_u32_e32 vcc, s30, v21
	v_mov_b32_e32 v21, v1
	s_and_saveexec_b64 s[4:5], vcc
	s_cbranch_execz .LBB77_37
; %bb.36:
	v_add_co_u32_e32 v22, vcc, 0x2000, v2
	s_nop 1
	v_addc_co_u32_e32 v23, vcc, 0, v3, vcc
	global_load_ushort v21, v[22:23], off
.LBB77_37:
	s_or_b64 exec, exec, s[4:5]
	v_or_b32_e32 v22, 0x1100, v0
	v_cmp_gt_u32_e32 vcc, s30, v22
	v_mov_b32_e32 v22, v1
	s_and_saveexec_b64 s[4:5], vcc
	s_cbranch_execz .LBB77_39
; %bb.38:
	v_add_co_u32_e32 v22, vcc, 0x2000, v2
	s_nop 1
	v_addc_co_u32_e32 v23, vcc, 0, v3, vcc
	global_load_ushort v22, v[22:23], off offset:512
.LBB77_39:
	s_or_b64 exec, exec, s[4:5]
	v_or_b32_e32 v23, 0x1200, v0
	v_cmp_gt_u32_e32 vcc, s30, v23
	v_mov_b32_e32 v23, v1
	s_and_saveexec_b64 s[4:5], vcc
	s_cbranch_execz .LBB77_41
; %bb.40:
	v_add_co_u32_e32 v24, vcc, 0x2000, v2
	s_nop 1
	v_addc_co_u32_e32 v25, vcc, 0, v3, vcc
	global_load_ushort v23, v[24:25], off offset:1024
.LBB77_41:
	;; [unrolled: 12-line block ×6, first 2 shown]
	s_or_b64 exec, exec, s[4:5]
	v_or_b32_e32 v28, 0x1700, v0
	v_cmp_gt_u32_e32 vcc, s30, v28
	s_and_saveexec_b64 s[4:5], vcc
	s_cbranch_execz .LBB77_51
; %bb.50:
	v_add_co_u32_e32 v2, vcc, 0x2000, v2
	s_nop 1
	v_addc_co_u32_e32 v3, vcc, 0, v3, vcc
	global_load_ushort v1, v[2:3], off offset:3584
.LBB77_51:
	s_or_b64 exec, exec, s[4:5]
	s_waitcnt vmcnt(0)
	ds_write_b16 v14, v4
	ds_write_b16 v14, v5 offset:512
	ds_write_b16 v14, v6 offset:1024
	;; [unrolled: 1-line block ×23, first 2 shown]
	s_waitcnt lgkmcnt(0)
	s_barrier
.LBB77_52:
	v_mul_u32_u24_e32 v22, 24, v0
	v_lshlrev_b32_e32 v1, 1, v22
	ds_read_b128 v[10:13], v1
	ds_read_b128 v[6:9], v1 offset:16
	ds_read_b128 v[2:5], v1 offset:32
	s_load_dwordx2 s[26:27], s[0:1], 0x20
	s_cmp_lg_u32 s2, 0
	v_mbcnt_lo_u32_b32 v36, -1, 0
	s_waitcnt lgkmcnt(0)
	v_lshrrev_b32_e32 v32, 16, v10
	v_lshrrev_b32_e32 v31, 16, v11
	;; [unrolled: 1-line block ×12, first 2 shown]
	v_cmp_lt_f16_e32 vcc, v10, v32
	v_lshrrev_b32_e32 v33, 6, v0
	v_or_b32_e32 v34, 63, v0
	s_barrier
	s_cbranch_scc0 .LBB77_79
; %bb.53:
	v_cndmask_b32_e32 v16, v10, v32, vcc
	v_cmp_lt_f16_e32 vcc, v16, v11
	v_mbcnt_hi_u32_b32 v17, -1, v36
	v_and_b32_e32 v18, 15, v17
	v_cndmask_b32_e32 v16, v16, v11, vcc
	v_cmp_lt_f16_e32 vcc, v16, v31
	s_nop 1
	v_cndmask_b32_e32 v16, v16, v31, vcc
	v_cmp_lt_f16_e32 vcc, v16, v12
	s_nop 1
	;; [unrolled: 3-line block ×21, first 2 shown]
	v_cndmask_b32_e32 v16, v16, v35, vcc
	v_and_b32_e32 v19, 0xffff, v16
	v_cmp_eq_u32_e32 vcc, 0, v18
	s_nop 0
	v_mov_b32_dpp v19, v19 row_shr:1 row_mask:0xf bank_mask:0xf
	v_cmp_gt_f16_e64 s[4:5], v16, v19
	s_or_b64 vcc, vcc, s[4:5]
	v_cndmask_b32_e32 v16, v19, v16, vcc
	v_and_b32_e32 v19, 0xffff, v16
	s_nop 1
	v_mov_b32_dpp v19, v19 row_shr:2 row_mask:0xf bank_mask:0xf
	v_cmp_gt_f16_e32 vcc, v16, v19
	s_nop 1
	v_cndmask_b32_e32 v19, v19, v16, vcc
	v_cmp_lt_u32_e32 vcc, 1, v18
	s_nop 1
	v_cndmask_b32_e32 v16, v16, v19, vcc
	v_and_b32_e32 v19, 0xffff, v16
	s_nop 1
	v_mov_b32_dpp v19, v19 row_shr:4 row_mask:0xf bank_mask:0xf
	v_cmp_gt_f16_e32 vcc, v16, v19
	s_nop 1
	v_cndmask_b32_e32 v19, v19, v16, vcc
	v_cmp_lt_u32_e32 vcc, 3, v18
	s_nop 1
	;; [unrolled: 9-line block ×3, first 2 shown]
	v_cndmask_b32_e32 v16, v16, v19, vcc
	v_and_b32_e32 v18, 0xffff, v16
	v_and_b32_e32 v19, 16, v17
	v_cmp_eq_u32_e32 vcc, 0, v19
	v_mov_b32_dpp v18, v18 row_bcast:15 row_mask:0xf bank_mask:0xf
	v_cmp_gt_f16_e64 s[4:5], v16, v18
	s_or_b64 vcc, vcc, s[4:5]
	v_cndmask_b32_e32 v16, v18, v16, vcc
	v_and_b32_e32 v18, 0xffff, v16
	s_nop 1
	v_mov_b32_dpp v18, v18 row_bcast:31 row_mask:0xf bank_mask:0xf
	v_cmp_gt_f16_e32 vcc, v16, v18
	s_nop 1
	v_cndmask_b32_e32 v18, v18, v16, vcc
	v_cmp_lt_u32_e32 vcc, 31, v17
	s_nop 1
	v_cndmask_b32_e32 v16, v16, v18, vcc
	v_cmp_eq_u32_e32 vcc, v34, v0
	s_and_saveexec_b64 s[4:5], vcc
	s_cbranch_execz .LBB77_55
; %bb.54:
	v_lshlrev_b32_e32 v18, 1, v33
	ds_write_b16 v18, v16
.LBB77_55:
	s_or_b64 exec, exec, s[4:5]
	v_cmp_gt_u32_e32 vcc, 4, v0
	s_waitcnt lgkmcnt(0)
	s_barrier
	s_and_saveexec_b64 s[6:7], vcc
	s_cbranch_execz .LBB77_57
; %bb.56:
	ds_read_u16 v18, v14
	v_and_b32_e32 v19, 3, v17
	v_cmp_eq_u32_e32 vcc, 0, v19
	s_waitcnt lgkmcnt(0)
	v_and_b32_e32 v20, 0xffff, v18
	s_nop 1
	v_mov_b32_dpp v20, v20 row_shr:1 row_mask:0xf bank_mask:0xf
	v_cmp_lt_f16_e64 s[4:5], v20, v18
	s_or_b64 vcc, vcc, s[4:5]
	v_cndmask_b32_e32 v18, v20, v18, vcc
	v_and_b32_e32 v20, 0xffff, v18
	s_nop 1
	v_mov_b32_dpp v20, v20 row_shr:2 row_mask:0xf bank_mask:0xf
	v_cmp_gt_f16_e32 vcc, v18, v20
	s_nop 1
	v_cndmask_b32_e32 v20, v20, v18, vcc
	v_cmp_lt_u32_e32 vcc, 1, v19
	s_nop 1
	v_cndmask_b32_e32 v18, v18, v20, vcc
	ds_write_b16 v14, v18
.LBB77_57:
	s_or_b64 exec, exec, s[6:7]
	v_cmp_gt_u32_e32 vcc, 64, v0
	v_cmp_lt_u32_e64 s[4:5], 63, v0
	s_waitcnt lgkmcnt(0)
	s_barrier
	s_waitcnt lgkmcnt(0)
                                        ; implicit-def: $vgpr37
	s_and_saveexec_b64 s[6:7], s[4:5]
	s_cbranch_execz .LBB77_59
; %bb.58:
	v_lshl_add_u32 v18, v33, 1, -2
	ds_read_u16 v37, v18
	s_waitcnt lgkmcnt(0)
	v_cmp_lt_f16_e64 s[4:5], v37, v16
	s_nop 1
	v_cndmask_b32_e64 v16, v37, v16, s[4:5]
.LBB77_59:
	s_or_b64 exec, exec, s[6:7]
	v_add_u32_e32 v18, -1, v17
	v_and_b32_e32 v19, 64, v17
	v_cmp_lt_i32_e64 s[4:5], v18, v19
	v_and_b32_e32 v16, 0xffff, v16
	s_nop 0
	v_cndmask_b32_e64 v18, v18, v17, s[4:5]
	v_lshlrev_b32_e32 v18, 2, v18
	ds_bpermute_b32 v38, v18, v16
	v_cmp_eq_u32_e64 s[4:5], 0, v17
	s_and_saveexec_b64 s[28:29], vcc
	s_cbranch_execz .LBB77_78
; %bb.60:
	v_mov_b32_e32 v19, 0
	ds_read_u16 v39, v19 offset:6
	s_and_saveexec_b64 s[6:7], s[4:5]
	s_cbranch_execz .LBB77_62
; %bb.61:
	s_add_i32 s8, s2, 64
	s_mov_b32 s9, 0
	s_lshl_b64 s[8:9], s[8:9], 2
	s_add_u32 s8, s26, s8
	s_mov_b32 s3, 0x10000
	s_addc_u32 s9, s27, s9
	s_waitcnt lgkmcnt(0)
	v_or_b32_sdwa v16, v39, s3 dst_sel:DWORD dst_unused:UNUSED_PAD src0_sel:WORD_0 src1_sel:DWORD
	global_store_dword v19, v16, s[8:9] sc1
.LBB77_62:
	s_or_b64 exec, exec, s[6:7]
	v_xad_u32 v16, v17, -1, s2
	v_add_u32_e32 v18, 64, v16
	v_lshl_add_u64 v[20:21], v[18:19], 2, s[26:27]
	global_load_dword v52, v[20:21], off sc1
	s_waitcnt vmcnt(0)
	v_lshrrev_b32_e32 v40, 16, v52
	v_cmp_eq_u16_sdwa s[8:9], v40, v19 src0_sel:BYTE_0 src1_sel:DWORD
	s_and_saveexec_b64 s[6:7], s[8:9]
	s_cbranch_execz .LBB77_66
; %bb.63:
	s_mov_b64 s[8:9], 0
	v_mov_b32_e32 v18, 0
.LBB77_64:                              ; =>This Inner Loop Header: Depth=1
	global_load_dword v52, v[20:21], off sc1
	s_waitcnt vmcnt(0)
	v_lshrrev_b32_e32 v40, 16, v52
	v_cmp_ne_u16_sdwa s[10:11], v40, v18 src0_sel:BYTE_0 src1_sel:DWORD
	s_or_b64 s[8:9], s[10:11], s[8:9]
	s_andn2_b64 exec, exec, s[8:9]
	s_cbranch_execnz .LBB77_64
; %bb.65:
	s_or_b64 exec, exec, s[8:9]
.LBB77_66:
	s_or_b64 exec, exec, s[6:7]
	v_and_b32_e32 v53, 63, v17
	v_cmp_ne_u32_e32 vcc, 63, v53
	v_and_b32_e32 v44, 0xffff, v52
	v_mov_b32_e32 v41, 2
	v_addc_co_u32_e32 v42, vcc, 0, v17, vcc
	v_lshlrev_b32_e32 v42, 2, v42
	ds_bpermute_b32 v45, v42, v44
	v_cmp_eq_u16_sdwa s[6:7], v40, v41 src0_sel:BYTE_0 src1_sel:DWORD
	v_lshlrev_b64 v[18:19], v17, -1
	v_add_u32_e32 v43, 1, v17
	v_and_b32_e32 v20, s7, v19
	v_or_b32_e32 v20, 0x80000000, v20
	v_and_b32_e32 v21, s6, v18
	v_ffbl_b32_e32 v20, v20
	v_add_u32_e32 v20, 32, v20
	v_ffbl_b32_e32 v21, v21
	s_waitcnt lgkmcnt(0)
	v_cmp_gt_f16_e32 vcc, v52, v45
	v_min_u32_e32 v20, v21, v20
	v_cmp_gt_u32_e64 s[6:7], 62, v53
	v_cndmask_b32_e32 v21, v45, v52, vcc
	v_and_b32_e32 v45, 0xffff, v21
	v_cmp_le_u32_e32 vcc, v43, v20
	v_cmp_gt_u32_e64 s[8:9], 60, v53
	v_cmp_gt_u32_e64 s[10:11], 56, v53
	v_cndmask_b32_e32 v46, v44, v45, vcc
	v_cndmask_b32_e64 v44, 0, 1, s[6:7]
	v_lshlrev_b32_e32 v44, 1, v44
	v_add_lshl_u32 v44, v44, v17, 2
	ds_bpermute_b32 v47, v44, v46
	v_cndmask_b32_e32 v21, v52, v21, vcc
	v_add_u32_e32 v45, 2, v17
	v_cmp_gt_u32_e64 s[12:13], 48, v53
	v_cmp_gt_u32_e64 s[14:15], 32, v53
	s_waitcnt lgkmcnt(0)
	v_cmp_gt_f16_e64 s[6:7], v21, v47
	v_cndmask_b32_e64 v53, 0, 1, s[14:15]
	s_nop 0
	v_cndmask_b32_e64 v47, v47, v21, s[6:7]
	v_and_b32_e32 v48, 0xffff, v47
	v_cmp_le_u32_e64 s[6:7], v45, v20
	v_lshlrev_b32_e32 v53, 5, v53
	v_add_lshl_u32 v53, v53, v17, 2
	v_cndmask_b32_e64 v48, v46, v48, s[6:7]
	v_cndmask_b32_e64 v46, 0, 1, s[8:9]
	v_lshlrev_b32_e32 v46, 2, v46
	v_add_lshl_u32 v46, v46, v17, 2
	ds_bpermute_b32 v49, v46, v48
	v_cndmask_b32_e64 v21, v21, v47, s[6:7]
	v_add_u32_e32 v47, 4, v17
	s_waitcnt lgkmcnt(0)
	v_cmp_gt_f16_e64 s[8:9], v21, v49
	s_nop 1
	v_cndmask_b32_e64 v49, v49, v21, s[8:9]
	v_and_b32_e32 v50, 0xffff, v49
	v_cmp_le_u32_e64 s[8:9], v47, v20
	s_nop 1
	v_cndmask_b32_e64 v50, v48, v50, s[8:9]
	v_cndmask_b32_e64 v48, 0, 1, s[10:11]
	v_lshlrev_b32_e32 v48, 3, v48
	v_add_lshl_u32 v48, v48, v17, 2
	ds_bpermute_b32 v51, v48, v50
	v_cndmask_b32_e64 v21, v21, v49, s[8:9]
	v_add_u32_e32 v49, 8, v17
	s_waitcnt lgkmcnt(0)
	v_cmp_gt_f16_e64 s[10:11], v21, v51
	s_nop 1
	v_cndmask_b32_e64 v51, v51, v21, s[10:11]
	v_and_b32_e32 v54, 0xffff, v51
	v_cmp_le_u32_e64 s[10:11], v49, v20
	s_nop 1
	;; [unrolled: 14-line block ×3, first 2 shown]
	v_cndmask_b32_e64 v54, v54, v56, s[12:13]
	ds_bpermute_b32 v56, v53, v54
	v_add_u32_e32 v54, 32, v17
	v_cmp_le_u32_e64 s[16:17], v54, v20
	s_or_b64 s[6:7], s[6:7], s[16:17]
	s_or_b64 s[6:7], vcc, s[6:7]
	v_cndmask_b32_e64 v17, v21, v55, s[12:13]
	v_cmp_gt_u32_e64 s[14:15], v54, v20
	s_or_b64 s[6:7], s[8:9], s[6:7]
	s_waitcnt lgkmcnt(0)
	v_cmp_gt_f16_e32 vcc, v17, v56
	s_or_b64 s[6:7], s[10:11], s[6:7]
	s_or_b64 vcc, s[14:15], vcc
	v_cndmask_b32_e32 v17, v56, v17, vcc
	s_or_b64 vcc, s[12:13], s[6:7]
	v_cndmask_b32_e32 v20, v52, v17, vcc
	v_mov_b32_e32 v17, 0
	s_branch .LBB77_68
.LBB77_67:                              ;   in Loop: Header=BB77_68 Depth=1
	s_or_b64 exec, exec, s[6:7]
	v_and_b32_e32 v56, 0xffff, v55
	ds_bpermute_b32 v57, v42, v56
	v_cmp_eq_u16_sdwa s[6:7], v40, v41 src0_sel:BYTE_0 src1_sel:DWORD
	v_subrev_u32_e32 v16, 64, v16
	s_waitcnt lgkmcnt(0)
	v_cmp_gt_f16_e32 vcc, v55, v57
	v_and_b32_e32 v20, s7, v19
	v_or_b32_e32 v20, 0x80000000, v20
	v_and_b32_e32 v21, s6, v18
	v_ffbl_b32_e32 v20, v20
	v_add_u32_e32 v20, 32, v20
	v_ffbl_b32_e32 v21, v21
	v_min_u32_e32 v20, v21, v20
	v_cndmask_b32_e32 v21, v57, v55, vcc
	v_and_b32_e32 v57, 0xffff, v21
	v_cmp_le_u32_e32 vcc, v43, v20
	v_cmp_le_u32_e64 s[16:17], v54, v20
	v_cmp_gt_u32_e64 s[14:15], v54, v20
	v_cndmask_b32_e32 v56, v56, v57, vcc
	ds_bpermute_b32 v57, v44, v56
	v_cndmask_b32_e32 v21, v55, v21, vcc
	s_waitcnt lgkmcnt(0)
	v_cmp_gt_f16_e64 s[6:7], v21, v57
	s_nop 1
	v_cndmask_b32_e64 v57, v57, v21, s[6:7]
	v_and_b32_e32 v58, 0xffff, v57
	v_cmp_le_u32_e64 s[6:7], v45, v20
	s_nop 1
	v_cndmask_b32_e64 v56, v56, v58, s[6:7]
	ds_bpermute_b32 v58, v46, v56
	v_cndmask_b32_e64 v21, v21, v57, s[6:7]
	s_or_b64 s[6:7], s[6:7], s[16:17]
	s_or_b64 s[6:7], vcc, s[6:7]
	s_waitcnt lgkmcnt(0)
	v_cmp_gt_f16_e64 s[8:9], v21, v58
	s_nop 1
	v_cndmask_b32_e64 v57, v58, v21, s[8:9]
	v_and_b32_e32 v58, 0xffff, v57
	v_cmp_le_u32_e64 s[8:9], v47, v20
	s_or_b64 s[6:7], s[8:9], s[6:7]
	s_nop 0
	v_cndmask_b32_e64 v56, v56, v58, s[8:9]
	ds_bpermute_b32 v58, v48, v56
	v_cndmask_b32_e64 v21, v21, v57, s[8:9]
	s_waitcnt lgkmcnt(0)
	v_cmp_gt_f16_e64 s[10:11], v21, v58
	s_nop 1
	v_cndmask_b32_e64 v57, v58, v21, s[10:11]
	v_and_b32_e32 v58, 0xffff, v57
	v_cmp_le_u32_e64 s[10:11], v49, v20
	s_or_b64 s[6:7], s[10:11], s[6:7]
	s_nop 0
	v_cndmask_b32_e64 v56, v56, v58, s[10:11]
	ds_bpermute_b32 v58, v50, v56
	v_cndmask_b32_e64 v21, v21, v57, s[10:11]
	s_waitcnt lgkmcnt(0)
	v_cmp_gt_f16_e64 s[12:13], v21, v58
	s_nop 1
	v_cndmask_b32_e64 v57, v58, v21, s[12:13]
	v_and_b32_e32 v58, 0xffff, v57
	v_cmp_le_u32_e64 s[12:13], v51, v20
	s_nop 1
	v_cndmask_b32_e64 v56, v56, v58, s[12:13]
	ds_bpermute_b32 v56, v53, v56
	v_cndmask_b32_e64 v20, v21, v57, s[12:13]
	s_waitcnt lgkmcnt(0)
	v_cmp_gt_f16_e32 vcc, v20, v56
	s_or_b64 vcc, s[14:15], vcc
	s_nop 0
	v_cndmask_b32_e32 v20, v56, v20, vcc
	s_or_b64 vcc, s[12:13], s[6:7]
	v_cndmask_b32_e32 v20, v55, v20, vcc
	v_cmp_lt_f16_e32 vcc, v20, v52
	s_nop 1
	v_cndmask_b32_e32 v20, v20, v52, vcc
.LBB77_68:                              ; =>This Loop Header: Depth=1
                                        ;     Child Loop BB77_71 Depth 2
	v_cmp_ne_u16_sdwa s[6:7], v40, v41 src0_sel:BYTE_0 src1_sel:DWORD
	v_mov_b32_e32 v52, v20
	s_nop 0
	v_cndmask_b32_e64 v21, 0, 1, s[6:7]
	;;#ASMSTART
	;;#ASMEND
	s_nop 0
	v_cmp_ne_u32_e32 vcc, 0, v21
	s_cmp_lg_u64 vcc, exec
	s_cbranch_scc1 .LBB77_73
; %bb.69:                               ;   in Loop: Header=BB77_68 Depth=1
	v_lshl_add_u64 v[20:21], v[16:17], 2, s[26:27]
	global_load_dword v55, v[20:21], off sc1
	s_waitcnt vmcnt(0)
	v_lshrrev_b32_e32 v40, 16, v55
	v_cmp_eq_u16_sdwa s[8:9], v40, v17 src0_sel:BYTE_0 src1_sel:DWORD
	s_and_saveexec_b64 s[6:7], s[8:9]
	s_cbranch_execz .LBB77_67
; %bb.70:                               ;   in Loop: Header=BB77_68 Depth=1
	s_mov_b64 s[8:9], 0
.LBB77_71:                              ;   Parent Loop BB77_68 Depth=1
                                        ; =>  This Inner Loop Header: Depth=2
	global_load_dword v55, v[20:21], off sc1
	s_waitcnt vmcnt(0)
	v_lshrrev_b32_e32 v40, 16, v55
	v_cmp_ne_u16_sdwa s[10:11], v40, v17 src0_sel:BYTE_0 src1_sel:DWORD
	s_or_b64 s[8:9], s[10:11], s[8:9]
	s_andn2_b64 exec, exec, s[8:9]
	s_cbranch_execnz .LBB77_71
; %bb.72:                               ;   in Loop: Header=BB77_68 Depth=1
	s_or_b64 exec, exec, s[8:9]
	s_branch .LBB77_67
.LBB77_73:                              ;   in Loop: Header=BB77_68 Depth=1
                                        ; implicit-def: $vgpr20
                                        ; implicit-def: $vgpr40
	s_cbranch_execz .LBB77_68
; %bb.74:
	s_and_saveexec_b64 s[6:7], s[4:5]
	s_cbranch_execz .LBB77_76
; %bb.75:
	s_add_i32 s2, s2, 64
	s_mov_b32 s3, 0
	s_lshl_b64 s[2:3], s[2:3], 2
	v_cmp_lt_f16_e32 vcc, v52, v39
	s_add_u32 s2, s26, s2
	s_mov_b32 s8, 0x20000
	v_cndmask_b32_e32 v17, v52, v39, vcc
	s_addc_u32 s3, s27, s3
	v_mov_b32_e32 v16, 0
	v_or_b32_sdwa v17, v17, s8 dst_sel:DWORD dst_unused:UNUSED_PAD src0_sel:WORD_0 src1_sel:DWORD
	global_store_dword v16, v17, s[2:3] sc1
.LBB77_76:
	s_or_b64 exec, exec, s[6:7]
	v_cmp_eq_u32_e32 vcc, 0, v0
	s_and_b64 exec, exec, vcc
	s_cbranch_execz .LBB77_78
; %bb.77:
	v_mov_b32_e32 v16, 0
	ds_write_b16 v16, v52 offset:6
.LBB77_78:
	s_or_b64 exec, exec, s[28:29]
	v_mov_b32_e32 v16, 0
	s_waitcnt lgkmcnt(0)
	s_barrier
	ds_read_u16 v16, v16 offset:6
	v_cndmask_b32_e64 v17, v38, v37, s[4:5]
	s_waitcnt lgkmcnt(0)
	v_cmp_lt_f16_e32 vcc, v16, v17
	s_nop 1
	v_cndmask_b32_e32 v17, v16, v17, vcc
	v_cmp_eq_u32_e32 vcc, 0, v0
	s_nop 1
	v_cndmask_b32_e32 v17, v17, v16, vcc
	v_cmp_lt_f16_e32 vcc, v17, v10
	s_nop 1
	v_cndmask_b32_e32 v16, v17, v10, vcc
	v_cmp_lt_f16_e32 vcc, v16, v32
	;; [unrolled: 3-line block ×23, first 2 shown]
	s_nop 1
	v_cndmask_b32_e32 v54, v53, v5, vcc
	s_load_dwordx4 s[4:7], s[0:1], 0x30
	s_branch .LBB77_91
.LBB77_79:
                                        ; implicit-def: $vgpr17
                                        ; implicit-def: $vgpr16
                                        ; implicit-def: $vgpr18
                                        ; implicit-def: $vgpr19
                                        ; implicit-def: $vgpr20
                                        ; implicit-def: $vgpr21
                                        ; implicit-def: $vgpr38
                                        ; implicit-def: $vgpr40
                                        ; implicit-def: $vgpr37
                                        ; implicit-def: $vgpr39
                                        ; implicit-def: $vgpr41
                                        ; implicit-def: $vgpr42
                                        ; implicit-def: $vgpr43
                                        ; implicit-def: $vgpr44
                                        ; implicit-def: $vgpr46
                                        ; implicit-def: $vgpr48
                                        ; implicit-def: $vgpr45
                                        ; implicit-def: $vgpr47
                                        ; implicit-def: $vgpr49
                                        ; implicit-def: $vgpr50
                                        ; implicit-def: $vgpr51
                                        ; implicit-def: $vgpr52
                                        ; implicit-def: $vgpr53
                                        ; implicit-def: $vgpr54
	s_load_dwordx4 s[4:7], s[0:1], 0x30
	s_cbranch_execz .LBB77_91
; %bb.80:
	s_load_dword s2, s[0:1], 0x40
	s_load_dword s3, s[0:1], 0x18
	s_waitcnt lgkmcnt(0)
	s_bitcmp0_b32 s2, 0
	v_mov_b32_e32 v54, s3
	s_cbranch_scc1 .LBB77_82
; %bb.81:
	v_mov_b32_e32 v16, 0
	global_load_ushort v17, v16, s[20:21] offset:-2
	global_load_ushort v18, v16, s[4:5]
	s_waitcnt vmcnt(0)
	v_cmp_lt_f16_e32 vcc, v18, v17
	s_nop 1
	v_cndmask_b32_e32 v54, v18, v17, vcc
.LBB77_82:
	v_cmp_lt_f16_e32 vcc, v10, v32
	s_nop 1
	v_cndmask_b32_e32 v16, v10, v32, vcc
	v_cmp_lt_f16_e32 vcc, v16, v11
	s_nop 1
	v_cndmask_b32_e32 v16, v16, v11, vcc
	;; [unrolled: 3-line block ×23, first 2 shown]
	v_mbcnt_hi_u32_b32 v16, -1, v36
	v_and_b32_e32 v19, 0xffff, v17
	v_and_b32_e32 v18, 15, v16
	v_cmp_eq_u32_e32 vcc, 0, v18
	v_mov_b32_dpp v19, v19 row_shr:1 row_mask:0xf bank_mask:0xf
	v_cmp_gt_f16_e64 s[2:3], v17, v19
	s_or_b64 vcc, vcc, s[2:3]
	v_cndmask_b32_e32 v17, v19, v17, vcc
	v_and_b32_e32 v19, 0xffff, v17
	s_nop 1
	v_mov_b32_dpp v19, v19 row_shr:2 row_mask:0xf bank_mask:0xf
	v_cmp_gt_f16_e32 vcc, v17, v19
	s_nop 1
	v_cndmask_b32_e32 v19, v19, v17, vcc
	v_cmp_lt_u32_e32 vcc, 1, v18
	s_nop 1
	v_cndmask_b32_e32 v17, v17, v19, vcc
	v_and_b32_e32 v19, 0xffff, v17
	s_nop 1
	v_mov_b32_dpp v19, v19 row_shr:4 row_mask:0xf bank_mask:0xf
	v_cmp_gt_f16_e32 vcc, v17, v19
	s_nop 1
	v_cndmask_b32_e32 v19, v19, v17, vcc
	v_cmp_lt_u32_e32 vcc, 3, v18
	s_nop 1
	v_cndmask_b32_e32 v17, v17, v19, vcc
	v_and_b32_e32 v19, 0xffff, v17
	s_nop 1
	v_mov_b32_dpp v19, v19 row_shr:8 row_mask:0xf bank_mask:0xf
	v_cmp_gt_f16_e32 vcc, v17, v19
	s_nop 1
	v_cndmask_b32_e32 v19, v19, v17, vcc
	v_cmp_lt_u32_e32 vcc, 7, v18
	s_nop 1
	v_cndmask_b32_e32 v17, v17, v19, vcc
	v_and_b32_e32 v18, 0xffff, v17
	v_and_b32_e32 v19, 16, v16
	v_cmp_eq_u32_e32 vcc, 0, v19
	v_mov_b32_dpp v18, v18 row_bcast:15 row_mask:0xf bank_mask:0xf
	v_cmp_gt_f16_e64 s[2:3], v17, v18
	s_or_b64 vcc, vcc, s[2:3]
	v_cndmask_b32_e32 v17, v18, v17, vcc
	v_and_b32_e32 v18, 0xffff, v17
	s_nop 1
	v_mov_b32_dpp v18, v18 row_bcast:31 row_mask:0xf bank_mask:0xf
	v_cmp_gt_f16_e32 vcc, v17, v18
	s_nop 1
	v_cndmask_b32_e32 v18, v18, v17, vcc
	v_cmp_lt_u32_e32 vcc, 31, v16
	s_nop 1
	v_cndmask_b32_e32 v17, v17, v18, vcc
	v_cmp_eq_u32_e32 vcc, v34, v0
	s_and_saveexec_b64 s[2:3], vcc
	s_cbranch_execz .LBB77_84
; %bb.83:
	v_lshlrev_b32_e32 v18, 1, v33
	ds_write_b16 v18, v17
.LBB77_84:
	s_or_b64 exec, exec, s[2:3]
	v_cmp_gt_u32_e32 vcc, 4, v0
	s_waitcnt lgkmcnt(0)
	s_barrier
	s_and_saveexec_b64 s[4:5], vcc
	s_cbranch_execz .LBB77_86
; %bb.85:
	s_movk_i32 s2, 0xffd2
	v_mad_i32_i24 v18, v0, s2, v1
	ds_read_u16 v19, v18
	v_and_b32_e32 v20, 3, v16
	v_cmp_eq_u32_e32 vcc, 0, v20
	s_waitcnt lgkmcnt(0)
	v_and_b32_e32 v21, 0xffff, v19
	s_nop 1
	v_mov_b32_dpp v21, v21 row_shr:1 row_mask:0xf bank_mask:0xf
	v_cmp_lt_f16_e64 s[2:3], v21, v19
	s_or_b64 vcc, vcc, s[2:3]
	v_cndmask_b32_e32 v19, v21, v19, vcc
	v_and_b32_e32 v21, 0xffff, v19
	s_nop 1
	v_mov_b32_dpp v21, v21 row_shr:2 row_mask:0xf bank_mask:0xf
	v_cmp_gt_f16_e32 vcc, v19, v21
	s_nop 1
	v_cndmask_b32_e32 v21, v21, v19, vcc
	v_cmp_lt_u32_e32 vcc, 1, v20
	s_nop 1
	v_cndmask_b32_e32 v19, v19, v21, vcc
	ds_write_b16 v18, v19
.LBB77_86:
	s_or_b64 exec, exec, s[4:5]
	v_cmp_lt_u32_e32 vcc, 63, v0
	v_mov_b32_e32 v18, v54
	s_waitcnt lgkmcnt(0)
	s_barrier
	s_and_saveexec_b64 s[2:3], vcc
	s_cbranch_execz .LBB77_88
; %bb.87:
	v_lshl_add_u32 v18, v33, 1, -2
	ds_read_u16 v18, v18
	s_waitcnt lgkmcnt(0)
	v_cmp_gt_f16_e32 vcc, v18, v54
	s_nop 1
	v_cndmask_b32_e32 v18, v54, v18, vcc
.LBB77_88:
	s_or_b64 exec, exec, s[2:3]
	v_cmp_lt_f16_e32 vcc, v18, v17
	v_add_u32_e32 v19, -1, v16
	v_and_b32_e32 v20, 64, v16
	v_cndmask_b32_e32 v17, v18, v17, vcc
	v_cmp_lt_i32_e32 vcc, v19, v20
	v_and_b32_e32 v17, 0xffff, v17
	v_cmp_eq_u32_e64 s[2:3], 0, v0
	v_cndmask_b32_e32 v19, v19, v16, vcc
	v_lshlrev_b32_e32 v19, 2, v19
	ds_bpermute_b32 v17, v19, v17
	v_cmp_eq_u32_e32 vcc, 0, v16
	s_waitcnt lgkmcnt(0)
	s_nop 0
	v_cndmask_b32_e32 v17, v17, v18, vcc
	v_cndmask_b32_e64 v16, v17, v54, s[2:3]
	v_cmp_lt_f16_e32 vcc, v16, v10
	s_nop 1
	v_cndmask_b32_e32 v16, v16, v10, vcc
	v_cmp_lt_f16_e32 vcc, v16, v32
	s_nop 1
	v_cndmask_b32_e32 v18, v16, v32, vcc
	;; [unrolled: 3-line block ×22, first 2 shown]
	v_cmp_lt_f16_e32 vcc, v53, v5
	s_and_saveexec_b64 s[4:5], s[2:3]
	s_cbranch_execz .LBB77_90
; %bb.89:
	v_mov_b32_e32 v2, 0
	ds_read_u16 v3, v2 offset:6
	s_mov_b32 s8, 0x20000
	v_mov_b32_e32 v17, v54
	s_waitcnt lgkmcnt(0)
	v_cmp_gt_f16_e64 s[2:3], v3, v54
	s_nop 1
	v_cndmask_b32_e64 v3, v54, v3, s[2:3]
	v_or_b32_sdwa v3, v3, s8 dst_sel:DWORD dst_unused:UNUSED_PAD src0_sel:WORD_0 src1_sel:DWORD
	global_store_dword v2, v3, s[26:27] offset:256 sc1
.LBB77_90:
	s_or_b64 exec, exec, s[4:5]
	v_cndmask_b32_e32 v54, v53, v5, vcc
.LBB77_91:
	s_add_u32 s2, s22, s24
	s_addc_u32 s3, s23, s25
	s_waitcnt lgkmcnt(0)
	s_mov_b64 s[4:5], -1
	s_and_b64 vcc, exec, s[18:19]
	s_barrier
	s_cbranch_vccz .LBB77_93
; %bb.92:
	s_mov_b32 s4, 0x5040100
	v_perm_b32 v5, v40, v38, s4
	v_perm_b32 v4, v21, v20, s4
	;; [unrolled: 1-line block ×4, first 2 shown]
	ds_write_b128 v1, v[2:5]
	v_perm_b32 v5, v48, v46, s4
	v_perm_b32 v4, v44, v43, s4
	;; [unrolled: 1-line block ×4, first 2 shown]
	ds_write_b128 v1, v[2:5] offset:16
	v_perm_b32 v5, v54, v53, s4
	v_perm_b32 v4, v52, v51, s4
	;; [unrolled: 1-line block ×4, first 2 shown]
	v_mov_b32_e32 v15, 0
	ds_write_b128 v1, v[2:5] offset:32
	s_waitcnt lgkmcnt(0)
	s_barrier
	ds_read_u16 v4, v14
	ds_read_u16 v5, v14 offset:512
	ds_read_u16 v6, v14 offset:1024
	;; [unrolled: 1-line block ×23, first 2 shown]
	v_lshl_add_u64 v[2:3], s[2:3], 0, v[14:15]
	s_movk_i32 s4, 0x1000
	s_waitcnt lgkmcnt(14)
	global_store_short v14, v4, s[2:3]
	global_store_short v14, v5, s[2:3] offset:512
	global_store_short v14, v6, s[2:3] offset:1024
	global_store_short v14, v7, s[2:3] offset:1536
	global_store_short v14, v8, s[2:3] offset:2048
	global_store_short v14, v9, s[2:3] offset:2560
	global_store_short v14, v10, s[2:3] offset:3072
	global_store_short v14, v11, s[2:3] offset:3584
	v_add_co_u32_e32 v4, vcc, s4, v2
	s_mov_b64 s[4:5], 0
	s_nop 0
	v_addc_co_u32_e32 v5, vcc, 0, v3, vcc
	v_add_co_u32_e32 v2, vcc, 0x2000, v2
	global_store_short v[4:5], v12, off
	global_store_short v[4:5], v13, off offset:512
	s_waitcnt lgkmcnt(13)
	global_store_short v[4:5], v23, off offset:1024
	s_waitcnt lgkmcnt(12)
	;; [unrolled: 2-line block ×6, first 2 shown]
	global_store_short v[4:5], v28, off offset:3584
	v_addc_co_u32_e32 v3, vcc, 0, v3, vcc
	s_waitcnt lgkmcnt(7)
	global_store_short v[2:3], v29, off
	s_waitcnt lgkmcnt(6)
	global_store_short v[2:3], v30, off offset:512
	s_waitcnt lgkmcnt(5)
	global_store_short v[2:3], v31, off offset:1024
	;; [unrolled: 2-line block ×7, first 2 shown]
.LBB77_93:
	s_andn2_b64 vcc, exec, s[4:5]
	s_cbranch_vccnz .LBB77_150
; %bb.94:
	s_mov_b32 s4, 0x5040100
	v_perm_b32 v5, v40, v38, s4
	v_perm_b32 v4, v21, v20, s4
	;; [unrolled: 1-line block ×4, first 2 shown]
	ds_write_b128 v1, v[2:5]
	v_perm_b32 v5, v48, v46, s4
	v_perm_b32 v4, v44, v43, s4
	v_perm_b32 v3, v42, v41, s4
	v_perm_b32 v2, v39, v37, s4
	ds_write_b128 v1, v[2:5] offset:16
	v_perm_b32 v5, v54, v53, s4
	v_perm_b32 v4, v52, v51, s4
	;; [unrolled: 1-line block ×4, first 2 shown]
	s_movk_i32 s4, 0xffd2
	ds_write_b128 v1, v[2:5] offset:32
	v_mad_i32_i24 v1, v0, s4, v1
	s_waitcnt lgkmcnt(0)
	s_barrier
	ds_read_u16 v5, v1
	ds_read_u16 v4, v1 offset:512
	ds_read_u16 v7, v1 offset:1024
	;; [unrolled: 1-line block ×23, first 2 shown]
	v_mov_b32_e32 v15, 0
	v_lshl_add_u64 v[2:3], s[2:3], 0, v[14:15]
	v_cmp_gt_u32_e32 vcc, s30, v0
	s_and_saveexec_b64 s[2:3], vcc
	s_cbranch_execz .LBB77_96
; %bb.95:
	s_waitcnt lgkmcnt(14)
	global_store_short v[2:3], v5, off
.LBB77_96:
	s_or_b64 exec, exec, s[2:3]
	v_or_b32_e32 v1, 0x100, v0
	v_cmp_gt_u32_e32 vcc, s30, v1
	s_and_saveexec_b64 s[2:3], vcc
	s_cbranch_execz .LBB77_98
; %bb.97:
	s_waitcnt lgkmcnt(14)
	global_store_short v[2:3], v4, off offset:512
.LBB77_98:
	s_or_b64 exec, exec, s[2:3]
	v_or_b32_e32 v1, 0x200, v0
	v_cmp_gt_u32_e32 vcc, s30, v1
	s_and_saveexec_b64 s[2:3], vcc
	s_cbranch_execz .LBB77_100
; %bb.99:
	s_waitcnt lgkmcnt(14)
	global_store_short v[2:3], v7, off offset:1024
.LBB77_100:
	;; [unrolled: 9-line block ×7, first 2 shown]
	s_or_b64 exec, exec, s[2:3]
	v_or_b32_e32 v1, 0x800, v0
	v_cmp_gt_u32_e32 vcc, s30, v1
	s_and_saveexec_b64 s[2:3], vcc
	s_cbranch_execz .LBB77_112
; %bb.111:
	v_add_co_u32_e32 v32, vcc, 0x1000, v2
	s_nop 1
	v_addc_co_u32_e32 v33, vcc, 0, v3, vcc
	s_waitcnt lgkmcnt(14)
	global_store_short v[32:33], v18, off
.LBB77_112:
	s_or_b64 exec, exec, s[2:3]
	v_or_b32_e32 v1, 0x900, v0
	v_cmp_gt_u32_e32 vcc, s30, v1
	s_and_saveexec_b64 s[2:3], vcc
	s_cbranch_execz .LBB77_114
; %bb.113:
	v_add_co_u32_e32 v32, vcc, 0x1000, v2
	s_nop 1
	v_addc_co_u32_e32 v33, vcc, 0, v3, vcc
	s_waitcnt lgkmcnt(14)
	global_store_short v[32:33], v26, off offset:512
.LBB77_114:
	s_or_b64 exec, exec, s[2:3]
	v_or_b32_e32 v1, 0xa00, v0
	v_cmp_gt_u32_e32 vcc, s30, v1
	s_and_saveexec_b64 s[2:3], vcc
	s_cbranch_execz .LBB77_116
; %bb.115:
	v_add_co_u32_e32 v32, vcc, 0x1000, v2
	s_nop 1
	v_addc_co_u32_e32 v33, vcc, 0, v3, vcc
	s_waitcnt lgkmcnt(13)
	global_store_short v[32:33], v23, off offset:1024
.LBB77_116:
	;; [unrolled: 12-line block ×7, first 2 shown]
	s_or_b64 exec, exec, s[2:3]
	v_or_b32_e32 v1, 0x1000, v0
	v_cmp_gt_u32_e32 vcc, s30, v1
	s_and_saveexec_b64 s[2:3], vcc
	s_cbranch_execz .LBB77_128
; %bb.127:
	v_add_co_u32_e32 v32, vcc, 0x2000, v2
	s_nop 1
	v_addc_co_u32_e32 v33, vcc, 0, v3, vcc
	s_waitcnt lgkmcnt(7)
	global_store_short v[32:33], v25, off
.LBB77_128:
	s_or_b64 exec, exec, s[2:3]
	v_or_b32_e32 v1, 0x1100, v0
	v_cmp_gt_u32_e32 vcc, s30, v1
	s_and_saveexec_b64 s[2:3], vcc
	s_cbranch_execz .LBB77_130
; %bb.129:
	v_add_co_u32_e32 v32, vcc, 0x2000, v2
	s_nop 1
	v_addc_co_u32_e32 v33, vcc, 0, v3, vcc
	s_waitcnt lgkmcnt(6)
	global_store_short v[32:33], v28, off offset:512
.LBB77_130:
	s_or_b64 exec, exec, s[2:3]
	v_or_b32_e32 v1, 0x1200, v0
	v_cmp_gt_u32_e32 vcc, s30, v1
	s_and_saveexec_b64 s[2:3], vcc
	s_cbranch_execz .LBB77_132
; %bb.131:
	v_add_co_u32_e32 v32, vcc, 0x2000, v2
	s_nop 1
	v_addc_co_u32_e32 v33, vcc, 0, v3, vcc
	s_waitcnt lgkmcnt(5)
	global_store_short v[32:33], v27, off offset:1024
.LBB77_132:
	s_or_b64 exec, exec, s[2:3]
	v_or_b32_e32 v1, 0x1300, v0
	v_cmp_gt_u32_e32 vcc, s30, v1
	s_and_saveexec_b64 s[2:3], vcc
	s_cbranch_execz .LBB77_134
; %bb.133:
	v_add_co_u32_e32 v32, vcc, 0x2000, v2
	s_nop 1
	v_addc_co_u32_e32 v33, vcc, 0, v3, vcc
	s_waitcnt lgkmcnt(4)
	global_store_short v[32:33], v24, off offset:1536
.LBB77_134:
	s_or_b64 exec, exec, s[2:3]
	v_or_b32_e32 v1, 0x1400, v0
	v_cmp_gt_u32_e32 vcc, s30, v1
	s_and_saveexec_b64 s[2:3], vcc
	s_cbranch_execz .LBB77_136
; %bb.135:
	v_add_co_u32_e32 v32, vcc, 0x2000, v2
	s_nop 1
	v_addc_co_u32_e32 v33, vcc, 0, v3, vcc
	s_waitcnt lgkmcnt(3)
	global_store_short v[32:33], v12, off offset:2048
.LBB77_136:
	s_or_b64 exec, exec, s[2:3]
	v_or_b32_e32 v1, 0x1500, v0
	v_cmp_gt_u32_e32 vcc, s30, v1
	s_and_saveexec_b64 s[2:3], vcc
	s_cbranch_execz .LBB77_138
; %bb.137:
	v_add_co_u32_e32 v32, vcc, 0x2000, v2
	s_nop 1
	v_addc_co_u32_e32 v33, vcc, 0, v3, vcc
	s_waitcnt lgkmcnt(2)
	global_store_short v[32:33], v11, off offset:2560
.LBB77_138:
	s_or_b64 exec, exec, s[2:3]
	v_or_b32_e32 v1, 0x1600, v0
	v_cmp_gt_u32_e32 vcc, s30, v1
	s_and_saveexec_b64 s[2:3], vcc
	s_cbranch_execz .LBB77_140
; %bb.139:
	v_add_co_u32_e32 v32, vcc, 0x2000, v2
	s_nop 1
	v_addc_co_u32_e32 v33, vcc, 0, v3, vcc
	s_waitcnt lgkmcnt(1)
	global_store_short v[32:33], v29, off offset:3072
.LBB77_140:
	s_or_b64 exec, exec, s[2:3]
	v_or_b32_e32 v1, 0x1700, v0
	v_cmp_gt_u32_e32 vcc, s30, v1
	s_and_saveexec_b64 s[2:3], vcc
	s_cbranch_execz .LBB77_142
; %bb.141:
	v_add_co_u32_e32 v2, vcc, 0x2000, v2
	s_nop 1
	v_addc_co_u32_e32 v3, vcc, 0, v3, vcc
	s_waitcnt lgkmcnt(0)
	global_store_short v[2:3], v30, off offset:3584
.LBB77_142:
	s_or_b64 exec, exec, s[2:3]
	s_load_dword s0, s[0:1], 0x40
	s_waitcnt lgkmcnt(0)
	s_bfe_u32 s0, s0, 0x10008
	s_cmp_eq_u32 s0, 0
	s_cbranch_scc1 .LBB77_150
; %bb.143:
	s_add_u32 s0, s30, -1
	s_addc_u32 s1, s31, -1
	s_add_u32 s2, 0, 0xaaaa0000
	s_addc_u32 s3, 0, 42
	s_add_i32 s3, s3, 0xaaaaa80
	s_mul_hi_u32 s9, s2, 0xffffffe8
	s_sub_i32 s9, s9, s2
	s_mul_i32 s10, s3, 0xffffffe8
	s_mul_i32 s4, s2, 0xffffffe8
	s_add_i32 s9, s9, s10
	s_mul_hi_u32 s5, s3, s4
	s_mul_i32 s8, s3, s4
	s_mul_i32 s11, s2, s9
	s_mul_hi_u32 s4, s2, s4
	s_mul_hi_u32 s10, s2, s9
	s_add_u32 s4, s4, s11
	s_addc_u32 s10, 0, s10
	s_add_u32 s4, s4, s8
	s_mul_hi_u32 s11, s3, s9
	s_addc_u32 s4, s10, s5
	s_addc_u32 s5, s11, 0
	s_mul_i32 s8, s3, s9
	s_add_u32 s4, s4, s8
	v_mov_b32_e32 v2, s4
	s_addc_u32 s5, 0, s5
	v_add_co_u32_e32 v2, vcc, s2, v2
	s_cmp_lg_u64 vcc, 0
	s_addc_u32 s2, s3, s5
	v_readfirstlane_b32 s5, v2
	s_mul_i32 s4, s0, s2
	s_mul_hi_u32 s8, s0, s5
	s_mul_hi_u32 s3, s0, s2
	s_add_u32 s4, s8, s4
	s_addc_u32 s3, 0, s3
	s_mul_hi_u32 s9, s1, s5
	s_mul_i32 s5, s1, s5
	s_add_u32 s4, s4, s5
	s_mul_hi_u32 s8, s1, s2
	s_addc_u32 s3, s3, s9
	s_addc_u32 s4, s8, 0
	s_mul_i32 s2, s1, s2
	s_add_u32 s2, s3, s2
	s_addc_u32 s3, 0, s4
	s_add_u32 s4, s2, 1
	s_addc_u32 s5, s3, 0
	s_add_u32 s8, s2, 2
	s_mul_i32 s10, s3, 24
	s_mul_hi_u32 s11, s2, 24
	s_addc_u32 s9, s3, 0
	s_add_i32 s11, s11, s10
	s_mul_i32 s10, s2, 24
	v_mov_b32_e32 v2, s10
	v_sub_co_u32_e32 v2, vcc, s0, v2
	s_cmp_lg_u64 vcc, 0
	s_subb_u32 s10, s1, s11
	v_subrev_co_u32_e32 v3, vcc, 24, v2
	s_cmp_lg_u64 vcc, 0
	s_subb_u32 s11, s10, 0
	v_readfirstlane_b32 s12, v3
	s_cmp_gt_u32 s12, 23
	s_cselect_b32 s12, -1, 0
	s_cmp_eq_u32 s11, 0
	s_cselect_b32 s11, s12, -1
	s_cmp_lg_u32 s11, 0
	s_cselect_b32 s4, s8, s4
	v_readfirstlane_b32 s8, v2
	s_cselect_b32 s5, s9, s5
	s_cmp_gt_u32 s8, 23
	s_cselect_b32 s8, -1, 0
	s_cmp_eq_u32 s10, 0
	s_cselect_b32 s8, s8, -1
	s_cmp_lg_u32 s8, 0
	v_mov_b32_e32 v1, v15
	s_cselect_b32 s3, s5, s3
	s_cselect_b32 s2, s4, s2
	v_cmp_eq_u64_e32 vcc, s[2:3], v[0:1]
	s_and_saveexec_b64 s[2:3], vcc
	s_cbranch_execz .LBB77_150
; %bb.144:
	v_mul_hi_u32_u24_e32 v1, 24, v0
	v_mov_b32_e32 v2, s1
	v_sub_co_u32_e32 v0, vcc, s0, v22
	s_mov_b64 s[0:1], 0
	s_nop 0
	v_subb_co_u32_e32 v1, vcc, v2, v1, vcc
	v_cmp_lt_i64_e32 vcc, 11, v[0:1]
	s_mov_b64 s[10:11], 0
	s_mov_b64 s[8:9], 0
	;; [unrolled: 1-line block ×3, first 2 shown]
	s_and_saveexec_b64 s[2:3], vcc
	s_xor_b64 s[2:3], exec, s[2:3]
	s_cbranch_execnz .LBB77_151
; %bb.145:
	s_andn2_saveexec_b64 s[2:3], s[2:3]
	s_cbranch_execnz .LBB77_196
.LBB77_146:
	s_or_b64 exec, exec, s[2:3]
	s_and_saveexec_b64 s[2:3], s[10:11]
	s_cbranch_execnz .LBB77_213
.LBB77_147:
	s_or_b64 exec, exec, s[2:3]
	s_and_saveexec_b64 s[2:3], s[8:9]
	s_cbranch_execnz .LBB77_214
.LBB77_148:
	s_or_b64 exec, exec, s[2:3]
	s_and_saveexec_b64 s[2:3], s[4:5]
	s_xor_b64 s[2:3], exec, s[2:3]
	s_cbranch_execnz .LBB77_215
.LBB77_149:
	s_or_b64 exec, exec, s[2:3]
	s_and_b64 exec, exec, s[0:1]
	s_cbranch_execnz .LBB77_216
.LBB77_150:
	s_endpgm
.LBB77_151:
	v_cmp_lt_i64_e32 vcc, 17, v[0:1]
	s_and_saveexec_b64 s[12:13], vcc
	s_xor_b64 s[12:13], exec, s[12:13]
	s_cbranch_execz .LBB77_173
; %bb.152:
	v_cmp_lt_i64_e32 vcc, 20, v[0:1]
                                        ; implicit-def: $vgpr10
	s_and_saveexec_b64 s[14:15], vcc
	s_xor_b64 s[14:15], exec, s[14:15]
	s_cbranch_execz .LBB77_162
; %bb.153:
	v_cmp_lt_i64_e32 vcc, 21, v[0:1]
	s_mov_b64 s[16:17], 0
                                        ; implicit-def: $vgpr10
	s_and_saveexec_b64 s[4:5], vcc
	s_xor_b64 s[4:5], exec, s[4:5]
	s_cbranch_execz .LBB77_159
; %bb.154:
	v_cmp_lt_i64_e32 vcc, 22, v[0:1]
	s_and_saveexec_b64 s[16:17], vcc
	s_xor_b64 s[16:17], exec, s[16:17]
	s_cbranch_execz .LBB77_156
; %bb.155:
	v_mov_b32_e32 v2, 0
	global_store_short v2, v30, s[6:7]
                                        ; implicit-def: $vgpr29
.LBB77_156:
	s_or_saveexec_b64 s[16:17], s[16:17]
	s_mov_b64 s[18:19], 0
	s_xor_b64 exec, exec, s[16:17]
; %bb.157:
	s_mov_b64 s[18:19], exec
; %bb.158:
	s_or_b64 exec, exec, s[16:17]
	s_and_b64 s[16:17], s[18:19], exec
	v_mov_b32_e32 v10, v29
                                        ; implicit-def: $vgpr11
.LBB77_159:
	s_andn2_saveexec_b64 s[4:5], s[4:5]
; %bb.160:
	s_mov_b64 s[8:9], exec
                                        ; implicit-def: $vgpr10
; %bb.161:
	s_or_b64 exec, exec, s[4:5]
	s_and_b64 s[4:5], s[16:17], exec
	s_and_b64 s[8:9], s[8:9], exec
                                        ; implicit-def: $vgpr27
                                        ; implicit-def: $vgpr12
                                        ; implicit-def: $vgpr24
.LBB77_162:
	s_andn2_saveexec_b64 s[14:15], s[14:15]
	s_cbranch_execz .LBB77_172
; %bb.163:
	v_cmp_lt_i64_e32 vcc, 18, v[0:1]
	s_mov_b64 s[16:17], 0
	s_and_saveexec_b64 s[10:11], vcc
	s_xor_b64 s[10:11], exec, s[10:11]
	s_cbranch_execz .LBB77_169
; %bb.164:
	v_cmp_lt_i64_e32 vcc, 19, v[0:1]
	s_and_saveexec_b64 s[18:19], vcc
	s_xor_b64 s[18:19], exec, s[18:19]
; %bb.165:
	s_mov_b64 s[16:17], exec
                                        ; implicit-def: $vgpr24
; %bb.166:
	s_andn2_saveexec_b64 s[18:19], s[18:19]
	s_cbranch_execz .LBB77_168
; %bb.167:
	v_mov_b32_e32 v2, 0
	global_store_short v2, v24, s[6:7]
                                        ; implicit-def: $vgpr12
.LBB77_168:
	s_or_b64 exec, exec, s[18:19]
	s_and_b64 s[16:17], s[16:17], exec
                                        ; implicit-def: $vgpr27
.LBB77_169:
	s_andn2_saveexec_b64 s[10:11], s[10:11]
	s_cbranch_execz .LBB77_171
; %bb.170:
	v_mov_b32_e32 v2, 0
	global_store_short v2, v27, s[6:7]
                                        ; implicit-def: $vgpr12
.LBB77_171:
	s_or_b64 exec, exec, s[10:11]
	s_and_b64 s[10:11], s[16:17], exec
                                        ; implicit-def: $vgpr10
                                        ; implicit-def: $vgpr11
.LBB77_172:
	s_or_b64 exec, exec, s[14:15]
	s_and_b64 s[4:5], s[4:5], exec
	s_and_b64 s[8:9], s[8:9], exec
	;; [unrolled: 1-line block ×3, first 2 shown]
                                        ; implicit-def: $vgpr20
                                        ; implicit-def: $vgpr13
                                        ; implicit-def: $vgpr16
                                        ; implicit-def: $vgpr25
                                        ; implicit-def: $vgpr28
.LBB77_173:
	s_andn2_saveexec_b64 s[12:13], s[12:13]
	s_cbranch_execz .LBB77_195
; %bb.174:
	v_cmp_lt_i64_e32 vcc, 14, v[0:1]
	s_mov_b64 s[14:15], s[4:5]
	s_and_saveexec_b64 s[16:17], vcc
	s_xor_b64 s[16:17], exec, s[16:17]
	s_cbranch_execz .LBB77_184
; %bb.175:
	v_cmp_lt_i64_e32 vcc, 15, v[0:1]
	s_and_saveexec_b64 s[14:15], vcc
	s_xor_b64 s[14:15], exec, s[14:15]
	s_cbranch_execz .LBB77_181
; %bb.176:
	v_cmp_lt_i64_e32 vcc, 16, v[0:1]
	s_and_saveexec_b64 s[18:19], vcc
	s_xor_b64 s[18:19], exec, s[18:19]
	s_cbranch_execz .LBB77_178
; %bb.177:
	v_mov_b32_e32 v2, 0
	global_store_short v2, v28, s[6:7]
                                        ; implicit-def: $vgpr25
.LBB77_178:
	s_andn2_saveexec_b64 s[18:19], s[18:19]
	s_cbranch_execz .LBB77_180
; %bb.179:
	v_mov_b32_e32 v2, 0
	global_store_short v2, v25, s[6:7]
.LBB77_180:
	s_or_b64 exec, exec, s[18:19]
                                        ; implicit-def: $vgpr10
.LBB77_181:
	s_or_saveexec_b64 s[14:15], s[14:15]
	s_mov_b64 s[18:19], s[4:5]
	s_xor_b64 exec, exec, s[14:15]
; %bb.182:
	s_or_b64 s[18:19], s[4:5], exec
; %bb.183:
	s_or_b64 exec, exec, s[14:15]
	s_andn2_b64 s[14:15], s[4:5], exec
	s_and_b64 s[18:19], s[18:19], exec
	s_or_b64 s[14:15], s[14:15], s[18:19]
                                        ; implicit-def: $vgpr20
                                        ; implicit-def: $vgpr13
                                        ; implicit-def: $vgpr16
.LBB77_184:
	s_or_saveexec_b64 s[16:17], s[16:17]
	s_mov_b64 s[18:19], s[8:9]
                                        ; implicit-def: $vgpr11
	s_xor_b64 exec, exec, s[16:17]
	s_cbranch_execz .LBB77_194
; %bb.185:
	v_cmp_lt_i64_e32 vcc, 12, v[0:1]
	s_mov_b64 s[20:21], s[8:9]
	s_mov_b64 s[22:23], s[14:15]
                                        ; implicit-def: $vgpr10
                                        ; implicit-def: $vgpr11
	s_and_saveexec_b64 s[18:19], vcc
	s_xor_b64 s[18:19], exec, s[18:19]
	s_cbranch_execz .LBB77_191
; %bb.186:
	v_cmp_lt_i64_e32 vcc, 13, v[0:1]
	s_mov_b64 s[20:21], s[14:15]
	s_and_saveexec_b64 s[22:23], vcc
	s_xor_b64 s[22:23], exec, s[22:23]
; %bb.187:
	s_or_b64 s[20:21], s[14:15], exec
                                        ; implicit-def: $vgpr13
; %bb.188:
	s_or_saveexec_b64 s[22:23], s[22:23]
	s_mov_b64 s[24:25], s[8:9]
	s_xor_b64 exec, exec, s[22:23]
; %bb.189:
	s_or_b64 s[24:25], s[8:9], exec
                                        ; implicit-def: $vgpr16
; %bb.190:
	s_or_b64 exec, exec, s[22:23]
	s_andn2_b64 s[22:23], s[14:15], exec
	s_and_b64 s[20:21], s[20:21], exec
	s_or_b64 s[22:23], s[22:23], s[20:21]
	s_andn2_b64 s[20:21], s[8:9], exec
	s_and_b64 s[24:25], s[24:25], exec
	s_or_b64 s[20:21], s[20:21], s[24:25]
	v_mov_b32_e32 v10, v16
	v_mov_b32_e32 v11, v13
                                        ; implicit-def: $vgpr20
.LBB77_191:
	s_andn2_saveexec_b64 s[18:19], s[18:19]
; %bb.192:
	s_or_b64 s[20:21], s[20:21], exec
                                        ; implicit-def: $vgpr10
	v_mov_b32_e32 v11, v20
; %bb.193:
	s_or_b64 exec, exec, s[18:19]
	s_andn2_b64 s[14:15], s[14:15], exec
	s_and_b64 s[18:19], s[22:23], exec
	s_or_b64 s[14:15], s[14:15], s[18:19]
	s_andn2_b64 s[18:19], s[8:9], exec
	s_and_b64 s[20:21], s[20:21], exec
	s_or_b64 s[18:19], s[18:19], s[20:21]
.LBB77_194:
	s_or_b64 exec, exec, s[16:17]
	s_andn2_b64 s[4:5], s[4:5], exec
	s_and_b64 s[14:15], s[14:15], exec
	s_or_b64 s[4:5], s[4:5], s[14:15]
	s_andn2_b64 s[8:9], s[8:9], exec
	s_and_b64 s[14:15], s[18:19], exec
	s_or_b64 s[8:9], s[8:9], s[14:15]
                                        ; implicit-def: $vgpr12
.LBB77_195:
	s_or_b64 exec, exec, s[12:13]
	s_and_b64 s[4:5], s[4:5], exec
	s_and_b64 s[8:9], s[8:9], exec
	;; [unrolled: 1-line block ×3, first 2 shown]
                                        ; implicit-def: $vgpr19
                                        ; implicit-def: $vgpr17
                                        ; implicit-def: $vgpr18
                                        ; implicit-def: $vgpr26
                                        ; implicit-def: $vgpr23
                                        ; implicit-def: $vgpr21
	s_andn2_saveexec_b64 s[2:3], s[2:3]
	s_cbranch_execz .LBB77_146
.LBB77_196:
	v_cmp_lt_i64_e32 vcc, 5, v[0:1]
	s_mov_b64 s[14:15], -1
	s_mov_b64 s[12:13], s[10:11]
	s_mov_b64 s[16:17], s[8:9]
	;; [unrolled: 1-line block ×3, first 2 shown]
                                        ; implicit-def: $vgpr10
                                        ; implicit-def: $vgpr11
                                        ; implicit-def: $vgpr12
	s_and_saveexec_b64 s[0:1], vcc
	s_cbranch_execz .LBB77_212
; %bb.197:
	v_cmp_lt_i64_e32 vcc, 8, v[0:1]
	s_mov_b64 s[12:13], s[10:11]
                                        ; implicit-def: $vgpr12
	s_and_saveexec_b64 s[14:15], vcc
	s_xor_b64 s[14:15], exec, s[14:15]
	s_cbranch_execz .LBB77_207
; %bb.198:
	v_cmp_lt_i64_e32 vcc, 9, v[0:1]
	s_and_saveexec_b64 s[12:13], vcc
	s_xor_b64 s[12:13], exec, s[12:13]
	s_cbranch_execz .LBB77_204
; %bb.199:
	v_cmp_lt_i64_e32 vcc, 10, v[0:1]
	s_and_saveexec_b64 s[16:17], vcc
	s_xor_b64 s[16:17], exec, s[16:17]
; %bb.200:
                                        ; implicit-def: $vgpr23
; %bb.201:
	s_andn2_saveexec_b64 s[16:17], s[16:17]
; %bb.202:
	v_mov_b32_e32 v21, v23
; %bb.203:
	s_or_b64 exec, exec, s[16:17]
                                        ; implicit-def: $vgpr26
.LBB77_204:
	s_andn2_saveexec_b64 s[12:13], s[12:13]
; %bb.205:
	v_mov_b32_e32 v21, v26
; %bb.206:
	s_or_b64 exec, exec, s[12:13]
	s_or_b64 s[12:13], s[10:11], exec
	v_mov_b32_e32 v12, v21
                                        ; implicit-def: $vgpr19
                                        ; implicit-def: $vgpr17
                                        ; implicit-def: $vgpr18
.LBB77_207:
	s_or_saveexec_b64 s[14:15], s[14:15]
	s_mov_b64 s[16:17], s[8:9]
	s_mov_b64 s[20:21], s[4:5]
                                        ; implicit-def: $vgpr10
                                        ; implicit-def: $vgpr11
	s_xor_b64 exec, exec, s[14:15]
	s_cbranch_execz .LBB77_211
; %bb.208:
	v_cmp_lt_i64_e32 vcc, 6, v[0:1]
	s_mov_b64 s[20:21], -1
	s_mov_b64 s[18:19], s[12:13]
	s_mov_b64 s[16:17], s[8:9]
	s_and_saveexec_b64 s[22:23], vcc
; %bb.209:
	v_cmp_lt_i64_e32 vcc, 7, v[0:1]
	s_andn2_b64 s[18:19], s[12:13], exec
	s_and_b64 s[24:25], vcc, exec
	s_xor_b64 s[20:21], exec, -1
	s_or_b64 s[16:17], s[8:9], exec
	s_or_b64 s[18:19], s[18:19], s[24:25]
                                        ; implicit-def: $vgpr19
; %bb.210:
	s_or_b64 exec, exec, s[22:23]
	s_andn2_b64 s[22:23], s[4:5], exec
	s_and_b64 s[20:21], s[20:21], exec
	s_or_b64 s[20:21], s[22:23], s[20:21]
	s_andn2_b64 s[22:23], s[8:9], exec
	s_and_b64 s[16:17], s[16:17], exec
	s_andn2_b64 s[12:13], s[12:13], exec
	s_and_b64 s[18:19], s[18:19], exec
	s_or_b64 s[16:17], s[22:23], s[16:17]
	s_or_b64 s[12:13], s[12:13], s[18:19]
	v_mov_b32_e32 v10, v19
	v_mov_b32_e32 v11, v17
	;; [unrolled: 1-line block ×3, first 2 shown]
.LBB77_211:
	s_or_b64 exec, exec, s[14:15]
	s_andn2_b64 s[18:19], s[4:5], exec
	s_and_b64 s[20:21], s[20:21], exec
	s_or_b64 s[18:19], s[18:19], s[20:21]
	s_andn2_b64 s[20:21], s[8:9], exec
	s_and_b64 s[16:17], s[16:17], exec
	s_or_b64 s[16:17], s[20:21], s[16:17]
	s_andn2_b64 s[20:21], s[10:11], exec
	s_and_b64 s[12:13], s[12:13], exec
	s_xor_b64 s[14:15], exec, -1
	s_or_b64 s[12:13], s[20:21], s[12:13]
.LBB77_212:
	s_or_b64 exec, exec, s[0:1]
	s_and_b64 s[0:1], s[14:15], exec
	s_andn2_b64 s[4:5], s[4:5], exec
	s_and_b64 s[14:15], s[18:19], exec
	s_or_b64 s[4:5], s[4:5], s[14:15]
	s_andn2_b64 s[8:9], s[8:9], exec
	s_and_b64 s[14:15], s[16:17], exec
	s_andn2_b64 s[10:11], s[10:11], exec
	s_and_b64 s[12:13], s[12:13], exec
	s_or_b64 s[8:9], s[8:9], s[14:15]
	s_or_b64 s[10:11], s[10:11], s[12:13]
	s_or_b64 exec, exec, s[2:3]
	s_and_saveexec_b64 s[2:3], s[10:11]
	s_cbranch_execz .LBB77_147
.LBB77_213:
	v_mov_b32_e32 v2, 0
	s_andn2_b64 s[8:9], s[8:9], exec
	global_store_short v2, v12, s[6:7]
                                        ; implicit-def: $vgpr10
                                        ; implicit-def: $vgpr11
	s_or_b64 exec, exec, s[2:3]
	s_and_saveexec_b64 s[2:3], s[8:9]
	s_cbranch_execz .LBB77_148
.LBB77_214:
	v_mov_b32_e32 v2, 0
	global_store_short v2, v11, s[6:7]
                                        ; implicit-def: $vgpr10
	s_or_b64 exec, exec, s[2:3]
	s_and_saveexec_b64 s[2:3], s[4:5]
	s_xor_b64 s[2:3], exec, s[2:3]
	s_cbranch_execz .LBB77_149
.LBB77_215:
	v_mov_b32_e32 v2, 0
	global_store_short v2, v10, s[6:7]
	s_or_b64 exec, exec, s[2:3]
	s_and_b64 exec, exec, s[0:1]
	s_cbranch_execz .LBB77_150
.LBB77_216:
	v_cmp_lt_i64_e32 vcc, 2, v[0:1]
	s_and_saveexec_b64 s[0:1], vcc
	s_xor_b64 s[0:1], exec, s[0:1]
	s_cbranch_execz .LBB77_226
; %bb.217:
	v_cmp_lt_i64_e32 vcc, 3, v[0:1]
	s_and_saveexec_b64 s[2:3], vcc
	s_xor_b64 s[2:3], exec, s[2:3]
	s_cbranch_execz .LBB77_223
; %bb.218:
	;; [unrolled: 5-line block ×3, first 2 shown]
	v_mov_b32_e32 v0, 0
	global_store_short v0, v9, s[6:7]
                                        ; implicit-def: $vgpr6
.LBB77_220:
	s_andn2_saveexec_b64 s[4:5], s[4:5]
	s_cbranch_execz .LBB77_222
; %bb.221:
	v_mov_b32_e32 v0, 0
	global_store_short v0, v6, s[6:7]
.LBB77_222:
	s_or_b64 exec, exec, s[4:5]
                                        ; implicit-def: $vgpr8
.LBB77_223:
	s_andn2_saveexec_b64 s[2:3], s[2:3]
	s_cbranch_execz .LBB77_225
; %bb.224:
	v_mov_b32_e32 v0, 0
	global_store_short v0, v8, s[6:7]
.LBB77_225:
	s_or_b64 exec, exec, s[2:3]
                                        ; implicit-def: $vgpr0_vgpr1
                                        ; implicit-def: $vgpr7
                                        ; implicit-def: $vgpr4
                                        ; implicit-def: $vgpr5
.LBB77_226:
	s_andn2_saveexec_b64 s[0:1], s[0:1]
	s_cbranch_execz .LBB77_150
; %bb.227:
	v_cmp_lt_i64_e32 vcc, 1, v[0:1]
	s_and_saveexec_b64 s[0:1], vcc
	s_xor_b64 s[0:1], exec, s[0:1]
	s_cbranch_execz .LBB77_229
; %bb.228:
	v_mov_b32_e32 v0, 0
	global_store_short v0, v7, s[6:7]
                                        ; implicit-def: $vgpr4
                                        ; implicit-def: $vgpr0_vgpr1
                                        ; implicit-def: $vgpr5
.LBB77_229:
	s_andn2_saveexec_b64 s[0:1], s[0:1]
	s_cbranch_execz .LBB77_150
; %bb.230:
	v_cmp_ne_u64_e32 vcc, 1, v[0:1]
	s_and_saveexec_b64 s[0:1], vcc
	s_xor_b64 s[0:1], exec, s[0:1]
	s_cbranch_execz .LBB77_232
; %bb.231:
	v_mov_b32_e32 v0, 0
	global_store_short v0, v5, s[6:7]
                                        ; implicit-def: $vgpr4
.LBB77_232:
	s_andn2_saveexec_b64 s[0:1], s[0:1]
	s_cbranch_execz .LBB77_150
; %bb.233:
	v_mov_b32_e32 v0, 0
	global_store_short v0, v4, s[6:7]
	s_endpgm
	.section	.rodata,"a",@progbits
	.p2align	6, 0x0
	.amdhsa_kernel _ZN7rocprim6detail20lookback_scan_kernelILNS0_25lookback_scan_determinismE0ELb1ENS0_19wrapped_scan_configINS_14default_configE6__halfEEPS5_S7_N6hipcub3MaxES5_S5_NS0_19lookback_scan_stateIS5_Lb0ELb1EEEEEvT2_T3_mT5_T4_T7_jPT6_SI_bb
		.amdhsa_group_segment_fixed_size 12288
		.amdhsa_private_segment_fixed_size 0
		.amdhsa_kernarg_size 68
		.amdhsa_user_sgpr_count 2
		.amdhsa_user_sgpr_dispatch_ptr 0
		.amdhsa_user_sgpr_queue_ptr 0
		.amdhsa_user_sgpr_kernarg_segment_ptr 1
		.amdhsa_user_sgpr_dispatch_id 0
		.amdhsa_user_sgpr_kernarg_preload_length 0
		.amdhsa_user_sgpr_kernarg_preload_offset 0
		.amdhsa_user_sgpr_private_segment_size 0
		.amdhsa_uses_dynamic_stack 0
		.amdhsa_enable_private_segment 0
		.amdhsa_system_sgpr_workgroup_id_x 1
		.amdhsa_system_sgpr_workgroup_id_y 0
		.amdhsa_system_sgpr_workgroup_id_z 0
		.amdhsa_system_sgpr_workgroup_info 0
		.amdhsa_system_vgpr_workitem_id 0
		.amdhsa_next_free_vgpr 59
		.amdhsa_next_free_sgpr 32
		.amdhsa_accum_offset 60
		.amdhsa_reserve_vcc 1
		.amdhsa_float_round_mode_32 0
		.amdhsa_float_round_mode_16_64 0
		.amdhsa_float_denorm_mode_32 3
		.amdhsa_float_denorm_mode_16_64 3
		.amdhsa_dx10_clamp 1
		.amdhsa_ieee_mode 1
		.amdhsa_fp16_overflow 0
		.amdhsa_tg_split 0
		.amdhsa_exception_fp_ieee_invalid_op 0
		.amdhsa_exception_fp_denorm_src 0
		.amdhsa_exception_fp_ieee_div_zero 0
		.amdhsa_exception_fp_ieee_overflow 0
		.amdhsa_exception_fp_ieee_underflow 0
		.amdhsa_exception_fp_ieee_inexact 0
		.amdhsa_exception_int_div_zero 0
	.end_amdhsa_kernel
	.section	.text._ZN7rocprim6detail20lookback_scan_kernelILNS0_25lookback_scan_determinismE0ELb1ENS0_19wrapped_scan_configINS_14default_configE6__halfEEPS5_S7_N6hipcub3MaxES5_S5_NS0_19lookback_scan_stateIS5_Lb0ELb1EEEEEvT2_T3_mT5_T4_T7_jPT6_SI_bb,"axG",@progbits,_ZN7rocprim6detail20lookback_scan_kernelILNS0_25lookback_scan_determinismE0ELb1ENS0_19wrapped_scan_configINS_14default_configE6__halfEEPS5_S7_N6hipcub3MaxES5_S5_NS0_19lookback_scan_stateIS5_Lb0ELb1EEEEEvT2_T3_mT5_T4_T7_jPT6_SI_bb,comdat
.Lfunc_end77:
	.size	_ZN7rocprim6detail20lookback_scan_kernelILNS0_25lookback_scan_determinismE0ELb1ENS0_19wrapped_scan_configINS_14default_configE6__halfEEPS5_S7_N6hipcub3MaxES5_S5_NS0_19lookback_scan_stateIS5_Lb0ELb1EEEEEvT2_T3_mT5_T4_T7_jPT6_SI_bb, .Lfunc_end77-_ZN7rocprim6detail20lookback_scan_kernelILNS0_25lookback_scan_determinismE0ELb1ENS0_19wrapped_scan_configINS_14default_configE6__halfEEPS5_S7_N6hipcub3MaxES5_S5_NS0_19lookback_scan_stateIS5_Lb0ELb1EEEEEvT2_T3_mT5_T4_T7_jPT6_SI_bb
                                        ; -- End function
	.section	.AMDGPU.csdata,"",@progbits
; Kernel info:
; codeLenInByte = 9804
; NumSgprs: 38
; NumVgprs: 59
; NumAgprs: 0
; TotalNumVgprs: 59
; ScratchSize: 0
; MemoryBound: 0
; FloatMode: 240
; IeeeMode: 1
; LDSByteSize: 12288 bytes/workgroup (compile time only)
; SGPRBlocks: 4
; VGPRBlocks: 7
; NumSGPRsForWavesPerEU: 38
; NumVGPRsForWavesPerEU: 59
; AccumOffset: 60
; Occupancy: 5
; WaveLimiterHint : 1
; COMPUTE_PGM_RSRC2:SCRATCH_EN: 0
; COMPUTE_PGM_RSRC2:USER_SGPR: 2
; COMPUTE_PGM_RSRC2:TRAP_HANDLER: 0
; COMPUTE_PGM_RSRC2:TGID_X_EN: 1
; COMPUTE_PGM_RSRC2:TGID_Y_EN: 0
; COMPUTE_PGM_RSRC2:TGID_Z_EN: 0
; COMPUTE_PGM_RSRC2:TIDIG_COMP_CNT: 0
; COMPUTE_PGM_RSRC3_GFX90A:ACCUM_OFFSET: 14
; COMPUTE_PGM_RSRC3_GFX90A:TG_SPLIT: 0
	.section	.text._ZN7rocprim6detail18single_scan_kernelILb1ENS0_19wrapped_scan_configINS_14default_configE6__halfEEPS4_S6_N6hipcub3MaxES4_S4_EEvT1_mT4_T2_T3_,"axG",@progbits,_ZN7rocprim6detail18single_scan_kernelILb1ENS0_19wrapped_scan_configINS_14default_configE6__halfEEPS4_S6_N6hipcub3MaxES4_S4_EEvT1_mT4_T2_T3_,comdat
	.protected	_ZN7rocprim6detail18single_scan_kernelILb1ENS0_19wrapped_scan_configINS_14default_configE6__halfEEPS4_S6_N6hipcub3MaxES4_S4_EEvT1_mT4_T2_T3_ ; -- Begin function _ZN7rocprim6detail18single_scan_kernelILb1ENS0_19wrapped_scan_configINS_14default_configE6__halfEEPS4_S6_N6hipcub3MaxES4_S4_EEvT1_mT4_T2_T3_
	.globl	_ZN7rocprim6detail18single_scan_kernelILb1ENS0_19wrapped_scan_configINS_14default_configE6__halfEEPS4_S6_N6hipcub3MaxES4_S4_EEvT1_mT4_T2_T3_
	.p2align	8
	.type	_ZN7rocprim6detail18single_scan_kernelILb1ENS0_19wrapped_scan_configINS_14default_configE6__halfEEPS4_S6_N6hipcub3MaxES4_S4_EEvT1_mT4_T2_T3_,@function
_ZN7rocprim6detail18single_scan_kernelILb1ENS0_19wrapped_scan_configINS_14default_configE6__halfEEPS4_S6_N6hipcub3MaxES4_S4_EEvT1_mT4_T2_T3_: ; @_ZN7rocprim6detail18single_scan_kernelILb1ENS0_19wrapped_scan_configINS_14default_configE6__halfEEPS4_S6_N6hipcub3MaxES4_S4_EEvT1_mT4_T2_T3_
; %bb.0:
	s_load_dwordx4 s[48:51], s[0:1], 0x0
	v_mov_b32_e32 v15, 0
	v_lshlrev_b32_e32 v14, 1, v0
	s_waitcnt lgkmcnt(0)
	global_load_ushort v1, v15, s[48:49]
	v_lshl_add_u64 v[2:3], s[48:49], 0, v[14:15]
	v_cmp_gt_u32_e64 s[48:49], s50, v0
	s_waitcnt vmcnt(0)
	v_mov_b32_e32 v4, v1
	s_and_saveexec_b64 s[2:3], s[48:49]
	s_cbranch_execz .LBB78_2
; %bb.1:
	global_load_ushort v4, v[2:3], off
.LBB78_2:
	s_or_b64 exec, exec, s[2:3]
	v_or_b32_e32 v5, 0x100, v0
	v_cmp_gt_u32_e64 s[2:3], s50, v5
	v_mov_b32_e32 v5, v1
	s_and_saveexec_b64 s[4:5], s[2:3]
	s_cbranch_execz .LBB78_4
; %bb.3:
	global_load_ushort v5, v[2:3], off offset:512
.LBB78_4:
	s_or_b64 exec, exec, s[4:5]
	v_or_b32_e32 v6, 0x200, v0
	v_cmp_gt_u32_e64 s[4:5], s50, v6
	v_mov_b32_e32 v6, v1
	s_and_saveexec_b64 s[6:7], s[4:5]
	s_cbranch_execz .LBB78_6
; %bb.5:
	global_load_ushort v6, v[2:3], off offset:1024
.LBB78_6:
	;; [unrolled: 9-line block ×7, first 2 shown]
	s_or_b64 exec, exec, s[16:17]
	v_or_b32_e32 v12, 0x800, v0
	v_cmp_gt_u32_e64 s[16:17], s50, v12
	v_mov_b32_e32 v12, v1
	s_and_saveexec_b64 s[18:19], s[16:17]
	s_cbranch_execz .LBB78_18
; %bb.17:
	v_add_co_u32_e32 v12, vcc, 0x1000, v2
	s_nop 1
	v_addc_co_u32_e32 v13, vcc, 0, v3, vcc
	global_load_ushort v12, v[12:13], off
.LBB78_18:
	s_or_b64 exec, exec, s[18:19]
	v_or_b32_e32 v13, 0x900, v0
	v_cmp_gt_u32_e64 s[18:19], s50, v13
	v_mov_b32_e32 v13, v1
	s_and_saveexec_b64 s[20:21], s[18:19]
	s_cbranch_execz .LBB78_20
; %bb.19:
	v_add_co_u32_e32 v16, vcc, 0x1000, v2
	s_nop 1
	v_addc_co_u32_e32 v17, vcc, 0, v3, vcc
	global_load_ushort v13, v[16:17], off offset:512
.LBB78_20:
	s_or_b64 exec, exec, s[20:21]
	v_or_b32_e32 v15, 0xa00, v0
	v_cmp_gt_u32_e64 s[20:21], s50, v15
	v_mov_b32_e32 v15, v1
	s_and_saveexec_b64 s[22:23], s[20:21]
	s_cbranch_execz .LBB78_22
; %bb.21:
	v_add_co_u32_e32 v16, vcc, 0x1000, v2
	s_nop 1
	v_addc_co_u32_e32 v17, vcc, 0, v3, vcc
	global_load_ushort v15, v[16:17], off offset:1024
.LBB78_22:
	;; [unrolled: 12-line block ×7, first 2 shown]
	s_or_b64 exec, exec, s[34:35]
	v_or_b32_e32 v21, 0x1000, v0
	v_cmp_gt_u32_e64 s[34:35], s50, v21
	v_mov_b32_e32 v21, v1
	s_and_saveexec_b64 s[36:37], s[34:35]
	s_cbranch_execz .LBB78_34
; %bb.33:
	v_add_co_u32_e32 v22, vcc, 0x2000, v2
	s_nop 1
	v_addc_co_u32_e32 v23, vcc, 0, v3, vcc
	global_load_ushort v21, v[22:23], off
.LBB78_34:
	s_or_b64 exec, exec, s[36:37]
	v_or_b32_e32 v22, 0x1100, v0
	v_cmp_gt_u32_e64 s[36:37], s50, v22
	v_mov_b32_e32 v22, v1
	s_and_saveexec_b64 s[38:39], s[36:37]
	s_cbranch_execz .LBB78_36
; %bb.35:
	v_add_co_u32_e32 v22, vcc, 0x2000, v2
	s_nop 1
	v_addc_co_u32_e32 v23, vcc, 0, v3, vcc
	global_load_ushort v22, v[22:23], off offset:512
.LBB78_36:
	s_or_b64 exec, exec, s[38:39]
	v_or_b32_e32 v23, 0x1200, v0
	v_cmp_gt_u32_e64 s[38:39], s50, v23
	v_mov_b32_e32 v23, v1
	s_and_saveexec_b64 s[40:41], s[38:39]
	s_cbranch_execz .LBB78_38
; %bb.37:
	v_add_co_u32_e32 v24, vcc, 0x2000, v2
	s_nop 1
	v_addc_co_u32_e32 v25, vcc, 0, v3, vcc
	global_load_ushort v23, v[24:25], off offset:1024
.LBB78_38:
	;; [unrolled: 12-line block ×6, first 2 shown]
	s_or_b64 exec, exec, s[52:53]
	v_or_b32_e32 v28, 0x1700, v0
	v_cmp_gt_u32_e64 s[50:51], s50, v28
	s_and_saveexec_b64 s[52:53], s[50:51]
	s_cbranch_execz .LBB78_48
; %bb.47:
	v_add_co_u32_e32 v2, vcc, 0x2000, v2
	s_nop 1
	v_addc_co_u32_e32 v3, vcc, 0, v3, vcc
	global_load_ushort v1, v[2:3], off offset:3584
.LBB78_48:
	s_or_b64 exec, exec, s[52:53]
	s_waitcnt vmcnt(0)
	ds_write_b16 v14, v4
	ds_write_b16 v14, v5 offset:512
	ds_write_b16 v14, v6 offset:1024
	;; [unrolled: 1-line block ×23, first 2 shown]
	v_mad_u32_u24 v1, v0, 46, v14
	s_waitcnt lgkmcnt(0)
	s_barrier
	ds_read_b128 v[10:13], v1
	ds_read_b128 v[6:9], v1 offset:16
	ds_read_b128 v[2:5], v1 offset:32
	s_load_dword s33, s[0:1], 0x10
	s_waitcnt lgkmcnt(0)
	s_barrier
	v_lshrrev_b32_e32 v25, 16, v10
	v_cmp_lt_f16_e32 vcc, v10, v25
	v_lshrrev_b32_e32 v24, 16, v11
	v_lshrrev_b32_e32 v23, 16, v12
	v_cndmask_b32_e32 v27, v10, v25, vcc
	v_cmp_lt_f16_e32 vcc, v27, v11
	v_lshrrev_b32_e32 v22, 16, v13
	v_lshrrev_b32_e32 v21, 16, v6
	v_cndmask_b32_e32 v27, v27, v11, vcc
	;; [unrolled: 4-line block ×5, first 2 shown]
	v_cmp_lt_f16_e32 vcc, v27, v13
	v_lshrrev_b32_e32 v26, 16, v5
	s_nop 0
	v_cndmask_b32_e32 v27, v27, v13, vcc
	v_cmp_lt_f16_e32 vcc, v27, v22
	s_nop 1
	v_cndmask_b32_e32 v27, v27, v22, vcc
	v_cmp_lt_f16_e32 vcc, v27, v6
	;; [unrolled: 3-line block ×17, first 2 shown]
	s_nop 1
	v_cndmask_b32_e32 v27, v27, v26, vcc
	v_mbcnt_lo_u32_b32 v26, -1, 0
	v_mbcnt_hi_u32_b32 v26, -1, v26
	v_and_b32_e32 v29, 0xffff, v27
	v_and_b32_e32 v28, 15, v26
	v_cmp_eq_u32_e32 vcc, 0, v28
	v_mov_b32_dpp v29, v29 row_shr:1 row_mask:0xf bank_mask:0xf
	v_cmp_gt_f16_e64 s[52:53], v27, v29
	s_or_b64 vcc, vcc, s[52:53]
	v_cndmask_b32_e32 v27, v29, v27, vcc
	v_and_b32_e32 v29, 0xffff, v27
	s_nop 1
	v_mov_b32_dpp v29, v29 row_shr:2 row_mask:0xf bank_mask:0xf
	v_cmp_gt_f16_e32 vcc, v27, v29
	s_nop 1
	v_cndmask_b32_e32 v29, v29, v27, vcc
	v_cmp_lt_u32_e32 vcc, 1, v28
	s_nop 1
	v_cndmask_b32_e32 v27, v27, v29, vcc
	v_and_b32_e32 v29, 0xffff, v27
	s_nop 1
	v_mov_b32_dpp v29, v29 row_shr:4 row_mask:0xf bank_mask:0xf
	v_cmp_gt_f16_e32 vcc, v27, v29
	s_nop 1
	v_cndmask_b32_e32 v29, v29, v27, vcc
	v_cmp_lt_u32_e32 vcc, 3, v28
	s_nop 1
	;; [unrolled: 9-line block ×3, first 2 shown]
	v_cndmask_b32_e32 v27, v27, v29, vcc
	v_and_b32_e32 v28, 0xffff, v27
	v_and_b32_e32 v29, 16, v26
	v_cmp_eq_u32_e32 vcc, 0, v29
	v_mov_b32_dpp v28, v28 row_bcast:15 row_mask:0xf bank_mask:0xf
	v_cmp_gt_f16_e64 s[52:53], v27, v28
	s_or_b64 vcc, vcc, s[52:53]
	v_cndmask_b32_e32 v27, v28, v27, vcc
	v_and_b32_e32 v28, 0xffff, v27
	v_or_b32_e32 v29, 63, v0
	s_nop 0
	v_mov_b32_dpp v28, v28 row_bcast:31 row_mask:0xf bank_mask:0xf
	v_cmp_gt_f16_e32 vcc, v27, v28
	s_nop 1
	v_cndmask_b32_e32 v28, v28, v27, vcc
	v_cmp_lt_u32_e32 vcc, 31, v26
	s_nop 1
	v_cndmask_b32_e32 v27, v27, v28, vcc
	v_lshrrev_b32_e32 v28, 6, v0
	v_cmp_eq_u32_e32 vcc, v29, v0
	s_and_saveexec_b64 s[52:53], vcc
	s_cbranch_execz .LBB78_50
; %bb.49:
	v_lshlrev_b32_e32 v29, 1, v28
	ds_write_b16 v29, v27
.LBB78_50:
	s_or_b64 exec, exec, s[52:53]
	v_cmp_gt_u32_e32 vcc, 4, v0
	s_waitcnt lgkmcnt(0)
	s_barrier
	s_and_saveexec_b64 s[54:55], vcc
	s_cbranch_execz .LBB78_52
; %bb.51:
	ds_read_u16 v29, v14
	v_and_b32_e32 v30, 3, v26
	v_cmp_eq_u32_e32 vcc, 0, v30
	s_waitcnt lgkmcnt(0)
	v_and_b32_e32 v31, 0xffff, v29
	s_nop 1
	v_mov_b32_dpp v31, v31 row_shr:1 row_mask:0xf bank_mask:0xf
	v_cmp_lt_f16_e64 s[52:53], v31, v29
	s_or_b64 vcc, vcc, s[52:53]
	v_cndmask_b32_e32 v29, v31, v29, vcc
	v_and_b32_e32 v31, 0xffff, v29
	s_nop 1
	v_mov_b32_dpp v31, v31 row_shr:2 row_mask:0xf bank_mask:0xf
	v_cmp_gt_f16_e32 vcc, v29, v31
	s_nop 1
	v_cndmask_b32_e32 v31, v31, v29, vcc
	v_cmp_lt_u32_e32 vcc, 1, v30
	s_nop 1
	v_cndmask_b32_e32 v29, v29, v31, vcc
	ds_write_b16 v14, v29
.LBB78_52:
	s_or_b64 exec, exec, s[54:55]
	v_cmp_lt_u32_e32 vcc, 63, v0
	v_mov_b32_e32 v29, s33
	s_waitcnt lgkmcnt(0)
	s_barrier
	s_and_saveexec_b64 s[52:53], vcc
	s_cbranch_execz .LBB78_54
; %bb.53:
	v_lshl_add_u32 v28, v28, 1, -2
	ds_read_u16 v28, v28
	v_mov_b32_e32 v29, s33
	s_waitcnt lgkmcnt(0)
	v_cmp_lt_f16_e32 vcc, s33, v28
	s_nop 1
	v_cndmask_b32_e32 v29, v29, v28, vcc
.LBB78_54:
	s_or_b64 exec, exec, s[52:53]
	v_cmp_lt_f16_e32 vcc, v29, v27
	v_add_u32_e32 v28, -1, v26
	v_and_b32_e32 v30, 64, v26
	v_cndmask_b32_e32 v27, v29, v27, vcc
	v_cmp_lt_i32_e32 vcc, v28, v30
	v_and_b32_e32 v27, 0xffff, v27
	s_nop 0
	v_cndmask_b32_e32 v28, v28, v26, vcc
	v_lshlrev_b32_e32 v28, 2, v28
	ds_bpermute_b32 v27, v28, v27
	v_cmp_eq_u32_e32 vcc, 0, v26
	s_barrier
	s_waitcnt lgkmcnt(0)
	s_load_dwordx2 s[0:1], s[0:1], 0x18
	v_cndmask_b32_e32 v26, v27, v29, vcc
	v_mov_b32_e32 v27, s33
	v_cmp_eq_u32_e32 vcc, 0, v0
	s_mov_b32 s33, 0x5040100
	s_nop 0
	v_cndmask_b32_e32 v26, v26, v27, vcc
	v_cmp_lt_f16_e32 vcc, v26, v10
	s_nop 1
	v_cndmask_b32_e32 v10, v26, v10, vcc
	v_cmp_lt_f16_e32 vcc, v10, v25
	;; [unrolled: 3-line block ×18, first 2 shown]
	v_perm_b32 v2, v10, v26, s33
	s_nop 0
	v_cndmask_b32_e32 v17, v27, v17, vcc
	v_cmp_lt_f16_e32 vcc, v17, v3
	s_nop 1
	v_cndmask_b32_e32 v28, v17, v3, vcc
	v_cmp_lt_f16_e32 vcc, v28, v16
	v_perm_b32 v3, v11, v25, s33
	s_nop 0
	v_cndmask_b32_e32 v16, v28, v16, vcc
	v_cmp_lt_f16_e32 vcc, v16, v4
	s_nop 1
	v_cndmask_b32_e32 v29, v16, v4, vcc
	v_cmp_lt_f16_e32 vcc, v29, v15
	v_perm_b32 v4, v12, v24, s33
	s_nop 0
	v_cndmask_b32_e32 v15, v29, v15, vcc
	v_cmp_lt_f16_e32 vcc, v15, v5
	s_nop 1
	v_cndmask_b32_e32 v30, v15, v5, vcc
	v_perm_b32 v5, v13, v23, s33
	ds_write_b128 v1, v[2:5]
	v_perm_b32 v5, v9, v19, s33
	v_perm_b32 v4, v8, v20, s33
	;; [unrolled: 1-line block ×4, first 2 shown]
	ds_write_b128 v1, v[2:5] offset:16
	v_perm_b32 v5, v30, v15, s33
	v_perm_b32 v4, v29, v16, s33
	;; [unrolled: 1-line block ×4, first 2 shown]
	s_movk_i32 s33, 0xffd2
	v_mad_i32_i24 v0, v0, s33, v1
	ds_write_b128 v1, v[2:5] offset:32
	s_waitcnt lgkmcnt(0)
	s_barrier
	ds_read_u16 v25, v0 offset:512
	ds_read_u16 v24, v0 offset:1024
	;; [unrolled: 1-line block ×23, first 2 shown]
	v_mov_b32_e32 v15, 0
	v_lshl_add_u64 v[0:1], s[0:1], 0, v[14:15]
	s_and_saveexec_b64 s[0:1], s[48:49]
	s_cbranch_execnz .LBB78_79
; %bb.55:
	s_or_b64 exec, exec, s[0:1]
	s_and_saveexec_b64 s[0:1], s[2:3]
	s_cbranch_execnz .LBB78_80
.LBB78_56:
	s_or_b64 exec, exec, s[0:1]
	s_and_saveexec_b64 s[0:1], s[4:5]
	s_cbranch_execnz .LBB78_81
.LBB78_57:
	s_or_b64 exec, exec, s[0:1]
	s_and_saveexec_b64 s[0:1], s[6:7]
	s_cbranch_execnz .LBB78_82
.LBB78_58:
	s_or_b64 exec, exec, s[0:1]
	s_and_saveexec_b64 s[0:1], s[8:9]
	s_cbranch_execnz .LBB78_83
.LBB78_59:
	s_or_b64 exec, exec, s[0:1]
	s_and_saveexec_b64 s[0:1], s[10:11]
	s_cbranch_execnz .LBB78_84
.LBB78_60:
	s_or_b64 exec, exec, s[0:1]
	s_and_saveexec_b64 s[0:1], s[12:13]
	s_cbranch_execnz .LBB78_85
.LBB78_61:
	s_or_b64 exec, exec, s[0:1]
	s_and_saveexec_b64 s[0:1], s[14:15]
	s_cbranch_execnz .LBB78_86
.LBB78_62:
	s_or_b64 exec, exec, s[0:1]
	s_and_saveexec_b64 s[0:1], s[16:17]
	s_cbranch_execnz .LBB78_87
.LBB78_63:
	s_or_b64 exec, exec, s[0:1]
	s_and_saveexec_b64 s[0:1], s[18:19]
	s_cbranch_execnz .LBB78_88
.LBB78_64:
	s_or_b64 exec, exec, s[0:1]
	s_and_saveexec_b64 s[0:1], s[20:21]
	s_cbranch_execnz .LBB78_89
.LBB78_65:
	s_or_b64 exec, exec, s[0:1]
	s_and_saveexec_b64 s[0:1], s[22:23]
	s_cbranch_execnz .LBB78_90
.LBB78_66:
	s_or_b64 exec, exec, s[0:1]
	s_and_saveexec_b64 s[0:1], s[24:25]
	s_cbranch_execnz .LBB78_91
.LBB78_67:
	s_or_b64 exec, exec, s[0:1]
	s_and_saveexec_b64 s[0:1], s[26:27]
	s_cbranch_execnz .LBB78_92
.LBB78_68:
	s_or_b64 exec, exec, s[0:1]
	s_and_saveexec_b64 s[0:1], s[28:29]
	s_cbranch_execnz .LBB78_93
.LBB78_69:
	s_or_b64 exec, exec, s[0:1]
	s_and_saveexec_b64 s[0:1], s[30:31]
	s_cbranch_execnz .LBB78_94
.LBB78_70:
	s_or_b64 exec, exec, s[0:1]
	s_and_saveexec_b64 s[0:1], s[34:35]
	s_cbranch_execnz .LBB78_95
.LBB78_71:
	s_or_b64 exec, exec, s[0:1]
	s_and_saveexec_b64 s[0:1], s[36:37]
	s_cbranch_execnz .LBB78_96
.LBB78_72:
	s_or_b64 exec, exec, s[0:1]
	s_and_saveexec_b64 s[0:1], s[38:39]
	s_cbranch_execnz .LBB78_97
.LBB78_73:
	s_or_b64 exec, exec, s[0:1]
	s_and_saveexec_b64 s[0:1], s[40:41]
	s_cbranch_execnz .LBB78_98
.LBB78_74:
	s_or_b64 exec, exec, s[0:1]
	s_and_saveexec_b64 s[0:1], s[42:43]
	s_cbranch_execnz .LBB78_99
.LBB78_75:
	s_or_b64 exec, exec, s[0:1]
	s_and_saveexec_b64 s[0:1], s[44:45]
	s_cbranch_execnz .LBB78_100
.LBB78_76:
	s_or_b64 exec, exec, s[0:1]
	s_and_saveexec_b64 s[0:1], s[46:47]
	s_cbranch_execnz .LBB78_101
.LBB78_77:
	s_or_b64 exec, exec, s[0:1]
	s_and_saveexec_b64 s[0:1], s[50:51]
	s_cbranch_execnz .LBB78_102
.LBB78_78:
	s_endpgm
.LBB78_79:
	ds_read_u16 v14, v14
	s_waitcnt lgkmcnt(0)
	global_store_short v[0:1], v14, off
	s_or_b64 exec, exec, s[0:1]
	s_and_saveexec_b64 s[0:1], s[2:3]
	s_cbranch_execz .LBB78_56
.LBB78_80:
	s_waitcnt lgkmcnt(14)
	global_store_short v[0:1], v25, off offset:512
	s_or_b64 exec, exec, s[0:1]
	s_and_saveexec_b64 s[0:1], s[4:5]
	s_cbranch_execz .LBB78_57
.LBB78_81:
	s_waitcnt lgkmcnt(14)
	global_store_short v[0:1], v24, off offset:1024
	s_or_b64 exec, exec, s[0:1]
	s_and_saveexec_b64 s[0:1], s[6:7]
	s_cbranch_execz .LBB78_58
.LBB78_82:
	s_waitcnt lgkmcnt(14)
	global_store_short v[0:1], v23, off offset:1536
	s_or_b64 exec, exec, s[0:1]
	s_and_saveexec_b64 s[0:1], s[8:9]
	s_cbranch_execz .LBB78_59
.LBB78_83:
	s_waitcnt lgkmcnt(1)
	global_store_short v[0:1], v26, off offset:2048
	s_or_b64 exec, exec, s[0:1]
	s_and_saveexec_b64 s[0:1], s[10:11]
	s_cbranch_execz .LBB78_60
.LBB78_84:
	s_waitcnt lgkmcnt(14)
	global_store_short v[0:1], v22, off offset:2560
	s_or_b64 exec, exec, s[0:1]
	s_and_saveexec_b64 s[0:1], s[12:13]
	s_cbranch_execz .LBB78_61
.LBB78_85:
	s_waitcnt lgkmcnt(14)
	global_store_short v[0:1], v21, off offset:3072
	s_or_b64 exec, exec, s[0:1]
	s_and_saveexec_b64 s[0:1], s[14:15]
	s_cbranch_execz .LBB78_62
.LBB78_86:
	s_waitcnt lgkmcnt(14)
	global_store_short v[0:1], v20, off offset:3584
	s_or_b64 exec, exec, s[0:1]
	s_and_saveexec_b64 s[0:1], s[16:17]
	s_cbranch_execz .LBB78_63
.LBB78_87:
	v_add_co_u32_e32 v14, vcc, 0x1000, v0
	s_nop 1
	v_addc_co_u32_e32 v15, vcc, 0, v1, vcc
	s_waitcnt lgkmcnt(14)
	global_store_short v[14:15], v19, off
	s_or_b64 exec, exec, s[0:1]
	s_and_saveexec_b64 s[0:1], s[18:19]
	s_cbranch_execz .LBB78_64
.LBB78_88:
	v_add_co_u32_e32 v14, vcc, 0x1000, v0
	s_nop 1
	v_addc_co_u32_e32 v15, vcc, 0, v1, vcc
	s_waitcnt lgkmcnt(14)
	global_store_short v[14:15], v18, off offset:512
	s_or_b64 exec, exec, s[0:1]
	s_and_saveexec_b64 s[0:1], s[20:21]
	s_cbranch_execz .LBB78_65
.LBB78_89:
	v_add_co_u32_e32 v14, vcc, 0x1000, v0
	s_nop 1
	v_addc_co_u32_e32 v15, vcc, 0, v1, vcc
	s_waitcnt lgkmcnt(14)
	global_store_short v[14:15], v17, off offset:1024
	s_or_b64 exec, exec, s[0:1]
	s_and_saveexec_b64 s[0:1], s[22:23]
	s_cbranch_execz .LBB78_66
.LBB78_90:
	v_add_co_u32_e32 v14, vcc, 0x1000, v0
	s_nop 1
	v_addc_co_u32_e32 v15, vcc, 0, v1, vcc
	s_waitcnt lgkmcnt(10)
	global_store_short v[14:15], v16, off offset:1536
	s_or_b64 exec, exec, s[0:1]
	s_and_saveexec_b64 s[0:1], s[24:25]
	s_cbranch_execz .LBB78_67
.LBB78_91:
	v_add_co_u32_e32 v14, vcc, 0x1000, v0
	s_nop 1
	v_addc_co_u32_e32 v15, vcc, 0, v1, vcc
	s_waitcnt lgkmcnt(13)
	global_store_short v[14:15], v13, off offset:2048
	s_or_b64 exec, exec, s[0:1]
	s_and_saveexec_b64 s[0:1], s[26:27]
	s_cbranch_execz .LBB78_68
.LBB78_92:
	v_add_co_u32_e32 v14, vcc, 0x1000, v0
	s_nop 1
	v_addc_co_u32_e32 v15, vcc, 0, v1, vcc
	s_waitcnt lgkmcnt(9)
	global_store_short v[14:15], v12, off offset:2560
	s_or_b64 exec, exec, s[0:1]
	s_and_saveexec_b64 s[0:1], s[28:29]
	s_cbranch_execz .LBB78_69
.LBB78_93:
	s_waitcnt lgkmcnt(9)
	v_add_co_u32_e32 v12, vcc, 0x1000, v0
	s_nop 1
	v_addc_co_u32_e32 v13, vcc, 0, v1, vcc
	s_waitcnt lgkmcnt(8)
	global_store_short v[12:13], v11, off offset:3072
	s_or_b64 exec, exec, s[0:1]
	s_and_saveexec_b64 s[0:1], s[30:31]
	s_cbranch_execz .LBB78_70
.LBB78_94:
	s_waitcnt lgkmcnt(9)
	v_add_co_u32_e32 v12, vcc, 0x1000, v0
	s_nop 1
	v_addc_co_u32_e32 v13, vcc, 0, v1, vcc
	s_waitcnt lgkmcnt(7)
	global_store_short v[12:13], v10, off offset:3584
	s_or_b64 exec, exec, s[0:1]
	s_and_saveexec_b64 s[0:1], s[34:35]
	s_cbranch_execz .LBB78_71
.LBB78_95:
	s_waitcnt lgkmcnt(7)
	v_add_co_u32_e32 v10, vcc, 0x2000, v0
	s_nop 1
	v_addc_co_u32_e32 v11, vcc, 0, v1, vcc
	global_store_short v[10:11], v9, off
	s_or_b64 exec, exec, s[0:1]
	s_and_saveexec_b64 s[0:1], s[36:37]
	s_cbranch_execz .LBB78_72
.LBB78_96:
	s_waitcnt lgkmcnt(7)
	v_add_co_u32_e32 v10, vcc, 0x2000, v0
	s_nop 1
	v_addc_co_u32_e32 v11, vcc, 0, v1, vcc
	s_waitcnt lgkmcnt(6)
	global_store_short v[10:11], v8, off offset:512
	s_or_b64 exec, exec, s[0:1]
	s_and_saveexec_b64 s[0:1], s[38:39]
	s_cbranch_execz .LBB78_73
.LBB78_97:
	s_waitcnt lgkmcnt(6)
	v_add_co_u32_e32 v8, vcc, 0x2000, v0
	s_nop 1
	v_addc_co_u32_e32 v9, vcc, 0, v1, vcc
	s_waitcnt lgkmcnt(5)
	global_store_short v[8:9], v7, off offset:1024
	s_or_b64 exec, exec, s[0:1]
	s_and_saveexec_b64 s[0:1], s[40:41]
	s_cbranch_execz .LBB78_74
.LBB78_98:
	s_waitcnt lgkmcnt(6)
	v_add_co_u32_e32 v8, vcc, 0x2000, v0
	s_nop 1
	v_addc_co_u32_e32 v9, vcc, 0, v1, vcc
	s_waitcnt lgkmcnt(4)
	global_store_short v[8:9], v6, off offset:1536
	s_or_b64 exec, exec, s[0:1]
	s_and_saveexec_b64 s[0:1], s[42:43]
	s_cbranch_execz .LBB78_75
.LBB78_99:
	s_waitcnt lgkmcnt(4)
	v_add_co_u32_e32 v6, vcc, 0x2000, v0
	s_nop 1
	v_addc_co_u32_e32 v7, vcc, 0, v1, vcc
	global_store_short v[6:7], v5, off offset:2048
	s_or_b64 exec, exec, s[0:1]
	s_and_saveexec_b64 s[0:1], s[44:45]
	s_cbranch_execz .LBB78_76
.LBB78_100:
	s_waitcnt lgkmcnt(4)
	v_add_co_u32_e32 v6, vcc, 0x2000, v0
	s_nop 1
	v_addc_co_u32_e32 v7, vcc, 0, v1, vcc
	s_waitcnt lgkmcnt(3)
	global_store_short v[6:7], v4, off offset:2560
	s_or_b64 exec, exec, s[0:1]
	s_and_saveexec_b64 s[0:1], s[46:47]
	s_cbranch_execz .LBB78_77
.LBB78_101:
	s_waitcnt lgkmcnt(3)
	v_add_co_u32_e32 v4, vcc, 0x2000, v0
	s_nop 1
	v_addc_co_u32_e32 v5, vcc, 0, v1, vcc
	s_waitcnt lgkmcnt(2)
	global_store_short v[4:5], v3, off offset:3072
	s_or_b64 exec, exec, s[0:1]
	s_and_saveexec_b64 s[0:1], s[50:51]
	s_cbranch_execz .LBB78_78
.LBB78_102:
	v_add_co_u32_e32 v0, vcc, 0x2000, v0
	s_nop 1
	v_addc_co_u32_e32 v1, vcc, 0, v1, vcc
	s_waitcnt lgkmcnt(0)
	global_store_short v[0:1], v2, off offset:3584
	s_endpgm
	.section	.rodata,"a",@progbits
	.p2align	6, 0x0
	.amdhsa_kernel _ZN7rocprim6detail18single_scan_kernelILb1ENS0_19wrapped_scan_configINS_14default_configE6__halfEEPS4_S6_N6hipcub3MaxES4_S4_EEvT1_mT4_T2_T3_
		.amdhsa_group_segment_fixed_size 12288
		.amdhsa_private_segment_fixed_size 0
		.amdhsa_kernarg_size 36
		.amdhsa_user_sgpr_count 2
		.amdhsa_user_sgpr_dispatch_ptr 0
		.amdhsa_user_sgpr_queue_ptr 0
		.amdhsa_user_sgpr_kernarg_segment_ptr 1
		.amdhsa_user_sgpr_dispatch_id 0
		.amdhsa_user_sgpr_kernarg_preload_length 0
		.amdhsa_user_sgpr_kernarg_preload_offset 0
		.amdhsa_user_sgpr_private_segment_size 0
		.amdhsa_uses_dynamic_stack 0
		.amdhsa_enable_private_segment 0
		.amdhsa_system_sgpr_workgroup_id_x 1
		.amdhsa_system_sgpr_workgroup_id_y 0
		.amdhsa_system_sgpr_workgroup_id_z 0
		.amdhsa_system_sgpr_workgroup_info 0
		.amdhsa_system_vgpr_workitem_id 0
		.amdhsa_next_free_vgpr 32
		.amdhsa_next_free_sgpr 56
		.amdhsa_accum_offset 32
		.amdhsa_reserve_vcc 1
		.amdhsa_float_round_mode_32 0
		.amdhsa_float_round_mode_16_64 0
		.amdhsa_float_denorm_mode_32 3
		.amdhsa_float_denorm_mode_16_64 3
		.amdhsa_dx10_clamp 1
		.amdhsa_ieee_mode 1
		.amdhsa_fp16_overflow 0
		.amdhsa_tg_split 0
		.amdhsa_exception_fp_ieee_invalid_op 0
		.amdhsa_exception_fp_denorm_src 0
		.amdhsa_exception_fp_ieee_div_zero 0
		.amdhsa_exception_fp_ieee_overflow 0
		.amdhsa_exception_fp_ieee_underflow 0
		.amdhsa_exception_fp_ieee_inexact 0
		.amdhsa_exception_int_div_zero 0
	.end_amdhsa_kernel
	.section	.text._ZN7rocprim6detail18single_scan_kernelILb1ENS0_19wrapped_scan_configINS_14default_configE6__halfEEPS4_S6_N6hipcub3MaxES4_S4_EEvT1_mT4_T2_T3_,"axG",@progbits,_ZN7rocprim6detail18single_scan_kernelILb1ENS0_19wrapped_scan_configINS_14default_configE6__halfEEPS4_S6_N6hipcub3MaxES4_S4_EEvT1_mT4_T2_T3_,comdat
.Lfunc_end78:
	.size	_ZN7rocprim6detail18single_scan_kernelILb1ENS0_19wrapped_scan_configINS_14default_configE6__halfEEPS4_S6_N6hipcub3MaxES4_S4_EEvT1_mT4_T2_T3_, .Lfunc_end78-_ZN7rocprim6detail18single_scan_kernelILb1ENS0_19wrapped_scan_configINS_14default_configE6__halfEEPS4_S6_N6hipcub3MaxES4_S4_EEvT1_mT4_T2_T3_
                                        ; -- End function
	.section	.AMDGPU.csdata,"",@progbits
; Kernel info:
; codeLenInByte = 4160
; NumSgprs: 62
; NumVgprs: 32
; NumAgprs: 0
; TotalNumVgprs: 32
; ScratchSize: 0
; MemoryBound: 0
; FloatMode: 240
; IeeeMode: 1
; LDSByteSize: 12288 bytes/workgroup (compile time only)
; SGPRBlocks: 7
; VGPRBlocks: 3
; NumSGPRsForWavesPerEU: 62
; NumVGPRsForWavesPerEU: 32
; AccumOffset: 32
; Occupancy: 5
; WaveLimiterHint : 0
; COMPUTE_PGM_RSRC2:SCRATCH_EN: 0
; COMPUTE_PGM_RSRC2:USER_SGPR: 2
; COMPUTE_PGM_RSRC2:TRAP_HANDLER: 0
; COMPUTE_PGM_RSRC2:TGID_X_EN: 1
; COMPUTE_PGM_RSRC2:TGID_Y_EN: 0
; COMPUTE_PGM_RSRC2:TGID_Z_EN: 0
; COMPUTE_PGM_RSRC2:TIDIG_COMP_CNT: 0
; COMPUTE_PGM_RSRC3_GFX90A:ACCUM_OFFSET: 7
; COMPUTE_PGM_RSRC3_GFX90A:TG_SPLIT: 0
	.section	.text._ZN7rocprim6detail20lookback_scan_kernelILNS0_25lookback_scan_determinismE0ELb1ENS0_19wrapped_scan_configINS_14default_configE12hip_bfloat16EEPS5_S7_N6hipcub3MaxES5_S5_NS0_19lookback_scan_stateIS5_Lb1ELb1EEEEEvT2_T3_mT5_T4_T7_jPT6_SI_bb,"axG",@progbits,_ZN7rocprim6detail20lookback_scan_kernelILNS0_25lookback_scan_determinismE0ELb1ENS0_19wrapped_scan_configINS_14default_configE12hip_bfloat16EEPS5_S7_N6hipcub3MaxES5_S5_NS0_19lookback_scan_stateIS5_Lb1ELb1EEEEEvT2_T3_mT5_T4_T7_jPT6_SI_bb,comdat
	.protected	_ZN7rocprim6detail20lookback_scan_kernelILNS0_25lookback_scan_determinismE0ELb1ENS0_19wrapped_scan_configINS_14default_configE12hip_bfloat16EEPS5_S7_N6hipcub3MaxES5_S5_NS0_19lookback_scan_stateIS5_Lb1ELb1EEEEEvT2_T3_mT5_T4_T7_jPT6_SI_bb ; -- Begin function _ZN7rocprim6detail20lookback_scan_kernelILNS0_25lookback_scan_determinismE0ELb1ENS0_19wrapped_scan_configINS_14default_configE12hip_bfloat16EEPS5_S7_N6hipcub3MaxES5_S5_NS0_19lookback_scan_stateIS5_Lb1ELb1EEEEEvT2_T3_mT5_T4_T7_jPT6_SI_bb
	.globl	_ZN7rocprim6detail20lookback_scan_kernelILNS0_25lookback_scan_determinismE0ELb1ENS0_19wrapped_scan_configINS_14default_configE12hip_bfloat16EEPS5_S7_N6hipcub3MaxES5_S5_NS0_19lookback_scan_stateIS5_Lb1ELb1EEEEEvT2_T3_mT5_T4_T7_jPT6_SI_bb
	.p2align	8
	.type	_ZN7rocprim6detail20lookback_scan_kernelILNS0_25lookback_scan_determinismE0ELb1ENS0_19wrapped_scan_configINS_14default_configE12hip_bfloat16EEPS5_S7_N6hipcub3MaxES5_S5_NS0_19lookback_scan_stateIS5_Lb1ELb1EEEEEvT2_T3_mT5_T4_T7_jPT6_SI_bb,@function
_ZN7rocprim6detail20lookback_scan_kernelILNS0_25lookback_scan_determinismE0ELb1ENS0_19wrapped_scan_configINS_14default_configE12hip_bfloat16EEPS5_S7_N6hipcub3MaxES5_S5_NS0_19lookback_scan_stateIS5_Lb1ELb1EEEEEvT2_T3_mT5_T4_T7_jPT6_SI_bb: ; @_ZN7rocprim6detail20lookback_scan_kernelILNS0_25lookback_scan_determinismE0ELb1ENS0_19wrapped_scan_configINS_14default_configE12hip_bfloat16EEPS5_S7_N6hipcub3MaxES5_S5_NS0_19lookback_scan_stateIS5_Lb1ELb1EEEEEvT2_T3_mT5_T4_T7_jPT6_SI_bb
; %bb.0:
	s_endpgm
	.section	.rodata,"a",@progbits
	.p2align	6, 0x0
	.amdhsa_kernel _ZN7rocprim6detail20lookback_scan_kernelILNS0_25lookback_scan_determinismE0ELb1ENS0_19wrapped_scan_configINS_14default_configE12hip_bfloat16EEPS5_S7_N6hipcub3MaxES5_S5_NS0_19lookback_scan_stateIS5_Lb1ELb1EEEEEvT2_T3_mT5_T4_T7_jPT6_SI_bb
		.amdhsa_group_segment_fixed_size 0
		.amdhsa_private_segment_fixed_size 0
		.amdhsa_kernarg_size 68
		.amdhsa_user_sgpr_count 2
		.amdhsa_user_sgpr_dispatch_ptr 0
		.amdhsa_user_sgpr_queue_ptr 0
		.amdhsa_user_sgpr_kernarg_segment_ptr 1
		.amdhsa_user_sgpr_dispatch_id 0
		.amdhsa_user_sgpr_kernarg_preload_length 0
		.amdhsa_user_sgpr_kernarg_preload_offset 0
		.amdhsa_user_sgpr_private_segment_size 0
		.amdhsa_uses_dynamic_stack 0
		.amdhsa_enable_private_segment 0
		.amdhsa_system_sgpr_workgroup_id_x 1
		.amdhsa_system_sgpr_workgroup_id_y 0
		.amdhsa_system_sgpr_workgroup_id_z 0
		.amdhsa_system_sgpr_workgroup_info 0
		.amdhsa_system_vgpr_workitem_id 0
		.amdhsa_next_free_vgpr 1
		.amdhsa_next_free_sgpr 0
		.amdhsa_accum_offset 4
		.amdhsa_reserve_vcc 0
		.amdhsa_float_round_mode_32 0
		.amdhsa_float_round_mode_16_64 0
		.amdhsa_float_denorm_mode_32 3
		.amdhsa_float_denorm_mode_16_64 3
		.amdhsa_dx10_clamp 1
		.amdhsa_ieee_mode 1
		.amdhsa_fp16_overflow 0
		.amdhsa_tg_split 0
		.amdhsa_exception_fp_ieee_invalid_op 0
		.amdhsa_exception_fp_denorm_src 0
		.amdhsa_exception_fp_ieee_div_zero 0
		.amdhsa_exception_fp_ieee_overflow 0
		.amdhsa_exception_fp_ieee_underflow 0
		.amdhsa_exception_fp_ieee_inexact 0
		.amdhsa_exception_int_div_zero 0
	.end_amdhsa_kernel
	.section	.text._ZN7rocprim6detail20lookback_scan_kernelILNS0_25lookback_scan_determinismE0ELb1ENS0_19wrapped_scan_configINS_14default_configE12hip_bfloat16EEPS5_S7_N6hipcub3MaxES5_S5_NS0_19lookback_scan_stateIS5_Lb1ELb1EEEEEvT2_T3_mT5_T4_T7_jPT6_SI_bb,"axG",@progbits,_ZN7rocprim6detail20lookback_scan_kernelILNS0_25lookback_scan_determinismE0ELb1ENS0_19wrapped_scan_configINS_14default_configE12hip_bfloat16EEPS5_S7_N6hipcub3MaxES5_S5_NS0_19lookback_scan_stateIS5_Lb1ELb1EEEEEvT2_T3_mT5_T4_T7_jPT6_SI_bb,comdat
.Lfunc_end79:
	.size	_ZN7rocprim6detail20lookback_scan_kernelILNS0_25lookback_scan_determinismE0ELb1ENS0_19wrapped_scan_configINS_14default_configE12hip_bfloat16EEPS5_S7_N6hipcub3MaxES5_S5_NS0_19lookback_scan_stateIS5_Lb1ELb1EEEEEvT2_T3_mT5_T4_T7_jPT6_SI_bb, .Lfunc_end79-_ZN7rocprim6detail20lookback_scan_kernelILNS0_25lookback_scan_determinismE0ELb1ENS0_19wrapped_scan_configINS_14default_configE12hip_bfloat16EEPS5_S7_N6hipcub3MaxES5_S5_NS0_19lookback_scan_stateIS5_Lb1ELb1EEEEEvT2_T3_mT5_T4_T7_jPT6_SI_bb
                                        ; -- End function
	.section	.AMDGPU.csdata,"",@progbits
; Kernel info:
; codeLenInByte = 4
; NumSgprs: 6
; NumVgprs: 0
; NumAgprs: 0
; TotalNumVgprs: 0
; ScratchSize: 0
; MemoryBound: 0
; FloatMode: 240
; IeeeMode: 1
; LDSByteSize: 0 bytes/workgroup (compile time only)
; SGPRBlocks: 0
; VGPRBlocks: 0
; NumSGPRsForWavesPerEU: 6
; NumVGPRsForWavesPerEU: 1
; AccumOffset: 4
; Occupancy: 8
; WaveLimiterHint : 0
; COMPUTE_PGM_RSRC2:SCRATCH_EN: 0
; COMPUTE_PGM_RSRC2:USER_SGPR: 2
; COMPUTE_PGM_RSRC2:TRAP_HANDLER: 0
; COMPUTE_PGM_RSRC2:TGID_X_EN: 1
; COMPUTE_PGM_RSRC2:TGID_Y_EN: 0
; COMPUTE_PGM_RSRC2:TGID_Z_EN: 0
; COMPUTE_PGM_RSRC2:TIDIG_COMP_CNT: 0
; COMPUTE_PGM_RSRC3_GFX90A:ACCUM_OFFSET: 0
; COMPUTE_PGM_RSRC3_GFX90A:TG_SPLIT: 0
	.section	.text._ZN7rocprim6detail20lookback_scan_kernelILNS0_25lookback_scan_determinismE0ELb1ENS0_19wrapped_scan_configINS_14default_configE12hip_bfloat16EEPS5_S7_N6hipcub3MaxES5_S5_NS0_19lookback_scan_stateIS5_Lb0ELb1EEEEEvT2_T3_mT5_T4_T7_jPT6_SI_bb,"axG",@progbits,_ZN7rocprim6detail20lookback_scan_kernelILNS0_25lookback_scan_determinismE0ELb1ENS0_19wrapped_scan_configINS_14default_configE12hip_bfloat16EEPS5_S7_N6hipcub3MaxES5_S5_NS0_19lookback_scan_stateIS5_Lb0ELb1EEEEEvT2_T3_mT5_T4_T7_jPT6_SI_bb,comdat
	.protected	_ZN7rocprim6detail20lookback_scan_kernelILNS0_25lookback_scan_determinismE0ELb1ENS0_19wrapped_scan_configINS_14default_configE12hip_bfloat16EEPS5_S7_N6hipcub3MaxES5_S5_NS0_19lookback_scan_stateIS5_Lb0ELb1EEEEEvT2_T3_mT5_T4_T7_jPT6_SI_bb ; -- Begin function _ZN7rocprim6detail20lookback_scan_kernelILNS0_25lookback_scan_determinismE0ELb1ENS0_19wrapped_scan_configINS_14default_configE12hip_bfloat16EEPS5_S7_N6hipcub3MaxES5_S5_NS0_19lookback_scan_stateIS5_Lb0ELb1EEEEEvT2_T3_mT5_T4_T7_jPT6_SI_bb
	.globl	_ZN7rocprim6detail20lookback_scan_kernelILNS0_25lookback_scan_determinismE0ELb1ENS0_19wrapped_scan_configINS_14default_configE12hip_bfloat16EEPS5_S7_N6hipcub3MaxES5_S5_NS0_19lookback_scan_stateIS5_Lb0ELb1EEEEEvT2_T3_mT5_T4_T7_jPT6_SI_bb
	.p2align	8
	.type	_ZN7rocprim6detail20lookback_scan_kernelILNS0_25lookback_scan_determinismE0ELb1ENS0_19wrapped_scan_configINS_14default_configE12hip_bfloat16EEPS5_S7_N6hipcub3MaxES5_S5_NS0_19lookback_scan_stateIS5_Lb0ELb1EEEEEvT2_T3_mT5_T4_T7_jPT6_SI_bb,@function
_ZN7rocprim6detail20lookback_scan_kernelILNS0_25lookback_scan_determinismE0ELb1ENS0_19wrapped_scan_configINS_14default_configE12hip_bfloat16EEPS5_S7_N6hipcub3MaxES5_S5_NS0_19lookback_scan_stateIS5_Lb0ELb1EEEEEvT2_T3_mT5_T4_T7_jPT6_SI_bb: ; @_ZN7rocprim6detail20lookback_scan_kernelILNS0_25lookback_scan_determinismE0ELb1ENS0_19wrapped_scan_configINS_14default_configE12hip_bfloat16EEPS5_S7_N6hipcub3MaxES5_S5_NS0_19lookback_scan_stateIS5_Lb0ELb1EEEEEvT2_T3_mT5_T4_T7_jPT6_SI_bb
; %bb.0:
	s_load_dword s3, s[0:1], 0x28
	s_load_dwordx4 s[20:23], s[0:1], 0x0
	s_load_dwordx2 s[4:5], s[0:1], 0x10
	s_mul_i32 s6, s2, 0x1800
	s_mov_b32 s7, 0
	s_waitcnt lgkmcnt(0)
	s_add_i32 s3, s3, -1
	s_mul_i32 s8, s3, 0x1800
	s_sub_u32 s30, s4, s8
	s_subb_u32 s31, s5, 0
	s_cmp_lg_u32 s2, s3
	s_cselect_b64 s[18:19], -1, 0
	s_lshl_b64 s[24:25], s[6:7], 1
	s_add_u32 s6, s20, s24
	s_addc_u32 s7, s21, s25
	s_mov_b64 s[4:5], -1
	s_and_b64 vcc, exec, s[18:19]
	v_lshlrev_b32_e32 v14, 1, v0
	s_cbranch_vccz .LBB80_2
; %bb.1:
	v_mov_b32_e32 v15, 0
	v_lshl_add_u64 v[2:3], s[6:7], 0, v[14:15]
	v_add_co_u32_e32 v4, vcc, 0x1000, v2
	global_load_ushort v1, v14, s[6:7]
	global_load_ushort v6, v14, s[6:7] offset:512
	global_load_ushort v7, v14, s[6:7] offset:1024
	;; [unrolled: 1-line block ×7, first 2 shown]
	v_addc_co_u32_e32 v5, vcc, 0, v3, vcc
	v_add_co_u32_e32 v2, vcc, 0x2000, v2
	global_load_ushort v13, v[4:5], off
	global_load_ushort v15, v[4:5], off offset:512
	global_load_ushort v16, v[4:5], off offset:1024
	;; [unrolled: 1-line block ×7, first 2 shown]
	v_addc_co_u32_e32 v3, vcc, 0, v3, vcc
	global_load_ushort v4, v[2:3], off
	global_load_ushort v5, v[2:3], off offset:512
	global_load_ushort v22, v[2:3], off offset:1024
	;; [unrolled: 1-line block ×7, first 2 shown]
	s_mov_b64 s[4:5], 0
	s_waitcnt vmcnt(23)
	ds_write_b16 v14, v1
	s_waitcnt vmcnt(22)
	ds_write_b16 v14, v6 offset:512
	s_waitcnt vmcnt(21)
	ds_write_b16 v14, v7 offset:1024
	;; [unrolled: 2-line block ×23, first 2 shown]
	s_waitcnt lgkmcnt(0)
	s_barrier
.LBB80_2:
	s_andn2_b64 vcc, exec, s[4:5]
	v_cmp_gt_u32_e64 s[4:5], s30, v0
	s_cbranch_vccnz .LBB80_52
; %bb.3:
	v_mov_b32_e32 v15, 0
	global_load_ushort v1, v15, s[6:7]
	v_lshl_add_u64 v[2:3], s[6:7], 0, v[14:15]
	s_waitcnt vmcnt(0)
	v_mov_b32_e32 v4, v1
	s_and_saveexec_b64 s[6:7], s[4:5]
	s_cbranch_execz .LBB80_5
; %bb.4:
	global_load_ushort v4, v[2:3], off
.LBB80_5:
	s_or_b64 exec, exec, s[6:7]
	v_or_b32_e32 v5, 0x100, v0
	v_cmp_gt_u32_e32 vcc, s30, v5
	v_mov_b32_e32 v5, v1
	s_and_saveexec_b64 s[4:5], vcc
	s_cbranch_execz .LBB80_7
; %bb.6:
	global_load_ushort v5, v[2:3], off offset:512
.LBB80_7:
	s_or_b64 exec, exec, s[4:5]
	v_or_b32_e32 v6, 0x200, v0
	v_cmp_gt_u32_e32 vcc, s30, v6
	v_mov_b32_e32 v6, v1
	s_and_saveexec_b64 s[4:5], vcc
	s_cbranch_execz .LBB80_9
; %bb.8:
	global_load_ushort v6, v[2:3], off offset:1024
.LBB80_9:
	s_or_b64 exec, exec, s[4:5]
	v_or_b32_e32 v7, 0x300, v0
	v_cmp_gt_u32_e32 vcc, s30, v7
	v_mov_b32_e32 v7, v1
	s_and_saveexec_b64 s[4:5], vcc
	s_cbranch_execz .LBB80_11
; %bb.10:
	global_load_ushort v7, v[2:3], off offset:1536
.LBB80_11:
	s_or_b64 exec, exec, s[4:5]
	v_or_b32_e32 v8, 0x400, v0
	v_cmp_gt_u32_e32 vcc, s30, v8
	v_mov_b32_e32 v8, v1
	s_and_saveexec_b64 s[4:5], vcc
	s_cbranch_execz .LBB80_13
; %bb.12:
	global_load_ushort v8, v[2:3], off offset:2048
.LBB80_13:
	s_or_b64 exec, exec, s[4:5]
	v_or_b32_e32 v9, 0x500, v0
	v_cmp_gt_u32_e32 vcc, s30, v9
	v_mov_b32_e32 v9, v1
	s_and_saveexec_b64 s[4:5], vcc
	s_cbranch_execz .LBB80_15
; %bb.14:
	global_load_ushort v9, v[2:3], off offset:2560
.LBB80_15:
	s_or_b64 exec, exec, s[4:5]
	v_or_b32_e32 v10, 0x600, v0
	v_cmp_gt_u32_e32 vcc, s30, v10
	v_mov_b32_e32 v10, v1
	s_and_saveexec_b64 s[4:5], vcc
	s_cbranch_execz .LBB80_17
; %bb.16:
	global_load_ushort v10, v[2:3], off offset:3072
.LBB80_17:
	s_or_b64 exec, exec, s[4:5]
	v_or_b32_e32 v11, 0x700, v0
	v_cmp_gt_u32_e32 vcc, s30, v11
	v_mov_b32_e32 v11, v1
	s_and_saveexec_b64 s[4:5], vcc
	s_cbranch_execz .LBB80_19
; %bb.18:
	global_load_ushort v11, v[2:3], off offset:3584
.LBB80_19:
	s_or_b64 exec, exec, s[4:5]
	v_or_b32_e32 v12, 0x800, v0
	v_cmp_gt_u32_e32 vcc, s30, v12
	v_mov_b32_e32 v12, v1
	s_and_saveexec_b64 s[4:5], vcc
	s_cbranch_execz .LBB80_21
; %bb.20:
	v_add_co_u32_e32 v12, vcc, 0x1000, v2
	s_nop 1
	v_addc_co_u32_e32 v13, vcc, 0, v3, vcc
	global_load_ushort v12, v[12:13], off
.LBB80_21:
	s_or_b64 exec, exec, s[4:5]
	v_or_b32_e32 v13, 0x900, v0
	v_cmp_gt_u32_e32 vcc, s30, v13
	v_mov_b32_e32 v13, v1
	s_and_saveexec_b64 s[4:5], vcc
	s_cbranch_execz .LBB80_23
; %bb.22:
	v_add_co_u32_e32 v16, vcc, 0x1000, v2
	s_nop 1
	v_addc_co_u32_e32 v17, vcc, 0, v3, vcc
	global_load_ushort v13, v[16:17], off offset:512
.LBB80_23:
	s_or_b64 exec, exec, s[4:5]
	v_or_b32_e32 v15, 0xa00, v0
	v_cmp_gt_u32_e32 vcc, s30, v15
	v_mov_b32_e32 v15, v1
	s_and_saveexec_b64 s[4:5], vcc
	s_cbranch_execz .LBB80_25
; %bb.24:
	v_add_co_u32_e32 v16, vcc, 0x1000, v2
	s_nop 1
	v_addc_co_u32_e32 v17, vcc, 0, v3, vcc
	global_load_ushort v15, v[16:17], off offset:1024
.LBB80_25:
	;; [unrolled: 12-line block ×7, first 2 shown]
	s_or_b64 exec, exec, s[4:5]
	v_or_b32_e32 v21, 0x1000, v0
	v_cmp_gt_u32_e32 vcc, s30, v21
	v_mov_b32_e32 v21, v1
	s_and_saveexec_b64 s[4:5], vcc
	s_cbranch_execz .LBB80_37
; %bb.36:
	v_add_co_u32_e32 v22, vcc, 0x2000, v2
	s_nop 1
	v_addc_co_u32_e32 v23, vcc, 0, v3, vcc
	global_load_ushort v21, v[22:23], off
.LBB80_37:
	s_or_b64 exec, exec, s[4:5]
	v_or_b32_e32 v22, 0x1100, v0
	v_cmp_gt_u32_e32 vcc, s30, v22
	v_mov_b32_e32 v22, v1
	s_and_saveexec_b64 s[4:5], vcc
	s_cbranch_execz .LBB80_39
; %bb.38:
	v_add_co_u32_e32 v22, vcc, 0x2000, v2
	s_nop 1
	v_addc_co_u32_e32 v23, vcc, 0, v3, vcc
	global_load_ushort v22, v[22:23], off offset:512
.LBB80_39:
	s_or_b64 exec, exec, s[4:5]
	v_or_b32_e32 v23, 0x1200, v0
	v_cmp_gt_u32_e32 vcc, s30, v23
	v_mov_b32_e32 v23, v1
	s_and_saveexec_b64 s[4:5], vcc
	s_cbranch_execz .LBB80_41
; %bb.40:
	v_add_co_u32_e32 v24, vcc, 0x2000, v2
	s_nop 1
	v_addc_co_u32_e32 v25, vcc, 0, v3, vcc
	global_load_ushort v23, v[24:25], off offset:1024
.LBB80_41:
	;; [unrolled: 12-line block ×6, first 2 shown]
	s_or_b64 exec, exec, s[4:5]
	v_or_b32_e32 v28, 0x1700, v0
	v_cmp_gt_u32_e32 vcc, s30, v28
	s_and_saveexec_b64 s[4:5], vcc
	s_cbranch_execz .LBB80_51
; %bb.50:
	v_add_co_u32_e32 v2, vcc, 0x2000, v2
	s_nop 1
	v_addc_co_u32_e32 v3, vcc, 0, v3, vcc
	global_load_ushort v1, v[2:3], off offset:3584
.LBB80_51:
	s_or_b64 exec, exec, s[4:5]
	s_waitcnt vmcnt(0)
	ds_write_b16 v14, v4
	ds_write_b16 v14, v5 offset:512
	ds_write_b16 v14, v6 offset:1024
	;; [unrolled: 1-line block ×23, first 2 shown]
	s_waitcnt lgkmcnt(0)
	s_barrier
.LBB80_52:
	v_mul_u32_u24_e32 v22, 24, v0
	v_lshlrev_b32_e32 v1, 1, v22
	ds_read_b128 v[10:13], v1
	ds_read_b128 v[6:9], v1 offset:16
	ds_read_b128 v[2:5], v1 offset:32
	s_load_dwordx2 s[26:27], s[0:1], 0x20
	s_cmp_lg_u32 s2, 0
	v_mbcnt_lo_u32_b32 v59, -1, 0
	s_waitcnt lgkmcnt(0)
	v_lshrrev_b32_e32 v42, 16, v11
	v_lshrrev_b32_e32 v38, 16, v12
	;; [unrolled: 1-line block ×11, first 2 shown]
	v_lshlrev_b32_e32 v52, 16, v11
	v_lshlrev_b32_e32 v51, 16, v42
	;; [unrolled: 1-line block ×23, first 2 shown]
	v_lshrrev_b32_e32 v53, 16, v10
	v_lshrrev_b32_e32 v55, 6, v0
	v_or_b32_e32 v56, 63, v0
	s_barrier
	s_cbranch_scc0 .LBB80_83
; %bb.53:
	v_and_b32_e32 v60, 0xffff0000, v10
	v_cmp_lt_f32_e32 vcc, v54, v60
	s_nop 1
	v_cndmask_b32_e32 v16, v10, v53, vcc
	v_lshlrev_b32_e32 v17, 16, v16
	v_cmp_lt_f32_e32 vcc, v17, v52
	s_nop 1
	v_cndmask_b32_e32 v16, v16, v11, vcc
	v_lshlrev_b32_e32 v17, 16, v16
	v_cmp_lt_f32_e32 vcc, v17, v51
	s_nop 1
	v_cndmask_b32_e32 v16, v16, v42, vcc
	v_lshlrev_b32_e32 v17, 16, v16
	v_cmp_lt_f32_e32 vcc, v17, v50
	s_nop 1
	v_cndmask_b32_e32 v16, v16, v12, vcc
	v_lshlrev_b32_e32 v17, 16, v16
	v_cmp_lt_f32_e32 vcc, v17, v49
	s_nop 1
	v_cndmask_b32_e32 v16, v16, v38, vcc
	v_lshlrev_b32_e32 v17, 16, v16
	v_cmp_lt_f32_e32 vcc, v17, v48
	s_nop 1
	v_cndmask_b32_e32 v16, v16, v13, vcc
	v_lshlrev_b32_e32 v17, 16, v16
	v_cmp_lt_f32_e32 vcc, v17, v47
	s_nop 1
	v_cndmask_b32_e32 v16, v16, v35, vcc
	v_lshlrev_b32_e32 v17, 16, v16
	v_cmp_lt_f32_e32 vcc, v17, v46
	s_nop 1
	v_cndmask_b32_e32 v16, v16, v6, vcc
	v_lshlrev_b32_e32 v17, 16, v16
	v_cmp_lt_f32_e32 vcc, v17, v45
	s_nop 1
	v_cndmask_b32_e32 v16, v16, v31, vcc
	v_lshlrev_b32_e32 v17, 16, v16
	v_cmp_lt_f32_e32 vcc, v17, v44
	s_nop 1
	v_cndmask_b32_e32 v16, v16, v7, vcc
	v_lshlrev_b32_e32 v17, 16, v16
	v_cmp_lt_f32_e32 vcc, v17, v43
	s_nop 1
	v_cndmask_b32_e32 v16, v16, v28, vcc
	v_lshlrev_b32_e32 v17, 16, v16
	v_cmp_lt_f32_e32 vcc, v17, v41
	s_nop 1
	v_cndmask_b32_e32 v16, v16, v8, vcc
	v_lshlrev_b32_e32 v17, 16, v16
	v_cmp_lt_f32_e32 vcc, v17, v40
	s_nop 1
	v_cndmask_b32_e32 v16, v16, v26, vcc
	v_lshlrev_b32_e32 v17, 16, v16
	v_cmp_lt_f32_e32 vcc, v17, v39
	s_nop 1
	v_cndmask_b32_e32 v16, v16, v9, vcc
	v_lshlrev_b32_e32 v17, 16, v16
	v_cmp_lt_f32_e32 vcc, v17, v37
	s_nop 1
	v_cndmask_b32_e32 v16, v16, v25, vcc
	v_lshlrev_b32_e32 v17, 16, v16
	v_cmp_lt_f32_e32 vcc, v17, v36
	s_nop 1
	v_cndmask_b32_e32 v16, v16, v2, vcc
	v_lshlrev_b32_e32 v17, 16, v16
	v_cmp_lt_f32_e32 vcc, v17, v34
	s_nop 1
	v_cndmask_b32_e32 v16, v16, v24, vcc
	v_lshlrev_b32_e32 v17, 16, v16
	v_cmp_lt_f32_e32 vcc, v17, v33
	s_nop 1
	v_cndmask_b32_e32 v16, v16, v3, vcc
	v_lshlrev_b32_e32 v17, 16, v16
	v_cmp_lt_f32_e32 vcc, v17, v32
	s_nop 1
	v_cndmask_b32_e32 v16, v16, v23, vcc
	v_lshlrev_b32_e32 v17, 16, v16
	v_cmp_lt_f32_e32 vcc, v17, v30
	s_nop 1
	v_cndmask_b32_e32 v16, v16, v4, vcc
	v_lshlrev_b32_e32 v17, 16, v16
	v_cmp_lt_f32_e32 vcc, v17, v29
	s_nop 1
	v_cndmask_b32_e32 v16, v16, v15, vcc
	v_lshlrev_b32_e32 v17, 16, v16
	v_cmp_lt_f32_e32 vcc, v17, v27
	s_nop 1
	v_cndmask_b32_e32 v16, v16, v5, vcc
	v_lshlrev_b32_e32 v17, 16, v16
	v_cmp_lt_f32_e32 vcc, v17, v58
	v_mbcnt_hi_u32_b32 v17, -1, v59
	v_and_b32_e32 v18, 15, v17
	v_cndmask_b32_e32 v16, v16, v57, vcc
	v_and_b32_e32 v19, 0xffff, v16
	v_lshlrev_b32_e32 v61, 16, v16
	s_nop 0
	v_mov_b32_dpp v20, v19 row_shr:1 row_mask:0xf bank_mask:0xf
	v_lshlrev_b32_e32 v21, 16, v20
	v_cmp_lt_f32_e32 vcc, v21, v61
	s_nop 1
	v_cndmask_b32_e32 v20, v20, v16, vcc
	v_and_b32_e32 v21, 0xffff, v20
	v_cmp_eq_u32_e32 vcc, 0, v18
	s_nop 1
	v_cndmask_b32_e32 v19, v21, v19, vcc
	v_cndmask_b32_e32 v16, v20, v16, vcc
	v_lshlrev_b32_e32 v21, 16, v19
	v_mov_b32_dpp v20, v19 row_shr:2 row_mask:0xf bank_mask:0xf
	v_lshlrev_b32_e32 v61, 16, v20
	v_cmp_lt_f32_e32 vcc, v61, v21
	s_nop 1
	v_cndmask_b32_e32 v20, v20, v16, vcc
	v_and_b32_e32 v21, 0xffff, v20
	v_cmp_lt_u32_e32 vcc, 1, v18
	s_nop 1
	v_cndmask_b32_e32 v19, v19, v21, vcc
	v_cndmask_b32_e32 v16, v16, v20, vcc
	v_lshlrev_b32_e32 v21, 16, v19
	v_mov_b32_dpp v20, v19 row_shr:4 row_mask:0xf bank_mask:0xf
	v_lshlrev_b32_e32 v61, 16, v20
	v_cmp_lt_f32_e32 vcc, v61, v21
	s_nop 1
	v_cndmask_b32_e32 v20, v20, v16, vcc
	v_and_b32_e32 v21, 0xffff, v20
	v_cmp_lt_u32_e32 vcc, 3, v18
	;; [unrolled: 11-line block ×3, first 2 shown]
	s_nop 1
	v_cndmask_b32_e32 v18, v19, v21, vcc
	v_lshlrev_b32_e32 v21, 16, v18
	v_cndmask_b32_e32 v16, v16, v20, vcc
	v_mov_b32_dpp v19, v18 row_bcast:15 row_mask:0xf bank_mask:0xf
	v_lshlrev_b32_e32 v61, 16, v19
	v_cmp_lt_f32_e32 vcc, v61, v21
	v_and_b32_e32 v20, 16, v17
	s_nop 0
	v_cndmask_b32_e32 v19, v19, v16, vcc
	v_and_b32_e32 v21, 0xffff, v19
	v_cmp_eq_u32_e32 vcc, 0, v20
	s_nop 1
	v_cndmask_b32_e32 v18, v21, v18, vcc
	v_cndmask_b32_e32 v16, v19, v16, vcc
	s_nop 0
	v_mov_b32_dpp v19, v18 row_bcast:31 row_mask:0xf bank_mask:0xf
	v_lshlrev_b32_e32 v18, 16, v18
	v_lshlrev_b32_e32 v20, 16, v19
	v_cmp_lt_f32_e32 vcc, v20, v18
	s_nop 1
	v_cndmask_b32_e32 v18, v19, v16, vcc
	v_cmp_lt_u32_e32 vcc, 31, v17
	s_nop 1
	v_cndmask_b32_e32 v16, v16, v18, vcc
	v_cmp_eq_u32_e32 vcc, v56, v0
	s_and_saveexec_b64 s[4:5], vcc
	s_cbranch_execz .LBB80_55
; %bb.54:
	v_lshlrev_b32_e32 v18, 1, v55
	ds_write_b16 v18, v16
.LBB80_55:
	s_or_b64 exec, exec, s[4:5]
	v_cmp_gt_u32_e32 vcc, 4, v0
	s_waitcnt lgkmcnt(0)
	s_barrier
	s_and_saveexec_b64 s[4:5], vcc
	s_cbranch_execz .LBB80_57
; %bb.56:
	ds_read_u16 v18, v14
	v_and_b32_e32 v19, 3, v17
	s_waitcnt lgkmcnt(0)
	v_and_b32_e32 v20, 0xffff, v18
	s_nop 1
	v_mov_b32_dpp v61, v20 row_shr:1 row_mask:0xf bank_mask:0xf
	v_lshlrev_b32_e32 v21, 16, v18
	v_lshlrev_b32_e32 v62, 16, v61
	v_cmp_lt_f32_e32 vcc, v62, v21
	s_nop 1
	v_cndmask_b32_e32 v21, v61, v18, vcc
	v_and_b32_e32 v61, 0xffff, v21
	v_cmp_eq_u32_e32 vcc, 0, v19
	s_nop 1
	v_cndmask_b32_e32 v20, v61, v20, vcc
	v_cndmask_b32_e32 v18, v21, v18, vcc
	s_nop 0
	v_mov_b32_dpp v21, v20 row_shr:2 row_mask:0xf bank_mask:0xf
	v_lshlrev_b32_e32 v20, 16, v20
	v_lshlrev_b32_e32 v61, 16, v21
	v_cmp_lt_f32_e32 vcc, v61, v20
	s_nop 1
	v_cndmask_b32_e32 v20, v21, v18, vcc
	v_cmp_lt_u32_e32 vcc, 1, v19
	s_nop 1
	v_cndmask_b32_e32 v18, v18, v20, vcc
	ds_write_b16 v14, v18
.LBB80_57:
	s_or_b64 exec, exec, s[4:5]
	v_cmp_gt_u32_e32 vcc, 64, v0
	v_cmp_lt_u32_e64 s[4:5], 63, v0
	s_waitcnt lgkmcnt(0)
	s_barrier
	s_waitcnt lgkmcnt(0)
                                        ; implicit-def: $vgpr61
	s_and_saveexec_b64 s[6:7], s[4:5]
	s_cbranch_execz .LBB80_59
; %bb.58:
	v_lshl_add_u32 v18, v55, 1, -2
	ds_read_u16 v61, v18
	v_lshlrev_b32_e32 v18, 16, v16
	s_waitcnt lgkmcnt(0)
	v_lshlrev_b32_e32 v19, 16, v61
	v_cmp_lt_f32_e64 s[4:5], v19, v18
	s_nop 1
	v_cndmask_b32_e64 v16, v61, v16, s[4:5]
.LBB80_59:
	s_or_b64 exec, exec, s[6:7]
	v_add_u32_e32 v18, -1, v17
	v_and_b32_e32 v19, 64, v17
	v_cmp_lt_i32_e64 s[4:5], v18, v19
	v_and_b32_e32 v16, 0xffff, v16
	v_cmp_eq_u32_e64 s[6:7], 0, v17
	v_cndmask_b32_e64 v18, v18, v17, s[4:5]
	v_lshlrev_b32_e32 v18, 2, v18
	ds_bpermute_b32 v62, v18, v16
	s_and_saveexec_b64 s[28:29], vcc
	s_cbranch_execz .LBB80_82
; %bb.60:
	v_mov_b32_e32 v19, 0
	ds_read_u16 v63, v19 offset:6
	s_and_saveexec_b64 s[4:5], s[6:7]
	s_cbranch_execz .LBB80_62
; %bb.61:
	s_add_i32 s8, s2, 64
	s_mov_b32 s9, 0
	s_lshl_b64 s[8:9], s[8:9], 2
	s_add_u32 s8, s26, s8
	s_addc_u32 s9, s27, s9
	s_waitcnt lgkmcnt(0)
	v_or_b32_e32 v16, 0x10000, v63
	global_store_dword v19, v16, s[8:9] sc1
.LBB80_62:
	s_or_b64 exec, exec, s[4:5]
	v_xad_u32 v16, v17, -1, s2
	v_add_u32_e32 v18, 64, v16
	v_lshl_add_u64 v[20:21], v[18:19], 2, s[26:27]
	global_load_dword v79, v[20:21], off sc1
	s_waitcnt vmcnt(0)
	v_lshrrev_b32_e32 v64, 16, v79
	v_cmp_eq_u16_sdwa s[8:9], v64, v19 src0_sel:BYTE_0 src1_sel:DWORD
	s_and_saveexec_b64 s[4:5], s[8:9]
	s_cbranch_execz .LBB80_66
; %bb.63:
	s_mov_b64 s[8:9], 0
	v_mov_b32_e32 v18, 0
.LBB80_64:                              ; =>This Inner Loop Header: Depth=1
	global_load_dword v79, v[20:21], off sc1
	s_waitcnt vmcnt(0)
	v_lshrrev_b32_e32 v64, 16, v79
	v_cmp_ne_u16_sdwa s[10:11], v64, v18 src0_sel:BYTE_0 src1_sel:DWORD
	s_or_b64 s[8:9], s[10:11], s[8:9]
	s_andn2_b64 exec, exec, s[8:9]
	s_cbranch_execnz .LBB80_64
; %bb.65:
	s_or_b64 exec, exec, s[8:9]
.LBB80_66:
	s_or_b64 exec, exec, s[4:5]
	v_and_b32_e32 v76, 63, v17
	v_cmp_ne_u32_e32 vcc, 63, v76
	v_mov_b32_e32 v65, 2
	v_and_b32_e32 v68, 0xffff, v79
	v_addc_co_u32_e32 v66, vcc, 0, v17, vcc
	v_lshlrev_b32_e32 v66, 2, v66
	v_cmp_eq_u16_sdwa s[4:5], v64, v65 src0_sel:BYTE_0 src1_sel:DWORD
	v_lshlrev_b64 v[18:19], v17, -1
	ds_bpermute_b32 v69, v66, v68
	v_and_b32_e32 v20, s5, v19
	v_or_b32_e32 v20, 0x80000000, v20
	v_and_b32_e32 v21, s4, v18
	v_ffbl_b32_e32 v20, v20
	v_add_u32_e32 v20, 32, v20
	v_ffbl_b32_e32 v21, v21
	v_min_u32_e32 v81, v21, v20
	s_waitcnt lgkmcnt(0)
	v_lshlrev_b32_e32 v20, 16, v69
	v_lshlrev_b32_e32 v21, 16, v79
	v_cmp_lt_f32_e32 vcc, v20, v21
	v_add_u32_e32 v67, 1, v17
	v_cmp_le_u32_e64 s[8:9], v67, v81
	v_cndmask_b32_e32 v20, v69, v79, vcc
	v_and_b32_e32 v21, 0xffff, v20
	v_cmp_gt_u32_e32 vcc, 62, v76
	v_cndmask_b32_e64 v21, v68, v21, s[8:9]
	v_lshlrev_b32_e32 v71, 16, v21
	v_cndmask_b32_e64 v68, 0, 1, vcc
	v_lshlrev_b32_e32 v68, 1, v68
	v_add_lshl_u32 v68, v68, v17, 2
	ds_bpermute_b32 v70, v68, v21
	v_cndmask_b32_e64 v20, v79, v20, s[8:9]
	v_add_u32_e32 v69, 2, v17
	v_cmp_le_u32_e64 s[10:11], v69, v81
	v_cmp_gt_u32_e64 s[4:5], 32, v76
	s_waitcnt lgkmcnt(0)
	v_lshlrev_b32_e32 v72, 16, v70
	v_cmp_lt_f32_e32 vcc, v72, v71
	s_nop 1
	v_cndmask_b32_e32 v71, v70, v20, vcc
	v_and_b32_e32 v70, 0xffff, v71
	v_cmp_gt_u32_e32 vcc, 60, v76
	v_cndmask_b32_e64 v21, v21, v70, s[10:11]
	v_lshlrev_b32_e32 v73, 16, v21
	v_cndmask_b32_e64 v70, 0, 1, vcc
	v_lshlrev_b32_e32 v70, 2, v70
	v_add_lshl_u32 v70, v70, v17, 2
	ds_bpermute_b32 v72, v70, v21
	v_cndmask_b32_e64 v20, v20, v71, s[10:11]
	v_add_u32_e32 v71, 4, v17
	v_cmp_le_u32_e64 s[12:13], v71, v81
	s_waitcnt lgkmcnt(0)
	v_lshlrev_b32_e32 v74, 16, v72
	v_cmp_lt_f32_e32 vcc, v74, v73
	s_nop 1
	v_cndmask_b32_e32 v73, v72, v20, vcc
	v_and_b32_e32 v72, 0xffff, v73
	v_cmp_gt_u32_e32 vcc, 56, v76
	v_cndmask_b32_e64 v21, v21, v72, s[12:13]
	v_lshlrev_b32_e32 v75, 16, v21
	v_cndmask_b32_e64 v72, 0, 1, vcc
	v_lshlrev_b32_e32 v72, 3, v72
	v_add_lshl_u32 v72, v72, v17, 2
	ds_bpermute_b32 v74, v72, v21
	v_cndmask_b32_e64 v20, v20, v73, s[12:13]
	v_add_u32_e32 v73, 8, v17
	v_cmp_le_u32_e64 s[14:15], v73, v81
	s_waitcnt lgkmcnt(0)
	v_lshlrev_b32_e32 v77, 16, v74
	v_cmp_lt_f32_e32 vcc, v77, v75
	s_nop 1
	v_cndmask_b32_e32 v75, v74, v20, vcc
	v_and_b32_e32 v74, 0xffff, v75
	v_cmp_gt_u32_e32 vcc, 48, v76
	v_cndmask_b32_e64 v77, v21, v74, s[14:15]
	v_lshlrev_b32_e32 v78, 16, v77
	v_cndmask_b32_e64 v21, 0, 1, vcc
	v_lshlrev_b32_e32 v21, 4, v21
	v_add_lshl_u32 v74, v21, v17, 2
	ds_bpermute_b32 v21, v74, v77
	v_cndmask_b32_e64 v20, v20, v75, s[14:15]
	v_add_u32_e32 v75, 16, v17
	v_cndmask_b32_e64 v76, 0, 1, s[4:5]
	v_lshlrev_b32_e32 v76, 5, v76
	s_waitcnt lgkmcnt(0)
	v_lshlrev_b32_e32 v80, 16, v21
	v_cmp_lt_f32_e32 vcc, v80, v78
	v_add_lshl_u32 v76, v76, v17, 2
	s_nop 0
	v_cndmask_b32_e32 v21, v21, v20, vcc
	v_and_b32_e32 v78, 0xffff, v21
	v_cmp_le_u32_e32 vcc, v75, v81
	s_nop 1
	v_cndmask_b32_e32 v78, v77, v78, vcc
	v_add_u32_e32 v77, 32, v17
	v_cmp_le_u32_e64 s[16:17], v77, v81
	ds_bpermute_b32 v80, v76, v78
	s_or_b64 s[10:11], s[10:11], s[16:17]
	s_or_b64 s[8:9], s[8:9], s[10:11]
	;; [unrolled: 1-line block ×4, first 2 shown]
	v_cmp_gt_u32_e64 s[4:5], v77, v81
	s_or_b64 s[10:11], vcc, s[8:9]
	s_and_saveexec_b64 s[8:9], s[10:11]
	s_cbranch_execz .LBB80_68
; %bb.67:
	v_cndmask_b32_e32 v17, v20, v21, vcc
	s_waitcnt lgkmcnt(0)
	v_lshlrev_b32_e32 v20, 16, v80
	v_lshlrev_b32_e32 v21, 16, v78
	v_cmp_lt_f32_e32 vcc, v20, v21
	s_or_b64 vcc, s[4:5], vcc
	s_nop 0
	v_cndmask_b32_e32 v79, v80, v17, vcc
.LBB80_68:
	s_or_b64 exec, exec, s[8:9]
	v_mov_b32_e32 v17, 0
	s_branch .LBB80_70
.LBB80_69:                              ;   in Loop: Header=BB80_70 Depth=1
                                        ; implicit-def: $vgpr79
                                        ; implicit-def: $vgpr64
	s_cbranch_execnz .LBB80_78
.LBB80_70:                              ; =>This Loop Header: Depth=1
                                        ;     Child Loop BB80_73 Depth 2
	v_cmp_ne_u16_sdwa s[4:5], v64, v65 src0_sel:BYTE_0 src1_sel:DWORD
	v_mov_b32_e32 v78, v79
	s_nop 0
	v_cndmask_b32_e64 v20, 0, 1, s[4:5]
	;;#ASMSTART
	;;#ASMEND
	s_nop 0
	v_cmp_ne_u32_e32 vcc, 0, v20
	s_cmp_lg_u64 vcc, exec
	s_cbranch_scc1 .LBB80_69
; %bb.71:                               ;   in Loop: Header=BB80_70 Depth=1
	v_lshl_add_u64 v[20:21], v[16:17], 2, s[26:27]
	global_load_dword v79, v[20:21], off sc1
	s_waitcnt vmcnt(0)
	v_lshrrev_b32_e32 v64, 16, v79
	v_cmp_eq_u16_sdwa s[8:9], v64, v17 src0_sel:BYTE_0 src1_sel:DWORD
	s_and_saveexec_b64 s[4:5], s[8:9]
	s_cbranch_execz .LBB80_75
; %bb.72:                               ;   in Loop: Header=BB80_70 Depth=1
	s_mov_b64 s[8:9], 0
.LBB80_73:                              ;   Parent Loop BB80_70 Depth=1
                                        ; =>  This Inner Loop Header: Depth=2
	global_load_dword v79, v[20:21], off sc1
	s_waitcnt vmcnt(0)
	v_lshrrev_b32_e32 v64, 16, v79
	v_cmp_ne_u16_sdwa s[10:11], v64, v17 src0_sel:BYTE_0 src1_sel:DWORD
	s_or_b64 s[8:9], s[10:11], s[8:9]
	s_andn2_b64 exec, exec, s[8:9]
	s_cbranch_execnz .LBB80_73
; %bb.74:                               ;   in Loop: Header=BB80_70 Depth=1
	s_or_b64 exec, exec, s[8:9]
.LBB80_75:                              ;   in Loop: Header=BB80_70 Depth=1
	s_or_b64 exec, exec, s[4:5]
	s_waitcnt lgkmcnt(0)
	v_and_b32_e32 v80, 0xffff, v79
	v_cmp_eq_u16_sdwa s[4:5], v64, v65 src0_sel:BYTE_0 src1_sel:DWORD
	ds_bpermute_b32 v81, v66, v80
	s_nop 0
	v_and_b32_e32 v20, s5, v19
	v_or_b32_e32 v20, 0x80000000, v20
	v_and_b32_e32 v21, s4, v18
	v_ffbl_b32_e32 v20, v20
	v_add_u32_e32 v20, 32, v20
	v_ffbl_b32_e32 v21, v21
	v_min_u32_e32 v82, v21, v20
	v_lshlrev_b32_e32 v20, 16, v79
	s_waitcnt lgkmcnt(0)
	v_lshlrev_b32_e32 v21, 16, v81
	v_cmp_lt_f32_e32 vcc, v21, v20
	v_cmp_le_u32_e64 s[8:9], v67, v82
	v_cmp_le_u32_e64 s[10:11], v69, v82
	v_cndmask_b32_e32 v20, v81, v79, vcc
	v_and_b32_e32 v21, 0xffff, v20
	v_cndmask_b32_e64 v21, v80, v21, s[8:9]
	ds_bpermute_b32 v80, v68, v21
	v_lshlrev_b32_e32 v81, 16, v21
	v_cndmask_b32_e64 v20, v79, v20, s[8:9]
	v_cmp_le_u32_e64 s[12:13], v71, v82
	v_cmp_le_u32_e64 s[14:15], v73, v82
	s_waitcnt lgkmcnt(0)
	v_lshlrev_b32_e32 v83, 16, v80
	v_cmp_lt_f32_e32 vcc, v83, v81
	v_cmp_le_u32_e64 s[4:5], v75, v82
	v_cmp_le_u32_e64 s[16:17], v77, v82
	v_cndmask_b32_e32 v80, v80, v20, vcc
	v_and_b32_e32 v81, 0xffff, v80
	v_cndmask_b32_e64 v21, v21, v81, s[10:11]
	ds_bpermute_b32 v81, v70, v21
	v_cndmask_b32_e64 v20, v20, v80, s[10:11]
	v_lshlrev_b32_e32 v80, 16, v21
	s_or_b64 s[10:11], s[10:11], s[16:17]
	s_or_b64 s[8:9], s[8:9], s[10:11]
	s_waitcnt lgkmcnt(0)
	v_lshlrev_b32_e32 v83, 16, v81
	v_cmp_lt_f32_e32 vcc, v83, v80
	s_or_b64 s[8:9], s[12:13], s[8:9]
	s_or_b64 s[8:9], s[14:15], s[8:9]
	v_cndmask_b32_e32 v80, v81, v20, vcc
	v_and_b32_e32 v81, 0xffff, v80
	v_cndmask_b32_e64 v21, v21, v81, s[12:13]
	ds_bpermute_b32 v81, v72, v21
	v_cndmask_b32_e64 v20, v20, v80, s[12:13]
	v_lshlrev_b32_e32 v80, 16, v21
	s_or_b64 s[10:11], s[4:5], s[8:9]
	s_waitcnt lgkmcnt(0)
	v_lshlrev_b32_e32 v83, 16, v81
	v_cmp_lt_f32_e32 vcc, v83, v80
	s_nop 1
	v_cndmask_b32_e32 v80, v81, v20, vcc
	v_and_b32_e32 v81, 0xffff, v80
	v_cndmask_b32_e64 v21, v21, v81, s[14:15]
	ds_bpermute_b32 v81, v74, v21
	v_cndmask_b32_e64 v20, v20, v80, s[14:15]
	v_lshlrev_b32_e32 v80, 16, v21
	s_waitcnt lgkmcnt(0)
	v_lshlrev_b32_e32 v83, 16, v81
	v_cmp_lt_f32_e32 vcc, v83, v80
	s_nop 1
	v_cndmask_b32_e32 v80, v81, v20, vcc
	v_and_b32_e32 v81, 0xffff, v80
	v_cndmask_b32_e64 v81, v21, v81, s[4:5]
	ds_bpermute_b32 v21, v76, v81
	v_cmp_gt_u32_e32 vcc, v77, v82
	s_and_saveexec_b64 s[8:9], s[10:11]
	s_cbranch_execz .LBB80_77
; %bb.76:                               ;   in Loop: Header=BB80_70 Depth=1
	v_cndmask_b32_e64 v20, v20, v80, s[4:5]
	s_waitcnt lgkmcnt(0)
	v_lshlrev_b32_e32 v79, 16, v21
	v_lshlrev_b32_e32 v80, 16, v81
	v_cmp_lt_f32_e64 s[4:5], v79, v80
	s_or_b64 vcc, vcc, s[4:5]
	v_cndmask_b32_e32 v79, v21, v20, vcc
.LBB80_77:                              ;   in Loop: Header=BB80_70 Depth=1
	s_or_b64 exec, exec, s[8:9]
	v_lshlrev_b32_e32 v20, 16, v78
	s_waitcnt lgkmcnt(0)
	v_lshlrev_b32_e32 v21, 16, v79
	v_cmp_lt_f32_e32 vcc, v21, v20
	v_subrev_u32_e32 v16, 64, v16
	s_nop 0
	v_cndmask_b32_e32 v79, v79, v78, vcc
	s_branch .LBB80_70
.LBB80_78:
	s_and_saveexec_b64 s[4:5], s[6:7]
	s_cbranch_execz .LBB80_80
; %bb.79:
	v_lshlrev_b32_e32 v16, 16, v63
	v_lshlrev_b32_e32 v17, 16, v78
	s_add_i32 s2, s2, 64
	s_mov_b32 s3, 0
	v_cmp_lt_f32_e32 vcc, v17, v16
	s_lshl_b64 s[2:3], s[2:3], 2
	s_add_u32 s2, s26, s2
	v_cndmask_b32_e32 v16, v78, v63, vcc
	s_mov_b32 s8, 0x20000
	s_addc_u32 s3, s27, s3
	v_mov_b32_e32 v17, 0
	v_or_b32_sdwa v16, v16, s8 dst_sel:DWORD dst_unused:UNUSED_PAD src0_sel:WORD_0 src1_sel:DWORD
	global_store_dword v17, v16, s[2:3] sc1
.LBB80_80:
	s_or_b64 exec, exec, s[4:5]
	v_cmp_eq_u32_e32 vcc, 0, v0
	s_and_b64 exec, exec, vcc
	s_cbranch_execz .LBB80_82
; %bb.81:
	v_mov_b32_e32 v16, 0
	ds_write_b16 v16, v78 offset:6
.LBB80_82:
	s_or_b64 exec, exec, s[28:29]
	v_mov_b32_e32 v16, 0
	s_waitcnt lgkmcnt(0)
	s_barrier
	ds_read_u16 v16, v16 offset:6
	v_cndmask_b32_e64 v17, v62, v61, s[6:7]
	v_lshlrev_b32_e32 v18, 16, v17
	s_waitcnt lgkmcnt(0)
	v_lshlrev_b32_e32 v19, 16, v16
	v_cmp_lt_f32_e32 vcc, v19, v18
	s_nop 1
	v_cndmask_b32_e32 v17, v16, v17, vcc
	v_cmp_eq_u32_e32 vcc, 0, v0
	s_nop 1
	v_cndmask_b32_e32 v17, v17, v16, vcc
	v_lshlrev_b32_e32 v16, 16, v17
	v_cmp_gt_f32_e32 vcc, v54, v16
	s_nop 1
	v_cndmask_b32_e32 v16, v17, v10, vcc
	v_lshlrev_b32_e32 v18, 16, v16
	v_cmp_gt_f32_e32 vcc, v60, v18
	;; [unrolled: 4-line block ×23, first 2 shown]
	s_nop 1
	v_cndmask_b32_e32 v72, v77, v5, vcc
	s_load_dwordx4 s[4:7], s[0:1], 0x30
	s_branch .LBB80_97
.LBB80_83:
                                        ; implicit-def: $vgpr17
                                        ; implicit-def: $vgpr16
                                        ; implicit-def: $vgpr18
                                        ; implicit-def: $vgpr19
                                        ; implicit-def: $vgpr20
                                        ; implicit-def: $vgpr21
                                        ; implicit-def: $vgpr60
                                        ; implicit-def: $vgpr62
                                        ; implicit-def: $vgpr61
                                        ; implicit-def: $vgpr63
                                        ; implicit-def: $vgpr64
                                        ; implicit-def: $vgpr65
                                        ; implicit-def: $vgpr66
                                        ; implicit-def: $vgpr67
                                        ; implicit-def: $vgpr68
                                        ; implicit-def: $vgpr70
                                        ; implicit-def: $vgpr69
                                        ; implicit-def: $vgpr71
                                        ; implicit-def: $vgpr73
                                        ; implicit-def: $vgpr74
                                        ; implicit-def: $vgpr75
                                        ; implicit-def: $vgpr76
                                        ; implicit-def: $vgpr77
                                        ; implicit-def: $vgpr72
	s_load_dwordx4 s[4:7], s[0:1], 0x30
	s_cbranch_execz .LBB80_97
; %bb.84:
	s_load_dword s2, s[0:1], 0x40
	s_load_dword s3, s[0:1], 0x18
	s_waitcnt lgkmcnt(0)
	s_bitcmp0_b32 s2, 0
	v_mov_b32_e32 v72, s3
	s_cbranch_scc1 .LBB80_86
; %bb.85:
	v_mov_b32_e32 v16, 0
	global_load_ushort v17, v16, s[20:21] offset:-2
	global_load_ushort v18, v16, s[4:5]
	s_waitcnt vmcnt(1)
	v_lshlrev_b32_e32 v16, 16, v17
	s_waitcnt vmcnt(0)
	v_lshlrev_b32_e32 v19, 16, v18
	v_cmp_lt_f32_e32 vcc, v19, v16
	s_nop 1
	v_cndmask_b32_e32 v72, v18, v17, vcc
.LBB80_86:
	v_and_b32_e32 v18, 0xffff0000, v10
	v_cmp_lt_f32_e32 vcc, v54, v18
	s_nop 1
	v_cndmask_b32_e32 v16, v10, v53, vcc
	v_lshlrev_b32_e32 v17, 16, v16
	v_cmp_lt_f32_e32 vcc, v17, v52
	s_nop 1
	v_cndmask_b32_e32 v16, v16, v11, vcc
	v_lshlrev_b32_e32 v17, 16, v16
	;; [unrolled: 4-line block ×22, first 2 shown]
	v_cmp_lt_f32_e32 vcc, v17, v58
	s_nop 1
	v_cndmask_b32_e32 v17, v16, v57, vcc
	v_and_b32_e32 v20, 0xffff, v17
	v_lshlrev_b32_e32 v58, 16, v17
	v_mbcnt_hi_u32_b32 v16, -1, v59
	v_mov_b32_dpp v21, v20 row_shr:1 row_mask:0xf bank_mask:0xf
	v_lshlrev_b32_e32 v57, 16, v21
	v_cmp_lt_f32_e32 vcc, v57, v58
	v_and_b32_e32 v19, 15, v16
	s_nop 0
	v_cndmask_b32_e32 v21, v21, v17, vcc
	v_and_b32_e32 v57, 0xffff, v21
	v_cmp_eq_u32_e32 vcc, 0, v19
	s_nop 1
	v_cndmask_b32_e32 v20, v57, v20, vcc
	v_cndmask_b32_e32 v17, v21, v17, vcc
	v_lshlrev_b32_e32 v57, 16, v20
	v_mov_b32_dpp v21, v20 row_shr:2 row_mask:0xf bank_mask:0xf
	v_lshlrev_b32_e32 v58, 16, v21
	v_cmp_lt_f32_e32 vcc, v58, v57
	s_nop 1
	v_cndmask_b32_e32 v21, v21, v17, vcc
	v_and_b32_e32 v57, 0xffff, v21
	v_cmp_lt_u32_e32 vcc, 1, v19
	s_nop 1
	v_cndmask_b32_e32 v20, v20, v57, vcc
	v_cndmask_b32_e32 v17, v17, v21, vcc
	v_lshlrev_b32_e32 v57, 16, v20
	v_mov_b32_dpp v21, v20 row_shr:4 row_mask:0xf bank_mask:0xf
	v_lshlrev_b32_e32 v58, 16, v21
	v_cmp_lt_f32_e32 vcc, v58, v57
	s_nop 1
	v_cndmask_b32_e32 v21, v21, v17, vcc
	v_and_b32_e32 v57, 0xffff, v21
	v_cmp_lt_u32_e32 vcc, 3, v19
	;; [unrolled: 11-line block ×3, first 2 shown]
	s_nop 1
	v_cndmask_b32_e32 v19, v20, v57, vcc
	v_lshlrev_b32_e32 v57, 16, v19
	v_cndmask_b32_e32 v17, v17, v21, vcc
	v_mov_b32_dpp v20, v19 row_bcast:15 row_mask:0xf bank_mask:0xf
	v_lshlrev_b32_e32 v58, 16, v20
	v_cmp_lt_f32_e32 vcc, v58, v57
	v_and_b32_e32 v21, 16, v16
	s_nop 0
	v_cndmask_b32_e32 v20, v20, v17, vcc
	v_and_b32_e32 v57, 0xffff, v20
	v_cmp_eq_u32_e32 vcc, 0, v21
	s_nop 1
	v_cndmask_b32_e32 v19, v57, v19, vcc
	v_cndmask_b32_e32 v17, v20, v17, vcc
	s_nop 0
	v_mov_b32_dpp v20, v19 row_bcast:31 row_mask:0xf bank_mask:0xf
	v_lshlrev_b32_e32 v19, 16, v19
	v_lshlrev_b32_e32 v21, 16, v20
	v_cmp_lt_f32_e32 vcc, v21, v19
	s_nop 1
	v_cndmask_b32_e32 v19, v20, v17, vcc
	v_cmp_lt_u32_e32 vcc, 31, v16
	s_nop 1
	v_cndmask_b32_e32 v17, v17, v19, vcc
	v_cmp_eq_u32_e32 vcc, v56, v0
	s_and_saveexec_b64 s[2:3], vcc
	s_cbranch_execz .LBB80_88
; %bb.87:
	v_lshlrev_b32_e32 v19, 1, v55
	ds_write_b16 v19, v17
.LBB80_88:
	s_or_b64 exec, exec, s[2:3]
	v_cmp_gt_u32_e32 vcc, 4, v0
	s_waitcnt lgkmcnt(0)
	s_barrier
	s_and_saveexec_b64 s[2:3], vcc
	s_cbranch_execz .LBB80_90
; %bb.89:
	s_movk_i32 s4, 0xffd2
	v_mad_i32_i24 v19, v0, s4, v1
	ds_read_u16 v20, v19
	v_and_b32_e32 v21, 3, v16
	s_waitcnt lgkmcnt(0)
	v_and_b32_e32 v56, 0xffff, v20
	s_nop 1
	v_mov_b32_dpp v58, v56 row_shr:1 row_mask:0xf bank_mask:0xf
	v_lshlrev_b32_e32 v57, 16, v20
	v_lshlrev_b32_e32 v59, 16, v58
	v_cmp_lt_f32_e32 vcc, v59, v57
	s_nop 1
	v_cndmask_b32_e32 v57, v58, v20, vcc
	v_and_b32_e32 v58, 0xffff, v57
	v_cmp_eq_u32_e32 vcc, 0, v21
	s_nop 1
	v_cndmask_b32_e32 v56, v58, v56, vcc
	v_cndmask_b32_e32 v20, v57, v20, vcc
	s_nop 0
	v_mov_b32_dpp v57, v56 row_shr:2 row_mask:0xf bank_mask:0xf
	v_lshlrev_b32_e32 v56, 16, v56
	v_lshlrev_b32_e32 v58, 16, v57
	v_cmp_lt_f32_e32 vcc, v58, v56
	s_nop 1
	v_cndmask_b32_e32 v56, v57, v20, vcc
	v_cmp_lt_u32_e32 vcc, 1, v21
	s_nop 1
	v_cndmask_b32_e32 v20, v20, v56, vcc
	ds_write_b16 v19, v20
.LBB80_90:
	s_or_b64 exec, exec, s[2:3]
	v_cmp_lt_u32_e32 vcc, 63, v0
	v_lshlrev_b32_e32 v20, 16, v72
	s_waitcnt lgkmcnt(0)
	s_barrier
	s_waitcnt lgkmcnt(0)
                                        ; implicit-def: $vgpr19
                                        ; implicit-def: $vgpr56
	s_and_saveexec_b64 s[2:3], vcc
	s_xor_b64 s[2:3], exec, s[2:3]
	s_cbranch_execz .LBB80_92
; %bb.91:
	v_lshl_add_u32 v19, v55, 1, -2
	ds_read_u16 v19, v19
	v_lshlrev_b32_e32 v56, 16, v72
	s_waitcnt lgkmcnt(0)
	v_lshlrev_b32_e32 v20, 16, v19
	v_cmp_lt_f32_e32 vcc, v56, v20
	s_nop 1
	v_cndmask_b32_e32 v19, v72, v19, vcc
	v_lshlrev_b32_e32 v20, 16, v19
.LBB80_92:
	s_andn2_saveexec_b64 s[2:3], s[2:3]
; %bb.93:
	v_mov_b32_e32 v56, v20
	v_mov_b32_e32 v19, v72
; %bb.94:
	s_or_b64 exec, exec, s[2:3]
	v_lshlrev_b32_e32 v21, 16, v17
	v_cmp_lt_f32_e32 vcc, v20, v21
	v_add_u32_e32 v20, -1, v16
	v_and_b32_e32 v21, 64, v16
	v_cndmask_b32_e32 v17, v19, v17, vcc
	v_cmp_lt_i32_e32 vcc, v20, v21
	v_and_b32_e32 v17, 0xffff, v17
	v_cmp_eq_u32_e64 s[2:3], 0, v0
	v_cndmask_b32_e32 v20, v20, v16, vcc
	v_lshlrev_b32_e32 v20, 2, v20
	ds_bpermute_b32 v17, v20, v17
	v_cmp_eq_u32_e32 vcc, 0, v16
	s_waitcnt lgkmcnt(0)
	s_nop 0
	v_cndmask_b32_e32 v17, v17, v19, vcc
	v_cndmask_b32_e64 v16, v17, v72, s[2:3]
	v_lshlrev_b32_e32 v19, 16, v16
	v_cmp_gt_f32_e32 vcc, v54, v19
	s_nop 1
	v_cndmask_b32_e32 v16, v16, v10, vcc
	v_lshlrev_b32_e32 v10, 16, v16
	v_cmp_gt_f32_e32 vcc, v18, v10
	s_nop 1
	v_cndmask_b32_e32 v18, v16, v53, vcc
	;; [unrolled: 4-line block ×22, first 2 shown]
	v_lshlrev_b32_e32 v2, 16, v77
	v_cmp_gt_f32_e32 vcc, v27, v2
	s_and_saveexec_b64 s[4:5], s[2:3]
	s_cbranch_execz .LBB80_96
; %bb.95:
	v_mov_b32_e32 v2, 0
	ds_read_u16 v3, v2 offset:6
	s_mov_b32 s8, 0x20000
	v_mov_b32_e32 v17, v72
	s_waitcnt lgkmcnt(0)
	v_lshlrev_b32_e32 v4, 16, v3
	v_cmp_lt_f32_e64 s[2:3], v56, v4
	s_nop 1
	v_cndmask_b32_e64 v3, v72, v3, s[2:3]
	v_or_b32_sdwa v3, v3, s8 dst_sel:DWORD dst_unused:UNUSED_PAD src0_sel:WORD_0 src1_sel:DWORD
	global_store_dword v2, v3, s[26:27] offset:256 sc1
.LBB80_96:
	s_or_b64 exec, exec, s[4:5]
	v_cndmask_b32_e32 v72, v77, v5, vcc
.LBB80_97:
	s_add_u32 s2, s22, s24
	s_addc_u32 s3, s23, s25
	s_waitcnt lgkmcnt(0)
	s_mov_b64 s[4:5], -1
	s_and_b64 vcc, exec, s[18:19]
	s_barrier
	s_cbranch_vccz .LBB80_99
; %bb.98:
	s_mov_b32 s4, 0x5040100
	v_perm_b32 v5, v62, v60, s4
	v_perm_b32 v4, v21, v20, s4
	;; [unrolled: 1-line block ×4, first 2 shown]
	ds_write_b128 v1, v[2:5]
	v_perm_b32 v5, v70, v68, s4
	v_perm_b32 v4, v67, v66, s4
	v_perm_b32 v3, v65, v64, s4
	v_perm_b32 v2, v63, v61, s4
	ds_write_b128 v1, v[2:5] offset:16
	v_perm_b32 v5, v72, v77, s4
	v_perm_b32 v4, v76, v75, s4
	v_perm_b32 v3, v74, v73, s4
	v_perm_b32 v2, v71, v69, s4
	v_mov_b32_e32 v15, 0
	ds_write_b128 v1, v[2:5] offset:32
	s_waitcnt lgkmcnt(0)
	s_barrier
	ds_read_u16 v4, v14
	ds_read_u16 v5, v14 offset:512
	ds_read_u16 v6, v14 offset:1024
	;; [unrolled: 1-line block ×23, first 2 shown]
	v_lshl_add_u64 v[2:3], s[2:3], 0, v[14:15]
	s_movk_i32 s4, 0x1000
	s_waitcnt lgkmcnt(14)
	global_store_short v14, v4, s[2:3]
	global_store_short v14, v5, s[2:3] offset:512
	global_store_short v14, v6, s[2:3] offset:1024
	;; [unrolled: 1-line block ×7, first 2 shown]
	v_add_co_u32_e32 v4, vcc, s4, v2
	s_mov_b64 s[4:5], 0
	s_nop 0
	v_addc_co_u32_e32 v5, vcc, 0, v3, vcc
	v_add_co_u32_e32 v2, vcc, 0x2000, v2
	global_store_short v[4:5], v12, off
	global_store_short v[4:5], v13, off offset:512
	s_waitcnt lgkmcnt(13)
	global_store_short v[4:5], v23, off offset:1024
	s_waitcnt lgkmcnt(12)
	;; [unrolled: 2-line block ×6, first 2 shown]
	global_store_short v[4:5], v28, off offset:3584
	v_addc_co_u32_e32 v3, vcc, 0, v3, vcc
	s_waitcnt lgkmcnt(7)
	global_store_short v[2:3], v29, off
	s_waitcnt lgkmcnt(6)
	global_store_short v[2:3], v30, off offset:512
	s_waitcnt lgkmcnt(5)
	global_store_short v[2:3], v31, off offset:1024
	;; [unrolled: 2-line block ×7, first 2 shown]
.LBB80_99:
	s_andn2_b64 vcc, exec, s[4:5]
	s_cbranch_vccnz .LBB80_156
; %bb.100:
	s_mov_b32 s4, 0x5040100
	v_perm_b32 v5, v62, v60, s4
	v_perm_b32 v4, v21, v20, s4
	;; [unrolled: 1-line block ×4, first 2 shown]
	ds_write_b128 v1, v[2:5]
	v_perm_b32 v5, v70, v68, s4
	v_perm_b32 v4, v67, v66, s4
	;; [unrolled: 1-line block ×4, first 2 shown]
	ds_write_b128 v1, v[2:5] offset:16
	v_perm_b32 v5, v72, v77, s4
	v_perm_b32 v4, v76, v75, s4
	;; [unrolled: 1-line block ×4, first 2 shown]
	s_movk_i32 s4, 0xffd2
	ds_write_b128 v1, v[2:5] offset:32
	v_mad_i32_i24 v1, v0, s4, v1
	s_waitcnt lgkmcnt(0)
	s_barrier
	ds_read_u16 v5, v1
	ds_read_u16 v4, v1 offset:512
	ds_read_u16 v7, v1 offset:1024
	;; [unrolled: 1-line block ×23, first 2 shown]
	v_mov_b32_e32 v15, 0
	v_lshl_add_u64 v[2:3], s[2:3], 0, v[14:15]
	v_cmp_gt_u32_e32 vcc, s30, v0
	s_and_saveexec_b64 s[2:3], vcc
	s_cbranch_execz .LBB80_102
; %bb.101:
	s_waitcnt lgkmcnt(14)
	global_store_short v[2:3], v5, off
.LBB80_102:
	s_or_b64 exec, exec, s[2:3]
	v_or_b32_e32 v1, 0x100, v0
	v_cmp_gt_u32_e32 vcc, s30, v1
	s_and_saveexec_b64 s[2:3], vcc
	s_cbranch_execz .LBB80_104
; %bb.103:
	s_waitcnt lgkmcnt(14)
	global_store_short v[2:3], v4, off offset:512
.LBB80_104:
	s_or_b64 exec, exec, s[2:3]
	v_or_b32_e32 v1, 0x200, v0
	v_cmp_gt_u32_e32 vcc, s30, v1
	s_and_saveexec_b64 s[2:3], vcc
	s_cbranch_execz .LBB80_106
; %bb.105:
	s_waitcnt lgkmcnt(14)
	global_store_short v[2:3], v7, off offset:1024
.LBB80_106:
	;; [unrolled: 9-line block ×7, first 2 shown]
	s_or_b64 exec, exec, s[2:3]
	v_or_b32_e32 v1, 0x800, v0
	v_cmp_gt_u32_e32 vcc, s30, v1
	s_and_saveexec_b64 s[2:3], vcc
	s_cbranch_execz .LBB80_118
; %bb.117:
	v_add_co_u32_e32 v32, vcc, 0x1000, v2
	s_nop 1
	v_addc_co_u32_e32 v33, vcc, 0, v3, vcc
	s_waitcnt lgkmcnt(14)
	global_store_short v[32:33], v18, off
.LBB80_118:
	s_or_b64 exec, exec, s[2:3]
	v_or_b32_e32 v1, 0x900, v0
	v_cmp_gt_u32_e32 vcc, s30, v1
	s_and_saveexec_b64 s[2:3], vcc
	s_cbranch_execz .LBB80_120
; %bb.119:
	v_add_co_u32_e32 v32, vcc, 0x1000, v2
	s_nop 1
	v_addc_co_u32_e32 v33, vcc, 0, v3, vcc
	s_waitcnt lgkmcnt(14)
	global_store_short v[32:33], v26, off offset:512
.LBB80_120:
	s_or_b64 exec, exec, s[2:3]
	v_or_b32_e32 v1, 0xa00, v0
	v_cmp_gt_u32_e32 vcc, s30, v1
	s_and_saveexec_b64 s[2:3], vcc
	s_cbranch_execz .LBB80_122
; %bb.121:
	v_add_co_u32_e32 v32, vcc, 0x1000, v2
	s_nop 1
	v_addc_co_u32_e32 v33, vcc, 0, v3, vcc
	s_waitcnt lgkmcnt(13)
	global_store_short v[32:33], v23, off offset:1024
.LBB80_122:
	;; [unrolled: 12-line block ×7, first 2 shown]
	s_or_b64 exec, exec, s[2:3]
	v_or_b32_e32 v1, 0x1000, v0
	v_cmp_gt_u32_e32 vcc, s30, v1
	s_and_saveexec_b64 s[2:3], vcc
	s_cbranch_execz .LBB80_134
; %bb.133:
	v_add_co_u32_e32 v32, vcc, 0x2000, v2
	s_nop 1
	v_addc_co_u32_e32 v33, vcc, 0, v3, vcc
	s_waitcnt lgkmcnt(7)
	global_store_short v[32:33], v25, off
.LBB80_134:
	s_or_b64 exec, exec, s[2:3]
	v_or_b32_e32 v1, 0x1100, v0
	v_cmp_gt_u32_e32 vcc, s30, v1
	s_and_saveexec_b64 s[2:3], vcc
	s_cbranch_execz .LBB80_136
; %bb.135:
	v_add_co_u32_e32 v32, vcc, 0x2000, v2
	s_nop 1
	v_addc_co_u32_e32 v33, vcc, 0, v3, vcc
	s_waitcnt lgkmcnt(6)
	global_store_short v[32:33], v28, off offset:512
.LBB80_136:
	s_or_b64 exec, exec, s[2:3]
	v_or_b32_e32 v1, 0x1200, v0
	v_cmp_gt_u32_e32 vcc, s30, v1
	s_and_saveexec_b64 s[2:3], vcc
	s_cbranch_execz .LBB80_138
; %bb.137:
	v_add_co_u32_e32 v32, vcc, 0x2000, v2
	s_nop 1
	v_addc_co_u32_e32 v33, vcc, 0, v3, vcc
	s_waitcnt lgkmcnt(5)
	global_store_short v[32:33], v27, off offset:1024
.LBB80_138:
	;; [unrolled: 12-line block ×7, first 2 shown]
	s_or_b64 exec, exec, s[2:3]
	s_load_dword s0, s[0:1], 0x40
	s_waitcnt lgkmcnt(0)
	s_bfe_u32 s0, s0, 0x10008
	s_cmp_eq_u32 s0, 0
	s_cbranch_scc1 .LBB80_156
; %bb.149:
	s_add_u32 s0, s30, -1
	s_addc_u32 s1, s31, -1
	s_add_u32 s2, 0, 0xaaaa0000
	s_addc_u32 s3, 0, 42
	s_add_i32 s3, s3, 0xaaaaa80
	s_mul_hi_u32 s9, s2, 0xffffffe8
	s_sub_i32 s9, s9, s2
	s_mul_i32 s10, s3, 0xffffffe8
	s_mul_i32 s4, s2, 0xffffffe8
	s_add_i32 s9, s9, s10
	s_mul_hi_u32 s5, s3, s4
	s_mul_i32 s8, s3, s4
	s_mul_i32 s11, s2, s9
	s_mul_hi_u32 s4, s2, s4
	s_mul_hi_u32 s10, s2, s9
	s_add_u32 s4, s4, s11
	s_addc_u32 s10, 0, s10
	s_add_u32 s4, s4, s8
	s_mul_hi_u32 s11, s3, s9
	s_addc_u32 s4, s10, s5
	s_addc_u32 s5, s11, 0
	s_mul_i32 s8, s3, s9
	s_add_u32 s4, s4, s8
	v_mov_b32_e32 v2, s4
	s_addc_u32 s5, 0, s5
	v_add_co_u32_e32 v2, vcc, s2, v2
	s_cmp_lg_u64 vcc, 0
	s_addc_u32 s2, s3, s5
	v_readfirstlane_b32 s5, v2
	s_mul_i32 s4, s0, s2
	s_mul_hi_u32 s8, s0, s5
	s_mul_hi_u32 s3, s0, s2
	s_add_u32 s4, s8, s4
	s_addc_u32 s3, 0, s3
	s_mul_hi_u32 s9, s1, s5
	s_mul_i32 s5, s1, s5
	s_add_u32 s4, s4, s5
	s_mul_hi_u32 s8, s1, s2
	s_addc_u32 s3, s3, s9
	s_addc_u32 s4, s8, 0
	s_mul_i32 s2, s1, s2
	s_add_u32 s2, s3, s2
	s_addc_u32 s3, 0, s4
	s_add_u32 s4, s2, 1
	s_addc_u32 s5, s3, 0
	s_add_u32 s8, s2, 2
	s_mul_i32 s10, s3, 24
	s_mul_hi_u32 s11, s2, 24
	s_addc_u32 s9, s3, 0
	s_add_i32 s11, s11, s10
	s_mul_i32 s10, s2, 24
	v_mov_b32_e32 v2, s10
	v_sub_co_u32_e32 v2, vcc, s0, v2
	s_cmp_lg_u64 vcc, 0
	s_subb_u32 s10, s1, s11
	v_subrev_co_u32_e32 v3, vcc, 24, v2
	s_cmp_lg_u64 vcc, 0
	s_subb_u32 s11, s10, 0
	v_readfirstlane_b32 s12, v3
	s_cmp_gt_u32 s12, 23
	s_cselect_b32 s12, -1, 0
	s_cmp_eq_u32 s11, 0
	s_cselect_b32 s11, s12, -1
	s_cmp_lg_u32 s11, 0
	s_cselect_b32 s4, s8, s4
	v_readfirstlane_b32 s8, v2
	s_cselect_b32 s5, s9, s5
	s_cmp_gt_u32 s8, 23
	s_cselect_b32 s8, -1, 0
	s_cmp_eq_u32 s10, 0
	s_cselect_b32 s8, s8, -1
	s_cmp_lg_u32 s8, 0
	v_mov_b32_e32 v1, v15
	s_cselect_b32 s3, s5, s3
	s_cselect_b32 s2, s4, s2
	v_cmp_eq_u64_e32 vcc, s[2:3], v[0:1]
	s_and_saveexec_b64 s[2:3], vcc
	s_cbranch_execz .LBB80_156
; %bb.150:
	v_mul_hi_u32_u24_e32 v1, 24, v0
	v_mov_b32_e32 v2, s1
	v_sub_co_u32_e32 v0, vcc, s0, v22
	s_mov_b64 s[0:1], 0
	s_nop 0
	v_subb_co_u32_e32 v1, vcc, v2, v1, vcc
	v_cmp_lt_i64_e32 vcc, 11, v[0:1]
	s_mov_b64 s[10:11], 0
	s_mov_b64 s[8:9], 0
	;; [unrolled: 1-line block ×3, first 2 shown]
	s_and_saveexec_b64 s[2:3], vcc
	s_xor_b64 s[2:3], exec, s[2:3]
	s_cbranch_execnz .LBB80_157
; %bb.151:
	s_andn2_saveexec_b64 s[2:3], s[2:3]
	s_cbranch_execnz .LBB80_202
.LBB80_152:
	s_or_b64 exec, exec, s[2:3]
	s_and_saveexec_b64 s[2:3], s[10:11]
	s_cbranch_execnz .LBB80_219
.LBB80_153:
	s_or_b64 exec, exec, s[2:3]
	s_and_saveexec_b64 s[2:3], s[8:9]
	s_cbranch_execnz .LBB80_220
.LBB80_154:
	s_or_b64 exec, exec, s[2:3]
	s_and_saveexec_b64 s[2:3], s[4:5]
	s_xor_b64 s[2:3], exec, s[2:3]
	s_cbranch_execnz .LBB80_221
.LBB80_155:
	s_or_b64 exec, exec, s[2:3]
	s_and_b64 exec, exec, s[0:1]
	s_cbranch_execnz .LBB80_222
.LBB80_156:
	s_endpgm
.LBB80_157:
	v_cmp_lt_i64_e32 vcc, 17, v[0:1]
	s_and_saveexec_b64 s[12:13], vcc
	s_xor_b64 s[12:13], exec, s[12:13]
	s_cbranch_execz .LBB80_179
; %bb.158:
	v_cmp_lt_i64_e32 vcc, 20, v[0:1]
                                        ; implicit-def: $vgpr10
	s_and_saveexec_b64 s[14:15], vcc
	s_xor_b64 s[14:15], exec, s[14:15]
	s_cbranch_execz .LBB80_168
; %bb.159:
	v_cmp_lt_i64_e32 vcc, 21, v[0:1]
	s_mov_b64 s[16:17], 0
                                        ; implicit-def: $vgpr10
	s_and_saveexec_b64 s[4:5], vcc
	s_xor_b64 s[4:5], exec, s[4:5]
	s_cbranch_execz .LBB80_165
; %bb.160:
	v_cmp_lt_i64_e32 vcc, 22, v[0:1]
	s_and_saveexec_b64 s[16:17], vcc
	s_xor_b64 s[16:17], exec, s[16:17]
	s_cbranch_execz .LBB80_162
; %bb.161:
	v_mov_b32_e32 v2, 0
	global_store_short v2, v30, s[6:7]
                                        ; implicit-def: $vgpr29
.LBB80_162:
	s_or_saveexec_b64 s[16:17], s[16:17]
	s_mov_b64 s[18:19], 0
	s_xor_b64 exec, exec, s[16:17]
; %bb.163:
	s_mov_b64 s[18:19], exec
; %bb.164:
	s_or_b64 exec, exec, s[16:17]
	s_and_b64 s[16:17], s[18:19], exec
	v_mov_b32_e32 v10, v29
                                        ; implicit-def: $vgpr11
.LBB80_165:
	s_andn2_saveexec_b64 s[4:5], s[4:5]
; %bb.166:
	s_mov_b64 s[8:9], exec
                                        ; implicit-def: $vgpr10
; %bb.167:
	s_or_b64 exec, exec, s[4:5]
	s_and_b64 s[4:5], s[16:17], exec
	s_and_b64 s[8:9], s[8:9], exec
                                        ; implicit-def: $vgpr27
                                        ; implicit-def: $vgpr12
                                        ; implicit-def: $vgpr24
.LBB80_168:
	s_andn2_saveexec_b64 s[14:15], s[14:15]
	s_cbranch_execz .LBB80_178
; %bb.169:
	v_cmp_lt_i64_e32 vcc, 18, v[0:1]
	s_mov_b64 s[16:17], 0
	s_and_saveexec_b64 s[10:11], vcc
	s_xor_b64 s[10:11], exec, s[10:11]
	s_cbranch_execz .LBB80_175
; %bb.170:
	v_cmp_lt_i64_e32 vcc, 19, v[0:1]
	s_and_saveexec_b64 s[18:19], vcc
	s_xor_b64 s[18:19], exec, s[18:19]
; %bb.171:
	s_mov_b64 s[16:17], exec
                                        ; implicit-def: $vgpr24
; %bb.172:
	s_andn2_saveexec_b64 s[18:19], s[18:19]
	s_cbranch_execz .LBB80_174
; %bb.173:
	v_mov_b32_e32 v2, 0
	global_store_short v2, v24, s[6:7]
                                        ; implicit-def: $vgpr12
.LBB80_174:
	s_or_b64 exec, exec, s[18:19]
	s_and_b64 s[16:17], s[16:17], exec
                                        ; implicit-def: $vgpr27
.LBB80_175:
	s_andn2_saveexec_b64 s[10:11], s[10:11]
	s_cbranch_execz .LBB80_177
; %bb.176:
	v_mov_b32_e32 v2, 0
	global_store_short v2, v27, s[6:7]
                                        ; implicit-def: $vgpr12
.LBB80_177:
	s_or_b64 exec, exec, s[10:11]
	s_and_b64 s[10:11], s[16:17], exec
                                        ; implicit-def: $vgpr10
                                        ; implicit-def: $vgpr11
.LBB80_178:
	s_or_b64 exec, exec, s[14:15]
	s_and_b64 s[4:5], s[4:5], exec
	s_and_b64 s[8:9], s[8:9], exec
	;; [unrolled: 1-line block ×3, first 2 shown]
                                        ; implicit-def: $vgpr20
                                        ; implicit-def: $vgpr13
                                        ; implicit-def: $vgpr16
                                        ; implicit-def: $vgpr25
                                        ; implicit-def: $vgpr28
.LBB80_179:
	s_andn2_saveexec_b64 s[12:13], s[12:13]
	s_cbranch_execz .LBB80_201
; %bb.180:
	v_cmp_lt_i64_e32 vcc, 14, v[0:1]
	s_mov_b64 s[14:15], s[4:5]
	s_and_saveexec_b64 s[16:17], vcc
	s_xor_b64 s[16:17], exec, s[16:17]
	s_cbranch_execz .LBB80_190
; %bb.181:
	v_cmp_lt_i64_e32 vcc, 15, v[0:1]
	s_and_saveexec_b64 s[14:15], vcc
	s_xor_b64 s[14:15], exec, s[14:15]
	s_cbranch_execz .LBB80_187
; %bb.182:
	v_cmp_lt_i64_e32 vcc, 16, v[0:1]
	s_and_saveexec_b64 s[18:19], vcc
	s_xor_b64 s[18:19], exec, s[18:19]
	s_cbranch_execz .LBB80_184
; %bb.183:
	v_mov_b32_e32 v2, 0
	global_store_short v2, v28, s[6:7]
                                        ; implicit-def: $vgpr25
.LBB80_184:
	s_andn2_saveexec_b64 s[18:19], s[18:19]
	s_cbranch_execz .LBB80_186
; %bb.185:
	v_mov_b32_e32 v2, 0
	global_store_short v2, v25, s[6:7]
.LBB80_186:
	s_or_b64 exec, exec, s[18:19]
                                        ; implicit-def: $vgpr10
.LBB80_187:
	s_or_saveexec_b64 s[14:15], s[14:15]
	s_mov_b64 s[18:19], s[4:5]
	s_xor_b64 exec, exec, s[14:15]
; %bb.188:
	s_or_b64 s[18:19], s[4:5], exec
; %bb.189:
	s_or_b64 exec, exec, s[14:15]
	s_andn2_b64 s[14:15], s[4:5], exec
	s_and_b64 s[18:19], s[18:19], exec
	s_or_b64 s[14:15], s[14:15], s[18:19]
                                        ; implicit-def: $vgpr20
                                        ; implicit-def: $vgpr13
                                        ; implicit-def: $vgpr16
.LBB80_190:
	s_or_saveexec_b64 s[16:17], s[16:17]
	s_mov_b64 s[18:19], s[8:9]
                                        ; implicit-def: $vgpr11
	s_xor_b64 exec, exec, s[16:17]
	s_cbranch_execz .LBB80_200
; %bb.191:
	v_cmp_lt_i64_e32 vcc, 12, v[0:1]
	s_mov_b64 s[20:21], s[8:9]
	s_mov_b64 s[22:23], s[14:15]
                                        ; implicit-def: $vgpr10
                                        ; implicit-def: $vgpr11
	s_and_saveexec_b64 s[18:19], vcc
	s_xor_b64 s[18:19], exec, s[18:19]
	s_cbranch_execz .LBB80_197
; %bb.192:
	v_cmp_lt_i64_e32 vcc, 13, v[0:1]
	s_mov_b64 s[20:21], s[14:15]
	s_and_saveexec_b64 s[22:23], vcc
	s_xor_b64 s[22:23], exec, s[22:23]
; %bb.193:
	s_or_b64 s[20:21], s[14:15], exec
                                        ; implicit-def: $vgpr13
; %bb.194:
	s_or_saveexec_b64 s[22:23], s[22:23]
	s_mov_b64 s[24:25], s[8:9]
	s_xor_b64 exec, exec, s[22:23]
; %bb.195:
	s_or_b64 s[24:25], s[8:9], exec
                                        ; implicit-def: $vgpr16
; %bb.196:
	s_or_b64 exec, exec, s[22:23]
	s_andn2_b64 s[22:23], s[14:15], exec
	s_and_b64 s[20:21], s[20:21], exec
	s_or_b64 s[22:23], s[22:23], s[20:21]
	s_andn2_b64 s[20:21], s[8:9], exec
	s_and_b64 s[24:25], s[24:25], exec
	s_or_b64 s[20:21], s[20:21], s[24:25]
	v_mov_b32_e32 v10, v16
	v_mov_b32_e32 v11, v13
                                        ; implicit-def: $vgpr20
.LBB80_197:
	s_andn2_saveexec_b64 s[18:19], s[18:19]
; %bb.198:
	s_or_b64 s[20:21], s[20:21], exec
                                        ; implicit-def: $vgpr10
	v_mov_b32_e32 v11, v20
; %bb.199:
	s_or_b64 exec, exec, s[18:19]
	s_andn2_b64 s[14:15], s[14:15], exec
	s_and_b64 s[18:19], s[22:23], exec
	s_or_b64 s[14:15], s[14:15], s[18:19]
	s_andn2_b64 s[18:19], s[8:9], exec
	s_and_b64 s[20:21], s[20:21], exec
	s_or_b64 s[18:19], s[18:19], s[20:21]
.LBB80_200:
	s_or_b64 exec, exec, s[16:17]
	s_andn2_b64 s[4:5], s[4:5], exec
	s_and_b64 s[14:15], s[14:15], exec
	s_or_b64 s[4:5], s[4:5], s[14:15]
	s_andn2_b64 s[8:9], s[8:9], exec
	s_and_b64 s[14:15], s[18:19], exec
	s_or_b64 s[8:9], s[8:9], s[14:15]
                                        ; implicit-def: $vgpr12
.LBB80_201:
	s_or_b64 exec, exec, s[12:13]
	s_and_b64 s[4:5], s[4:5], exec
	s_and_b64 s[8:9], s[8:9], exec
	;; [unrolled: 1-line block ×3, first 2 shown]
                                        ; implicit-def: $vgpr19
                                        ; implicit-def: $vgpr17
                                        ; implicit-def: $vgpr18
                                        ; implicit-def: $vgpr26
                                        ; implicit-def: $vgpr23
                                        ; implicit-def: $vgpr21
	s_andn2_saveexec_b64 s[2:3], s[2:3]
	s_cbranch_execz .LBB80_152
.LBB80_202:
	v_cmp_lt_i64_e32 vcc, 5, v[0:1]
	s_mov_b64 s[14:15], -1
	s_mov_b64 s[12:13], s[10:11]
	s_mov_b64 s[16:17], s[8:9]
	;; [unrolled: 1-line block ×3, first 2 shown]
                                        ; implicit-def: $vgpr10
                                        ; implicit-def: $vgpr11
                                        ; implicit-def: $vgpr12
	s_and_saveexec_b64 s[0:1], vcc
	s_cbranch_execz .LBB80_218
; %bb.203:
	v_cmp_lt_i64_e32 vcc, 8, v[0:1]
	s_mov_b64 s[12:13], s[10:11]
                                        ; implicit-def: $vgpr12
	s_and_saveexec_b64 s[14:15], vcc
	s_xor_b64 s[14:15], exec, s[14:15]
	s_cbranch_execz .LBB80_213
; %bb.204:
	v_cmp_lt_i64_e32 vcc, 9, v[0:1]
	s_and_saveexec_b64 s[12:13], vcc
	s_xor_b64 s[12:13], exec, s[12:13]
	s_cbranch_execz .LBB80_210
; %bb.205:
	v_cmp_lt_i64_e32 vcc, 10, v[0:1]
	s_and_saveexec_b64 s[16:17], vcc
	s_xor_b64 s[16:17], exec, s[16:17]
; %bb.206:
                                        ; implicit-def: $vgpr23
; %bb.207:
	s_andn2_saveexec_b64 s[16:17], s[16:17]
; %bb.208:
	v_mov_b32_e32 v21, v23
; %bb.209:
	s_or_b64 exec, exec, s[16:17]
                                        ; implicit-def: $vgpr26
.LBB80_210:
	s_andn2_saveexec_b64 s[12:13], s[12:13]
; %bb.211:
	v_mov_b32_e32 v21, v26
; %bb.212:
	s_or_b64 exec, exec, s[12:13]
	s_or_b64 s[12:13], s[10:11], exec
	v_mov_b32_e32 v12, v21
                                        ; implicit-def: $vgpr19
                                        ; implicit-def: $vgpr17
                                        ; implicit-def: $vgpr18
.LBB80_213:
	s_or_saveexec_b64 s[14:15], s[14:15]
	s_mov_b64 s[16:17], s[8:9]
	s_mov_b64 s[20:21], s[4:5]
                                        ; implicit-def: $vgpr10
                                        ; implicit-def: $vgpr11
	s_xor_b64 exec, exec, s[14:15]
	s_cbranch_execz .LBB80_217
; %bb.214:
	v_cmp_lt_i64_e32 vcc, 6, v[0:1]
	s_mov_b64 s[20:21], -1
	s_mov_b64 s[18:19], s[12:13]
	s_mov_b64 s[16:17], s[8:9]
	s_and_saveexec_b64 s[22:23], vcc
; %bb.215:
	v_cmp_lt_i64_e32 vcc, 7, v[0:1]
	s_andn2_b64 s[18:19], s[12:13], exec
	s_and_b64 s[24:25], vcc, exec
	s_xor_b64 s[20:21], exec, -1
	s_or_b64 s[16:17], s[8:9], exec
	s_or_b64 s[18:19], s[18:19], s[24:25]
                                        ; implicit-def: $vgpr19
; %bb.216:
	s_or_b64 exec, exec, s[22:23]
	s_andn2_b64 s[22:23], s[4:5], exec
	s_and_b64 s[20:21], s[20:21], exec
	s_or_b64 s[20:21], s[22:23], s[20:21]
	s_andn2_b64 s[22:23], s[8:9], exec
	s_and_b64 s[16:17], s[16:17], exec
	s_andn2_b64 s[12:13], s[12:13], exec
	s_and_b64 s[18:19], s[18:19], exec
	s_or_b64 s[16:17], s[22:23], s[16:17]
	s_or_b64 s[12:13], s[12:13], s[18:19]
	v_mov_b32_e32 v10, v19
	v_mov_b32_e32 v11, v17
	;; [unrolled: 1-line block ×3, first 2 shown]
.LBB80_217:
	s_or_b64 exec, exec, s[14:15]
	s_andn2_b64 s[18:19], s[4:5], exec
	s_and_b64 s[20:21], s[20:21], exec
	s_or_b64 s[18:19], s[18:19], s[20:21]
	s_andn2_b64 s[20:21], s[8:9], exec
	s_and_b64 s[16:17], s[16:17], exec
	s_or_b64 s[16:17], s[20:21], s[16:17]
	s_andn2_b64 s[20:21], s[10:11], exec
	s_and_b64 s[12:13], s[12:13], exec
	s_xor_b64 s[14:15], exec, -1
	s_or_b64 s[12:13], s[20:21], s[12:13]
.LBB80_218:
	s_or_b64 exec, exec, s[0:1]
	s_and_b64 s[0:1], s[14:15], exec
	s_andn2_b64 s[4:5], s[4:5], exec
	s_and_b64 s[14:15], s[18:19], exec
	s_or_b64 s[4:5], s[4:5], s[14:15]
	s_andn2_b64 s[8:9], s[8:9], exec
	s_and_b64 s[14:15], s[16:17], exec
	s_andn2_b64 s[10:11], s[10:11], exec
	s_and_b64 s[12:13], s[12:13], exec
	s_or_b64 s[8:9], s[8:9], s[14:15]
	s_or_b64 s[10:11], s[10:11], s[12:13]
	s_or_b64 exec, exec, s[2:3]
	s_and_saveexec_b64 s[2:3], s[10:11]
	s_cbranch_execz .LBB80_153
.LBB80_219:
	v_mov_b32_e32 v2, 0
	s_andn2_b64 s[8:9], s[8:9], exec
	global_store_short v2, v12, s[6:7]
                                        ; implicit-def: $vgpr10
                                        ; implicit-def: $vgpr11
	s_or_b64 exec, exec, s[2:3]
	s_and_saveexec_b64 s[2:3], s[8:9]
	s_cbranch_execz .LBB80_154
.LBB80_220:
	v_mov_b32_e32 v2, 0
	global_store_short v2, v11, s[6:7]
                                        ; implicit-def: $vgpr10
	s_or_b64 exec, exec, s[2:3]
	s_and_saveexec_b64 s[2:3], s[4:5]
	s_xor_b64 s[2:3], exec, s[2:3]
	s_cbranch_execz .LBB80_155
.LBB80_221:
	v_mov_b32_e32 v2, 0
	global_store_short v2, v10, s[6:7]
	s_or_b64 exec, exec, s[2:3]
	s_and_b64 exec, exec, s[0:1]
	s_cbranch_execz .LBB80_156
.LBB80_222:
	v_cmp_lt_i64_e32 vcc, 2, v[0:1]
	s_and_saveexec_b64 s[0:1], vcc
	s_xor_b64 s[0:1], exec, s[0:1]
	s_cbranch_execz .LBB80_232
; %bb.223:
	v_cmp_lt_i64_e32 vcc, 3, v[0:1]
	s_and_saveexec_b64 s[2:3], vcc
	s_xor_b64 s[2:3], exec, s[2:3]
	s_cbranch_execz .LBB80_229
; %bb.224:
	;; [unrolled: 5-line block ×3, first 2 shown]
	v_mov_b32_e32 v0, 0
	global_store_short v0, v9, s[6:7]
                                        ; implicit-def: $vgpr6
.LBB80_226:
	s_andn2_saveexec_b64 s[4:5], s[4:5]
	s_cbranch_execz .LBB80_228
; %bb.227:
	v_mov_b32_e32 v0, 0
	global_store_short v0, v6, s[6:7]
.LBB80_228:
	s_or_b64 exec, exec, s[4:5]
                                        ; implicit-def: $vgpr8
.LBB80_229:
	s_andn2_saveexec_b64 s[2:3], s[2:3]
	s_cbranch_execz .LBB80_231
; %bb.230:
	v_mov_b32_e32 v0, 0
	global_store_short v0, v8, s[6:7]
.LBB80_231:
	s_or_b64 exec, exec, s[2:3]
                                        ; implicit-def: $vgpr0_vgpr1
                                        ; implicit-def: $vgpr7
                                        ; implicit-def: $vgpr4
                                        ; implicit-def: $vgpr5
.LBB80_232:
	s_andn2_saveexec_b64 s[0:1], s[0:1]
	s_cbranch_execz .LBB80_156
; %bb.233:
	v_cmp_lt_i64_e32 vcc, 1, v[0:1]
	s_and_saveexec_b64 s[0:1], vcc
	s_xor_b64 s[0:1], exec, s[0:1]
	s_cbranch_execz .LBB80_235
; %bb.234:
	v_mov_b32_e32 v0, 0
	global_store_short v0, v7, s[6:7]
                                        ; implicit-def: $vgpr4
                                        ; implicit-def: $vgpr0_vgpr1
                                        ; implicit-def: $vgpr5
.LBB80_235:
	s_andn2_saveexec_b64 s[0:1], s[0:1]
	s_cbranch_execz .LBB80_156
; %bb.236:
	v_cmp_ne_u64_e32 vcc, 1, v[0:1]
	s_and_saveexec_b64 s[0:1], vcc
	s_xor_b64 s[0:1], exec, s[0:1]
	s_cbranch_execz .LBB80_238
; %bb.237:
	v_mov_b32_e32 v0, 0
	global_store_short v0, v5, s[6:7]
                                        ; implicit-def: $vgpr4
.LBB80_238:
	s_andn2_saveexec_b64 s[0:1], s[0:1]
	s_cbranch_execz .LBB80_156
; %bb.239:
	v_mov_b32_e32 v0, 0
	global_store_short v0, v4, s[6:7]
	s_endpgm
	.section	.rodata,"a",@progbits
	.p2align	6, 0x0
	.amdhsa_kernel _ZN7rocprim6detail20lookback_scan_kernelILNS0_25lookback_scan_determinismE0ELb1ENS0_19wrapped_scan_configINS_14default_configE12hip_bfloat16EEPS5_S7_N6hipcub3MaxES5_S5_NS0_19lookback_scan_stateIS5_Lb0ELb1EEEEEvT2_T3_mT5_T4_T7_jPT6_SI_bb
		.amdhsa_group_segment_fixed_size 12288
		.amdhsa_private_segment_fixed_size 0
		.amdhsa_kernarg_size 68
		.amdhsa_user_sgpr_count 2
		.amdhsa_user_sgpr_dispatch_ptr 0
		.amdhsa_user_sgpr_queue_ptr 0
		.amdhsa_user_sgpr_kernarg_segment_ptr 1
		.amdhsa_user_sgpr_dispatch_id 0
		.amdhsa_user_sgpr_kernarg_preload_length 0
		.amdhsa_user_sgpr_kernarg_preload_offset 0
		.amdhsa_user_sgpr_private_segment_size 0
		.amdhsa_uses_dynamic_stack 0
		.amdhsa_enable_private_segment 0
		.amdhsa_system_sgpr_workgroup_id_x 1
		.amdhsa_system_sgpr_workgroup_id_y 0
		.amdhsa_system_sgpr_workgroup_id_z 0
		.amdhsa_system_sgpr_workgroup_info 0
		.amdhsa_system_vgpr_workitem_id 0
		.amdhsa_next_free_vgpr 84
		.amdhsa_next_free_sgpr 32
		.amdhsa_accum_offset 84
		.amdhsa_reserve_vcc 1
		.amdhsa_float_round_mode_32 0
		.amdhsa_float_round_mode_16_64 0
		.amdhsa_float_denorm_mode_32 3
		.amdhsa_float_denorm_mode_16_64 3
		.amdhsa_dx10_clamp 1
		.amdhsa_ieee_mode 1
		.amdhsa_fp16_overflow 0
		.amdhsa_tg_split 0
		.amdhsa_exception_fp_ieee_invalid_op 0
		.amdhsa_exception_fp_denorm_src 0
		.amdhsa_exception_fp_ieee_div_zero 0
		.amdhsa_exception_fp_ieee_overflow 0
		.amdhsa_exception_fp_ieee_underflow 0
		.amdhsa_exception_fp_ieee_inexact 0
		.amdhsa_exception_int_div_zero 0
	.end_amdhsa_kernel
	.section	.text._ZN7rocprim6detail20lookback_scan_kernelILNS0_25lookback_scan_determinismE0ELb1ENS0_19wrapped_scan_configINS_14default_configE12hip_bfloat16EEPS5_S7_N6hipcub3MaxES5_S5_NS0_19lookback_scan_stateIS5_Lb0ELb1EEEEEvT2_T3_mT5_T4_T7_jPT6_SI_bb,"axG",@progbits,_ZN7rocprim6detail20lookback_scan_kernelILNS0_25lookback_scan_determinismE0ELb1ENS0_19wrapped_scan_configINS_14default_configE12hip_bfloat16EEPS5_S7_N6hipcub3MaxES5_S5_NS0_19lookback_scan_stateIS5_Lb0ELb1EEEEEvT2_T3_mT5_T4_T7_jPT6_SI_bb,comdat
.Lfunc_end80:
	.size	_ZN7rocprim6detail20lookback_scan_kernelILNS0_25lookback_scan_determinismE0ELb1ENS0_19wrapped_scan_configINS_14default_configE12hip_bfloat16EEPS5_S7_N6hipcub3MaxES5_S5_NS0_19lookback_scan_stateIS5_Lb0ELb1EEEEEvT2_T3_mT5_T4_T7_jPT6_SI_bb, .Lfunc_end80-_ZN7rocprim6detail20lookback_scan_kernelILNS0_25lookback_scan_determinismE0ELb1ENS0_19wrapped_scan_configINS_14default_configE12hip_bfloat16EEPS5_S7_N6hipcub3MaxES5_S5_NS0_19lookback_scan_stateIS5_Lb0ELb1EEEEEvT2_T3_mT5_T4_T7_jPT6_SI_bb
                                        ; -- End function
	.section	.AMDGPU.csdata,"",@progbits
; Kernel info:
; codeLenInByte = 10548
; NumSgprs: 38
; NumVgprs: 84
; NumAgprs: 0
; TotalNumVgprs: 84
; ScratchSize: 0
; MemoryBound: 0
; FloatMode: 240
; IeeeMode: 1
; LDSByteSize: 12288 bytes/workgroup (compile time only)
; SGPRBlocks: 4
; VGPRBlocks: 10
; NumSGPRsForWavesPerEU: 38
; NumVGPRsForWavesPerEU: 84
; AccumOffset: 84
; Occupancy: 5
; WaveLimiterHint : 1
; COMPUTE_PGM_RSRC2:SCRATCH_EN: 0
; COMPUTE_PGM_RSRC2:USER_SGPR: 2
; COMPUTE_PGM_RSRC2:TRAP_HANDLER: 0
; COMPUTE_PGM_RSRC2:TGID_X_EN: 1
; COMPUTE_PGM_RSRC2:TGID_Y_EN: 0
; COMPUTE_PGM_RSRC2:TGID_Z_EN: 0
; COMPUTE_PGM_RSRC2:TIDIG_COMP_CNT: 0
; COMPUTE_PGM_RSRC3_GFX90A:ACCUM_OFFSET: 20
; COMPUTE_PGM_RSRC3_GFX90A:TG_SPLIT: 0
	.section	.text._ZN7rocprim6detail18single_scan_kernelILb1ENS0_19wrapped_scan_configINS_14default_configE12hip_bfloat16EEPS4_S6_N6hipcub3MaxES4_S4_EEvT1_mT4_T2_T3_,"axG",@progbits,_ZN7rocprim6detail18single_scan_kernelILb1ENS0_19wrapped_scan_configINS_14default_configE12hip_bfloat16EEPS4_S6_N6hipcub3MaxES4_S4_EEvT1_mT4_T2_T3_,comdat
	.protected	_ZN7rocprim6detail18single_scan_kernelILb1ENS0_19wrapped_scan_configINS_14default_configE12hip_bfloat16EEPS4_S6_N6hipcub3MaxES4_S4_EEvT1_mT4_T2_T3_ ; -- Begin function _ZN7rocprim6detail18single_scan_kernelILb1ENS0_19wrapped_scan_configINS_14default_configE12hip_bfloat16EEPS4_S6_N6hipcub3MaxES4_S4_EEvT1_mT4_T2_T3_
	.globl	_ZN7rocprim6detail18single_scan_kernelILb1ENS0_19wrapped_scan_configINS_14default_configE12hip_bfloat16EEPS4_S6_N6hipcub3MaxES4_S4_EEvT1_mT4_T2_T3_
	.p2align	8
	.type	_ZN7rocprim6detail18single_scan_kernelILb1ENS0_19wrapped_scan_configINS_14default_configE12hip_bfloat16EEPS4_S6_N6hipcub3MaxES4_S4_EEvT1_mT4_T2_T3_,@function
_ZN7rocprim6detail18single_scan_kernelILb1ENS0_19wrapped_scan_configINS_14default_configE12hip_bfloat16EEPS4_S6_N6hipcub3MaxES4_S4_EEvT1_mT4_T2_T3_: ; @_ZN7rocprim6detail18single_scan_kernelILb1ENS0_19wrapped_scan_configINS_14default_configE12hip_bfloat16EEPS4_S6_N6hipcub3MaxES4_S4_EEvT1_mT4_T2_T3_
; %bb.0:
	s_load_dwordx4 s[52:55], s[0:1], 0x0
	v_mov_b32_e32 v15, 0
	v_lshlrev_b32_e32 v14, 1, v0
	s_waitcnt lgkmcnt(0)
	global_load_ushort v1, v15, s[52:53]
	v_lshl_add_u64 v[2:3], s[52:53], 0, v[14:15]
	v_cmp_gt_u32_e64 s[50:51], s54, v0
	s_waitcnt vmcnt(0)
	v_mov_b32_e32 v4, v1
	s_and_saveexec_b64 s[2:3], s[50:51]
	s_cbranch_execz .LBB81_2
; %bb.1:
	global_load_ushort v4, v[2:3], off
.LBB81_2:
	s_or_b64 exec, exec, s[2:3]
	v_or_b32_e32 v5, 0x100, v0
	v_cmp_gt_u32_e64 s[2:3], s54, v5
	v_mov_b32_e32 v5, v1
	s_and_saveexec_b64 s[4:5], s[2:3]
	s_cbranch_execz .LBB81_4
; %bb.3:
	global_load_ushort v5, v[2:3], off offset:512
.LBB81_4:
	s_or_b64 exec, exec, s[4:5]
	v_or_b32_e32 v6, 0x200, v0
	v_cmp_gt_u32_e64 s[4:5], s54, v6
	v_mov_b32_e32 v6, v1
	s_and_saveexec_b64 s[6:7], s[4:5]
	s_cbranch_execz .LBB81_6
; %bb.5:
	global_load_ushort v6, v[2:3], off offset:1024
.LBB81_6:
	;; [unrolled: 9-line block ×7, first 2 shown]
	s_or_b64 exec, exec, s[16:17]
	v_or_b32_e32 v12, 0x800, v0
	v_cmp_gt_u32_e64 s[16:17], s54, v12
	v_mov_b32_e32 v12, v1
	s_and_saveexec_b64 s[18:19], s[16:17]
	s_cbranch_execz .LBB81_18
; %bb.17:
	v_add_co_u32_e32 v12, vcc, 0x1000, v2
	s_nop 1
	v_addc_co_u32_e32 v13, vcc, 0, v3, vcc
	global_load_ushort v12, v[12:13], off
.LBB81_18:
	s_or_b64 exec, exec, s[18:19]
	v_or_b32_e32 v13, 0x900, v0
	v_cmp_gt_u32_e64 s[18:19], s54, v13
	v_mov_b32_e32 v13, v1
	s_and_saveexec_b64 s[20:21], s[18:19]
	s_cbranch_execz .LBB81_20
; %bb.19:
	v_add_co_u32_e32 v16, vcc, 0x1000, v2
	s_nop 1
	v_addc_co_u32_e32 v17, vcc, 0, v3, vcc
	global_load_ushort v13, v[16:17], off offset:512
.LBB81_20:
	s_or_b64 exec, exec, s[20:21]
	v_or_b32_e32 v15, 0xa00, v0
	v_cmp_gt_u32_e64 s[20:21], s54, v15
	v_mov_b32_e32 v15, v1
	s_and_saveexec_b64 s[22:23], s[20:21]
	s_cbranch_execz .LBB81_22
; %bb.21:
	v_add_co_u32_e32 v16, vcc, 0x1000, v2
	s_nop 1
	v_addc_co_u32_e32 v17, vcc, 0, v3, vcc
	global_load_ushort v15, v[16:17], off offset:1024
.LBB81_22:
	;; [unrolled: 12-line block ×7, first 2 shown]
	s_or_b64 exec, exec, s[34:35]
	v_or_b32_e32 v21, 0x1000, v0
	v_cmp_gt_u32_e64 s[34:35], s54, v21
	v_mov_b32_e32 v21, v1
	s_and_saveexec_b64 s[36:37], s[34:35]
	s_cbranch_execz .LBB81_34
; %bb.33:
	v_add_co_u32_e32 v22, vcc, 0x2000, v2
	s_nop 1
	v_addc_co_u32_e32 v23, vcc, 0, v3, vcc
	global_load_ushort v21, v[22:23], off
.LBB81_34:
	s_or_b64 exec, exec, s[36:37]
	v_or_b32_e32 v22, 0x1100, v0
	v_cmp_gt_u32_e64 s[36:37], s54, v22
	v_mov_b32_e32 v22, v1
	s_and_saveexec_b64 s[38:39], s[36:37]
	s_cbranch_execz .LBB81_36
; %bb.35:
	v_add_co_u32_e32 v22, vcc, 0x2000, v2
	s_nop 1
	v_addc_co_u32_e32 v23, vcc, 0, v3, vcc
	global_load_ushort v22, v[22:23], off offset:512
.LBB81_36:
	s_or_b64 exec, exec, s[38:39]
	v_or_b32_e32 v23, 0x1200, v0
	v_cmp_gt_u32_e64 s[38:39], s54, v23
	v_mov_b32_e32 v23, v1
	s_and_saveexec_b64 s[40:41], s[38:39]
	s_cbranch_execz .LBB81_38
; %bb.37:
	v_add_co_u32_e32 v24, vcc, 0x2000, v2
	s_nop 1
	v_addc_co_u32_e32 v25, vcc, 0, v3, vcc
	global_load_ushort v23, v[24:25], off offset:1024
.LBB81_38:
	;; [unrolled: 12-line block ×6, first 2 shown]
	s_or_b64 exec, exec, s[48:49]
	v_or_b32_e32 v28, 0x1700, v0
	v_cmp_gt_u32_e64 s[48:49], s54, v28
	s_and_saveexec_b64 s[52:53], s[48:49]
	s_cbranch_execz .LBB81_48
; %bb.47:
	v_add_co_u32_e32 v2, vcc, 0x2000, v2
	s_nop 1
	v_addc_co_u32_e32 v3, vcc, 0, v3, vcc
	global_load_ushort v1, v[2:3], off offset:3584
.LBB81_48:
	s_or_b64 exec, exec, s[52:53]
	s_waitcnt vmcnt(0)
	ds_write_b16 v14, v4
	ds_write_b16 v14, v5 offset:512
	ds_write_b16 v14, v6 offset:1024
	;; [unrolled: 1-line block ×23, first 2 shown]
	v_mad_u32_u24 v1, v0, 46, v14
	s_waitcnt lgkmcnt(0)
	s_barrier
	ds_read_b128 v[10:13], v1
	ds_read_b128 v[6:9], v1 offset:16
	ds_read_b128 v[2:5], v1 offset:32
	s_waitcnt lgkmcnt(0)
	s_barrier
	v_and_b32_e32 v25, 0xffff0000, v10
	v_lshlrev_b32_e32 v27, 16, v10
	v_lshrrev_b32_e32 v26, 16, v10
	v_cmp_lt_f32_e32 vcc, v27, v25
	v_lshlrev_b32_e32 v28, 16, v11
	v_lshrrev_b32_e32 v24, 16, v11
	v_cndmask_b32_e32 v29, v10, v26, vcc
	v_lshlrev_b32_e32 v30, 16, v29
	v_cmp_lt_f32_e32 vcc, v30, v28
	v_lshrrev_b32_e32 v23, 16, v12
	v_lshrrev_b32_e32 v22, 16, v13
	v_cndmask_b32_e32 v30, v29, v11, vcc
	v_lshlrev_b32_e32 v31, 16, v30
	v_and_b32_e32 v29, 0xffff0000, v11
	v_cmp_lt_f32_e32 vcc, v31, v29
	v_lshrrev_b32_e32 v21, 16, v6
	v_lshrrev_b32_e32 v20, 16, v7
	v_cndmask_b32_e32 v31, v30, v24, vcc
	v_lshlrev_b32_e32 v32, 16, v31
	v_lshlrev_b32_e32 v30, 16, v12
	v_cmp_lt_f32_e32 vcc, v32, v30
	v_lshrrev_b32_e32 v19, 16, v8
	v_lshrrev_b32_e32 v18, 16, v9
	v_cndmask_b32_e32 v32, v31, v12, vcc
	v_lshlrev_b32_e32 v33, 16, v32
	v_and_b32_e32 v31, 0xffff0000, v12
	v_cmp_lt_f32_e32 vcc, v33, v31
	v_lshrrev_b32_e32 v17, 16, v2
	v_lshrrev_b32_e32 v16, 16, v3
	v_cndmask_b32_e32 v33, v32, v23, vcc
	v_lshlrev_b32_e32 v34, 16, v33
	v_lshlrev_b32_e32 v32, 16, v13
	v_cmp_lt_f32_e32 vcc, v34, v32
	v_lshrrev_b32_e32 v15, 16, v4
	v_and_b32_e32 v52, 0xffff0000, v5
	v_cndmask_b32_e32 v34, v33, v13, vcc
	v_lshlrev_b32_e32 v35, 16, v34
	v_and_b32_e32 v33, 0xffff0000, v13
	v_cmp_lt_f32_e32 vcc, v35, v33
	v_lshrrev_b32_e32 v49, 16, v5
	s_nop 0
	v_cndmask_b32_e32 v35, v34, v22, vcc
	v_lshlrev_b32_e32 v36, 16, v35
	v_lshlrev_b32_e32 v34, 16, v6
	v_cmp_lt_f32_e32 vcc, v36, v34
	s_nop 1
	v_cndmask_b32_e32 v36, v35, v6, vcc
	v_lshlrev_b32_e32 v37, 16, v36
	v_and_b32_e32 v35, 0xffff0000, v6
	v_cmp_lt_f32_e32 vcc, v37, v35
	s_nop 1
	v_cndmask_b32_e32 v37, v36, v21, vcc
	v_lshlrev_b32_e32 v38, 16, v37
	v_lshlrev_b32_e32 v36, 16, v7
	v_cmp_lt_f32_e32 vcc, v38, v36
	s_nop 1
	v_cndmask_b32_e32 v38, v37, v7, vcc
	v_lshlrev_b32_e32 v39, 16, v38
	v_and_b32_e32 v37, 0xffff0000, v7
	v_cmp_lt_f32_e32 vcc, v39, v37
	;; [unrolled: 10-line block ×7, first 2 shown]
	s_nop 1
	v_cndmask_b32_e32 v50, v48, v15, vcc
	v_lshlrev_b32_e32 v51, 16, v50
	v_lshlrev_b32_e32 v48, 16, v5
	v_cmp_lt_f32_e32 vcc, v51, v48
	s_nop 1
	v_cndmask_b32_e32 v50, v50, v5, vcc
	v_lshlrev_b32_e32 v51, 16, v50
	v_cmp_lt_f32_e32 vcc, v51, v52
	s_nop 1
	v_cndmask_b32_e32 v50, v50, v49, vcc
	v_and_b32_e32 v52, 0xffff, v50
	v_mbcnt_lo_u32_b32 v49, -1, 0
	v_lshlrev_b32_e32 v55, 16, v50
	v_mov_b32_dpp v53, v52 row_shr:1 row_mask:0xf bank_mask:0xf
	v_lshlrev_b32_e32 v54, 16, v53
	v_mbcnt_hi_u32_b32 v49, -1, v49
	v_cmp_lt_f32_e32 vcc, v54, v55
	v_and_b32_e32 v51, 15, v49
	s_nop 0
	v_cndmask_b32_e32 v53, v53, v50, vcc
	v_and_b32_e32 v54, 0xffff, v53
	v_cmp_eq_u32_e32 vcc, 0, v51
	s_nop 1
	v_cndmask_b32_e32 v52, v54, v52, vcc
	v_cndmask_b32_e32 v50, v53, v50, vcc
	v_lshlrev_b32_e32 v54, 16, v52
	v_mov_b32_dpp v53, v52 row_shr:2 row_mask:0xf bank_mask:0xf
	v_lshlrev_b32_e32 v55, 16, v53
	v_cmp_lt_f32_e32 vcc, v55, v54
	s_nop 1
	v_cndmask_b32_e32 v53, v53, v50, vcc
	v_and_b32_e32 v54, 0xffff, v53
	v_cmp_lt_u32_e32 vcc, 1, v51
	s_nop 1
	v_cndmask_b32_e32 v52, v52, v54, vcc
	v_cndmask_b32_e32 v50, v50, v53, vcc
	v_lshlrev_b32_e32 v54, 16, v52
	v_mov_b32_dpp v53, v52 row_shr:4 row_mask:0xf bank_mask:0xf
	v_lshlrev_b32_e32 v55, 16, v53
	v_cmp_lt_f32_e32 vcc, v55, v54
	s_nop 1
	v_cndmask_b32_e32 v53, v53, v50, vcc
	v_and_b32_e32 v54, 0xffff, v53
	v_cmp_lt_u32_e32 vcc, 3, v51
	;; [unrolled: 11-line block ×3, first 2 shown]
	s_nop 1
	v_cndmask_b32_e32 v51, v52, v54, vcc
	v_lshlrev_b32_e32 v54, 16, v51
	v_cndmask_b32_e32 v50, v50, v53, vcc
	v_mov_b32_dpp v52, v51 row_bcast:15 row_mask:0xf bank_mask:0xf
	v_lshlrev_b32_e32 v55, 16, v52
	v_cmp_lt_f32_e32 vcc, v55, v54
	v_and_b32_e32 v53, 16, v49
	s_nop 0
	v_cndmask_b32_e32 v52, v52, v50, vcc
	v_and_b32_e32 v54, 0xffff, v52
	v_cmp_eq_u32_e32 vcc, 0, v53
	s_nop 1
	v_cndmask_b32_e32 v51, v54, v51, vcc
	v_cndmask_b32_e32 v50, v52, v50, vcc
	s_nop 0
	v_mov_b32_dpp v52, v51 row_bcast:31 row_mask:0xf bank_mask:0xf
	v_lshlrev_b32_e32 v51, 16, v51
	v_lshlrev_b32_e32 v53, 16, v52
	v_cmp_lt_f32_e32 vcc, v53, v51
	s_nop 1
	v_cndmask_b32_e32 v51, v52, v50, vcc
	v_cmp_lt_u32_e32 vcc, 31, v49
	v_or_b32_e32 v52, 63, v0
	s_nop 0
	v_cndmask_b32_e32 v50, v50, v51, vcc
	v_lshrrev_b32_e32 v51, 6, v0
	v_cmp_eq_u32_e32 vcc, v52, v0
	s_and_saveexec_b64 s[52:53], vcc
	s_cbranch_execz .LBB81_50
; %bb.49:
	v_lshlrev_b32_e32 v52, 1, v51
	ds_write_b16 v52, v50
.LBB81_50:
	s_or_b64 exec, exec, s[52:53]
	v_cmp_gt_u32_e32 vcc, 4, v0
	s_waitcnt lgkmcnt(0)
	s_barrier
	s_and_saveexec_b64 s[52:53], vcc
	s_cbranch_execz .LBB81_52
; %bb.51:
	ds_read_u16 v52, v14
	v_and_b32_e32 v53, 3, v49
	s_waitcnt lgkmcnt(0)
	v_and_b32_e32 v54, 0xffff, v52
	s_nop 1
	v_mov_b32_dpp v56, v54 row_shr:1 row_mask:0xf bank_mask:0xf
	v_lshlrev_b32_e32 v55, 16, v52
	v_lshlrev_b32_e32 v57, 16, v56
	v_cmp_lt_f32_e32 vcc, v57, v55
	s_nop 1
	v_cndmask_b32_e32 v55, v56, v52, vcc
	v_and_b32_e32 v56, 0xffff, v55
	v_cmp_eq_u32_e32 vcc, 0, v53
	s_nop 1
	v_cndmask_b32_e32 v54, v56, v54, vcc
	v_cndmask_b32_e32 v52, v55, v52, vcc
	s_nop 0
	v_mov_b32_dpp v55, v54 row_shr:2 row_mask:0xf bank_mask:0xf
	v_lshlrev_b32_e32 v54, 16, v54
	v_lshlrev_b32_e32 v56, 16, v55
	v_cmp_lt_f32_e32 vcc, v56, v54
	s_nop 1
	v_cndmask_b32_e32 v54, v55, v52, vcc
	v_cmp_lt_u32_e32 vcc, 1, v53
	s_nop 1
	v_cndmask_b32_e32 v52, v52, v54, vcc
	ds_write_b16 v14, v52
.LBB81_52:
	s_or_b64 exec, exec, s[52:53]
	s_load_dword s33, s[0:1], 0x10
	v_cmp_lt_u32_e32 vcc, 63, v0
	s_waitcnt lgkmcnt(0)
	s_barrier
	v_mov_b32_e32 v52, s33
	s_and_saveexec_b64 s[52:53], vcc
	s_cbranch_execz .LBB81_54
; %bb.53:
	v_lshl_add_u32 v51, v51, 1, -2
	ds_read_u16 v51, v51
	s_lshl_b32 s54, s33, 16
	v_mov_b32_e32 v52, s33
	s_waitcnt lgkmcnt(0)
	v_lshlrev_b32_e32 v53, 16, v51
	v_cmp_lt_f32_e32 vcc, s54, v53
	s_nop 1
	v_cndmask_b32_e32 v52, v52, v51, vcc
.LBB81_54:
	s_or_b64 exec, exec, s[52:53]
	v_lshlrev_b32_e32 v51, 16, v50
	v_lshlrev_b32_e32 v53, 16, v52
	v_cmp_lt_f32_e32 vcc, v53, v51
	v_add_u32_e32 v51, -1, v49
	v_and_b32_e32 v53, 64, v49
	v_cndmask_b32_e32 v50, v52, v50, vcc
	v_cmp_lt_i32_e32 vcc, v51, v53
	v_and_b32_e32 v50, 0xffff, v50
	s_nop 0
	v_cndmask_b32_e32 v51, v51, v49, vcc
	v_lshlrev_b32_e32 v51, 2, v51
	ds_bpermute_b32 v50, v51, v50
	v_cmp_eq_u32_e32 vcc, 0, v49
	s_barrier
	s_waitcnt lgkmcnt(0)
	s_load_dwordx2 s[0:1], s[0:1], 0x18
	v_cndmask_b32_e32 v49, v50, v52, vcc
	v_mov_b32_e32 v50, s33
	v_cmp_eq_u32_e32 vcc, 0, v0
	s_mov_b32 s33, 0x5040100
	s_nop 0
	v_cndmask_b32_e32 v49, v49, v50, vcc
	v_lshlrev_b32_e32 v50, 16, v49
	v_cmp_gt_f32_e32 vcc, v27, v50
	s_nop 1
	v_cndmask_b32_e32 v10, v49, v10, vcc
	v_lshlrev_b32_e32 v27, 16, v10
	v_cmp_gt_f32_e32 vcc, v25, v27
	;; [unrolled: 4-line block ×20, first 2 shown]
	v_perm_b32 v3, v11, v25, s33
	s_nop 0
	v_cndmask_b32_e32 v16, v27, v16, vcc
	v_lshlrev_b32_e32 v2, 16, v16
	v_cmp_gt_f32_e32 vcc, v46, v2
	s_nop 1
	v_cndmask_b32_e32 v28, v16, v4, vcc
	v_lshlrev_b32_e32 v2, 16, v28
	v_cmp_gt_f32_e32 vcc, v47, v2
	v_perm_b32 v4, v12, v24, s33
	s_nop 0
	v_cndmask_b32_e32 v15, v28, v15, vcc
	v_lshlrev_b32_e32 v2, 16, v15
	v_cmp_gt_f32_e32 vcc, v48, v2
	v_perm_b32 v2, v10, v49, s33
	s_nop 0
	v_cndmask_b32_e32 v29, v15, v5, vcc
	v_perm_b32 v5, v13, v23, s33
	ds_write_b128 v1, v[2:5]
	v_perm_b32 v5, v9, v19, s33
	v_perm_b32 v4, v8, v20, s33
	;; [unrolled: 1-line block ×4, first 2 shown]
	ds_write_b128 v1, v[2:5] offset:16
	v_perm_b32 v5, v29, v15, s33
	v_perm_b32 v4, v28, v16, s33
	;; [unrolled: 1-line block ×4, first 2 shown]
	s_movk_i32 s33, 0xffd2
	v_mad_i32_i24 v0, v0, s33, v1
	ds_write_b128 v1, v[2:5] offset:32
	s_waitcnt lgkmcnt(0)
	s_barrier
	ds_read_u16 v25, v0 offset:512
	ds_read_u16 v24, v0 offset:1024
	;; [unrolled: 1-line block ×23, first 2 shown]
	v_mov_b32_e32 v15, 0
	v_lshl_add_u64 v[0:1], s[0:1], 0, v[14:15]
	s_and_saveexec_b64 s[0:1], s[50:51]
	s_cbranch_execnz .LBB81_79
; %bb.55:
	s_or_b64 exec, exec, s[0:1]
	s_and_saveexec_b64 s[0:1], s[2:3]
	s_cbranch_execnz .LBB81_80
.LBB81_56:
	s_or_b64 exec, exec, s[0:1]
	s_and_saveexec_b64 s[0:1], s[4:5]
	s_cbranch_execnz .LBB81_81
.LBB81_57:
	s_or_b64 exec, exec, s[0:1]
	s_and_saveexec_b64 s[0:1], s[6:7]
	s_cbranch_execnz .LBB81_82
.LBB81_58:
	s_or_b64 exec, exec, s[0:1]
	s_and_saveexec_b64 s[0:1], s[8:9]
	s_cbranch_execnz .LBB81_83
.LBB81_59:
	s_or_b64 exec, exec, s[0:1]
	s_and_saveexec_b64 s[0:1], s[10:11]
	s_cbranch_execnz .LBB81_84
.LBB81_60:
	s_or_b64 exec, exec, s[0:1]
	s_and_saveexec_b64 s[0:1], s[12:13]
	s_cbranch_execnz .LBB81_85
.LBB81_61:
	s_or_b64 exec, exec, s[0:1]
	s_and_saveexec_b64 s[0:1], s[14:15]
	s_cbranch_execnz .LBB81_86
.LBB81_62:
	s_or_b64 exec, exec, s[0:1]
	s_and_saveexec_b64 s[0:1], s[16:17]
	s_cbranch_execnz .LBB81_87
.LBB81_63:
	s_or_b64 exec, exec, s[0:1]
	s_and_saveexec_b64 s[0:1], s[18:19]
	s_cbranch_execnz .LBB81_88
.LBB81_64:
	s_or_b64 exec, exec, s[0:1]
	s_and_saveexec_b64 s[0:1], s[20:21]
	s_cbranch_execnz .LBB81_89
.LBB81_65:
	s_or_b64 exec, exec, s[0:1]
	s_and_saveexec_b64 s[0:1], s[22:23]
	s_cbranch_execnz .LBB81_90
.LBB81_66:
	s_or_b64 exec, exec, s[0:1]
	s_and_saveexec_b64 s[0:1], s[24:25]
	s_cbranch_execnz .LBB81_91
.LBB81_67:
	s_or_b64 exec, exec, s[0:1]
	s_and_saveexec_b64 s[0:1], s[26:27]
	s_cbranch_execnz .LBB81_92
.LBB81_68:
	s_or_b64 exec, exec, s[0:1]
	s_and_saveexec_b64 s[0:1], s[28:29]
	s_cbranch_execnz .LBB81_93
.LBB81_69:
	s_or_b64 exec, exec, s[0:1]
	s_and_saveexec_b64 s[0:1], s[30:31]
	s_cbranch_execnz .LBB81_94
.LBB81_70:
	s_or_b64 exec, exec, s[0:1]
	s_and_saveexec_b64 s[0:1], s[34:35]
	s_cbranch_execnz .LBB81_95
.LBB81_71:
	s_or_b64 exec, exec, s[0:1]
	s_and_saveexec_b64 s[0:1], s[36:37]
	s_cbranch_execnz .LBB81_96
.LBB81_72:
	s_or_b64 exec, exec, s[0:1]
	s_and_saveexec_b64 s[0:1], s[38:39]
	s_cbranch_execnz .LBB81_97
.LBB81_73:
	s_or_b64 exec, exec, s[0:1]
	s_and_saveexec_b64 s[0:1], s[40:41]
	s_cbranch_execnz .LBB81_98
.LBB81_74:
	s_or_b64 exec, exec, s[0:1]
	s_and_saveexec_b64 s[0:1], s[42:43]
	s_cbranch_execnz .LBB81_99
.LBB81_75:
	s_or_b64 exec, exec, s[0:1]
	s_and_saveexec_b64 s[0:1], s[44:45]
	s_cbranch_execnz .LBB81_100
.LBB81_76:
	s_or_b64 exec, exec, s[0:1]
	s_and_saveexec_b64 s[0:1], s[46:47]
	s_cbranch_execnz .LBB81_101
.LBB81_77:
	s_or_b64 exec, exec, s[0:1]
	s_and_saveexec_b64 s[0:1], s[48:49]
	s_cbranch_execnz .LBB81_102
.LBB81_78:
	s_endpgm
.LBB81_79:
	ds_read_u16 v14, v14
	s_waitcnt lgkmcnt(0)
	global_store_short v[0:1], v14, off
	s_or_b64 exec, exec, s[0:1]
	s_and_saveexec_b64 s[0:1], s[2:3]
	s_cbranch_execz .LBB81_56
.LBB81_80:
	s_waitcnt lgkmcnt(14)
	global_store_short v[0:1], v25, off offset:512
	s_or_b64 exec, exec, s[0:1]
	s_and_saveexec_b64 s[0:1], s[4:5]
	s_cbranch_execz .LBB81_57
.LBB81_81:
	s_waitcnt lgkmcnt(14)
	global_store_short v[0:1], v24, off offset:1024
	s_or_b64 exec, exec, s[0:1]
	s_and_saveexec_b64 s[0:1], s[6:7]
	s_cbranch_execz .LBB81_58
.LBB81_82:
	s_waitcnt lgkmcnt(14)
	global_store_short v[0:1], v23, off offset:1536
	s_or_b64 exec, exec, s[0:1]
	s_and_saveexec_b64 s[0:1], s[8:9]
	s_cbranch_execz .LBB81_59
.LBB81_83:
	s_waitcnt lgkmcnt(1)
	global_store_short v[0:1], v26, off offset:2048
	s_or_b64 exec, exec, s[0:1]
	s_and_saveexec_b64 s[0:1], s[10:11]
	s_cbranch_execz .LBB81_60
.LBB81_84:
	s_waitcnt lgkmcnt(14)
	global_store_short v[0:1], v22, off offset:2560
	s_or_b64 exec, exec, s[0:1]
	s_and_saveexec_b64 s[0:1], s[12:13]
	s_cbranch_execz .LBB81_61
.LBB81_85:
	s_waitcnt lgkmcnt(14)
	global_store_short v[0:1], v21, off offset:3072
	s_or_b64 exec, exec, s[0:1]
	s_and_saveexec_b64 s[0:1], s[14:15]
	s_cbranch_execz .LBB81_62
.LBB81_86:
	s_waitcnt lgkmcnt(14)
	global_store_short v[0:1], v20, off offset:3584
	s_or_b64 exec, exec, s[0:1]
	s_and_saveexec_b64 s[0:1], s[16:17]
	s_cbranch_execz .LBB81_63
.LBB81_87:
	v_add_co_u32_e32 v14, vcc, 0x1000, v0
	s_nop 1
	v_addc_co_u32_e32 v15, vcc, 0, v1, vcc
	s_waitcnt lgkmcnt(14)
	global_store_short v[14:15], v19, off
	s_or_b64 exec, exec, s[0:1]
	s_and_saveexec_b64 s[0:1], s[18:19]
	s_cbranch_execz .LBB81_64
.LBB81_88:
	v_add_co_u32_e32 v14, vcc, 0x1000, v0
	s_nop 1
	v_addc_co_u32_e32 v15, vcc, 0, v1, vcc
	s_waitcnt lgkmcnt(14)
	global_store_short v[14:15], v18, off offset:512
	s_or_b64 exec, exec, s[0:1]
	s_and_saveexec_b64 s[0:1], s[20:21]
	s_cbranch_execz .LBB81_65
.LBB81_89:
	v_add_co_u32_e32 v14, vcc, 0x1000, v0
	s_nop 1
	v_addc_co_u32_e32 v15, vcc, 0, v1, vcc
	s_waitcnt lgkmcnt(14)
	global_store_short v[14:15], v17, off offset:1024
	s_or_b64 exec, exec, s[0:1]
	s_and_saveexec_b64 s[0:1], s[22:23]
	s_cbranch_execz .LBB81_66
.LBB81_90:
	v_add_co_u32_e32 v14, vcc, 0x1000, v0
	s_nop 1
	v_addc_co_u32_e32 v15, vcc, 0, v1, vcc
	s_waitcnt lgkmcnt(10)
	global_store_short v[14:15], v16, off offset:1536
	s_or_b64 exec, exec, s[0:1]
	s_and_saveexec_b64 s[0:1], s[24:25]
	s_cbranch_execz .LBB81_67
.LBB81_91:
	v_add_co_u32_e32 v14, vcc, 0x1000, v0
	s_nop 1
	v_addc_co_u32_e32 v15, vcc, 0, v1, vcc
	s_waitcnt lgkmcnt(13)
	global_store_short v[14:15], v13, off offset:2048
	s_or_b64 exec, exec, s[0:1]
	s_and_saveexec_b64 s[0:1], s[26:27]
	s_cbranch_execz .LBB81_68
.LBB81_92:
	v_add_co_u32_e32 v14, vcc, 0x1000, v0
	s_nop 1
	v_addc_co_u32_e32 v15, vcc, 0, v1, vcc
	s_waitcnt lgkmcnt(9)
	global_store_short v[14:15], v12, off offset:2560
	s_or_b64 exec, exec, s[0:1]
	s_and_saveexec_b64 s[0:1], s[28:29]
	s_cbranch_execz .LBB81_69
.LBB81_93:
	s_waitcnt lgkmcnt(9)
	v_add_co_u32_e32 v12, vcc, 0x1000, v0
	s_nop 1
	v_addc_co_u32_e32 v13, vcc, 0, v1, vcc
	s_waitcnt lgkmcnt(8)
	global_store_short v[12:13], v11, off offset:3072
	s_or_b64 exec, exec, s[0:1]
	s_and_saveexec_b64 s[0:1], s[30:31]
	s_cbranch_execz .LBB81_70
.LBB81_94:
	s_waitcnt lgkmcnt(9)
	v_add_co_u32_e32 v12, vcc, 0x1000, v0
	s_nop 1
	v_addc_co_u32_e32 v13, vcc, 0, v1, vcc
	s_waitcnt lgkmcnt(7)
	global_store_short v[12:13], v10, off offset:3584
	s_or_b64 exec, exec, s[0:1]
	s_and_saveexec_b64 s[0:1], s[34:35]
	s_cbranch_execz .LBB81_71
.LBB81_95:
	s_waitcnt lgkmcnt(7)
	v_add_co_u32_e32 v10, vcc, 0x2000, v0
	s_nop 1
	v_addc_co_u32_e32 v11, vcc, 0, v1, vcc
	global_store_short v[10:11], v9, off
	s_or_b64 exec, exec, s[0:1]
	s_and_saveexec_b64 s[0:1], s[36:37]
	s_cbranch_execz .LBB81_72
.LBB81_96:
	s_waitcnt lgkmcnt(7)
	v_add_co_u32_e32 v10, vcc, 0x2000, v0
	s_nop 1
	v_addc_co_u32_e32 v11, vcc, 0, v1, vcc
	s_waitcnt lgkmcnt(6)
	global_store_short v[10:11], v8, off offset:512
	s_or_b64 exec, exec, s[0:1]
	s_and_saveexec_b64 s[0:1], s[38:39]
	s_cbranch_execz .LBB81_73
.LBB81_97:
	s_waitcnt lgkmcnt(6)
	v_add_co_u32_e32 v8, vcc, 0x2000, v0
	s_nop 1
	v_addc_co_u32_e32 v9, vcc, 0, v1, vcc
	s_waitcnt lgkmcnt(5)
	global_store_short v[8:9], v7, off offset:1024
	s_or_b64 exec, exec, s[0:1]
	s_and_saveexec_b64 s[0:1], s[40:41]
	s_cbranch_execz .LBB81_74
.LBB81_98:
	s_waitcnt lgkmcnt(6)
	v_add_co_u32_e32 v8, vcc, 0x2000, v0
	s_nop 1
	v_addc_co_u32_e32 v9, vcc, 0, v1, vcc
	s_waitcnt lgkmcnt(4)
	global_store_short v[8:9], v6, off offset:1536
	s_or_b64 exec, exec, s[0:1]
	s_and_saveexec_b64 s[0:1], s[42:43]
	s_cbranch_execz .LBB81_75
.LBB81_99:
	s_waitcnt lgkmcnt(4)
	v_add_co_u32_e32 v6, vcc, 0x2000, v0
	s_nop 1
	v_addc_co_u32_e32 v7, vcc, 0, v1, vcc
	global_store_short v[6:7], v5, off offset:2048
	s_or_b64 exec, exec, s[0:1]
	s_and_saveexec_b64 s[0:1], s[44:45]
	s_cbranch_execz .LBB81_76
.LBB81_100:
	s_waitcnt lgkmcnt(4)
	v_add_co_u32_e32 v6, vcc, 0x2000, v0
	s_nop 1
	v_addc_co_u32_e32 v7, vcc, 0, v1, vcc
	s_waitcnt lgkmcnt(3)
	global_store_short v[6:7], v4, off offset:2560
	s_or_b64 exec, exec, s[0:1]
	s_and_saveexec_b64 s[0:1], s[46:47]
	s_cbranch_execz .LBB81_77
.LBB81_101:
	s_waitcnt lgkmcnt(3)
	v_add_co_u32_e32 v4, vcc, 0x2000, v0
	s_nop 1
	v_addc_co_u32_e32 v5, vcc, 0, v1, vcc
	s_waitcnt lgkmcnt(2)
	global_store_short v[4:5], v3, off offset:3072
	s_or_b64 exec, exec, s[0:1]
	s_and_saveexec_b64 s[0:1], s[48:49]
	s_cbranch_execz .LBB81_78
.LBB81_102:
	v_add_co_u32_e32 v0, vcc, 0x2000, v0
	s_nop 1
	v_addc_co_u32_e32 v1, vcc, 0, v1, vcc
	s_waitcnt lgkmcnt(0)
	global_store_short v[0:1], v2, off offset:3584
	s_endpgm
	.section	.rodata,"a",@progbits
	.p2align	6, 0x0
	.amdhsa_kernel _ZN7rocprim6detail18single_scan_kernelILb1ENS0_19wrapped_scan_configINS_14default_configE12hip_bfloat16EEPS4_S6_N6hipcub3MaxES4_S4_EEvT1_mT4_T2_T3_
		.amdhsa_group_segment_fixed_size 12288
		.amdhsa_private_segment_fixed_size 0
		.amdhsa_kernarg_size 36
		.amdhsa_user_sgpr_count 2
		.amdhsa_user_sgpr_dispatch_ptr 0
		.amdhsa_user_sgpr_queue_ptr 0
		.amdhsa_user_sgpr_kernarg_segment_ptr 1
		.amdhsa_user_sgpr_dispatch_id 0
		.amdhsa_user_sgpr_kernarg_preload_length 0
		.amdhsa_user_sgpr_kernarg_preload_offset 0
		.amdhsa_user_sgpr_private_segment_size 0
		.amdhsa_uses_dynamic_stack 0
		.amdhsa_enable_private_segment 0
		.amdhsa_system_sgpr_workgroup_id_x 1
		.amdhsa_system_sgpr_workgroup_id_y 0
		.amdhsa_system_sgpr_workgroup_id_z 0
		.amdhsa_system_sgpr_workgroup_info 0
		.amdhsa_system_vgpr_workitem_id 0
		.amdhsa_next_free_vgpr 58
		.amdhsa_next_free_sgpr 56
		.amdhsa_accum_offset 60
		.amdhsa_reserve_vcc 1
		.amdhsa_float_round_mode_32 0
		.amdhsa_float_round_mode_16_64 0
		.amdhsa_float_denorm_mode_32 3
		.amdhsa_float_denorm_mode_16_64 3
		.amdhsa_dx10_clamp 1
		.amdhsa_ieee_mode 1
		.amdhsa_fp16_overflow 0
		.amdhsa_tg_split 0
		.amdhsa_exception_fp_ieee_invalid_op 0
		.amdhsa_exception_fp_denorm_src 0
		.amdhsa_exception_fp_ieee_div_zero 0
		.amdhsa_exception_fp_ieee_overflow 0
		.amdhsa_exception_fp_ieee_underflow 0
		.amdhsa_exception_fp_ieee_inexact 0
		.amdhsa_exception_int_div_zero 0
	.end_amdhsa_kernel
	.section	.text._ZN7rocprim6detail18single_scan_kernelILb1ENS0_19wrapped_scan_configINS_14default_configE12hip_bfloat16EEPS4_S6_N6hipcub3MaxES4_S4_EEvT1_mT4_T2_T3_,"axG",@progbits,_ZN7rocprim6detail18single_scan_kernelILb1ENS0_19wrapped_scan_configINS_14default_configE12hip_bfloat16EEPS4_S6_N6hipcub3MaxES4_S4_EEvT1_mT4_T2_T3_,comdat
.Lfunc_end81:
	.size	_ZN7rocprim6detail18single_scan_kernelILb1ENS0_19wrapped_scan_configINS_14default_configE12hip_bfloat16EEPS4_S6_N6hipcub3MaxES4_S4_EEvT1_mT4_T2_T3_, .Lfunc_end81-_ZN7rocprim6detail18single_scan_kernelILb1ENS0_19wrapped_scan_configINS_14default_configE12hip_bfloat16EEPS4_S6_N6hipcub3MaxES4_S4_EEvT1_mT4_T2_T3_
                                        ; -- End function
	.section	.AMDGPU.csdata,"",@progbits
; Kernel info:
; codeLenInByte = 4584
; NumSgprs: 62
; NumVgprs: 58
; NumAgprs: 0
; TotalNumVgprs: 58
; ScratchSize: 0
; MemoryBound: 0
; FloatMode: 240
; IeeeMode: 1
; LDSByteSize: 12288 bytes/workgroup (compile time only)
; SGPRBlocks: 7
; VGPRBlocks: 7
; NumSGPRsForWavesPerEU: 62
; NumVGPRsForWavesPerEU: 58
; AccumOffset: 60
; Occupancy: 5
; WaveLimiterHint : 0
; COMPUTE_PGM_RSRC2:SCRATCH_EN: 0
; COMPUTE_PGM_RSRC2:USER_SGPR: 2
; COMPUTE_PGM_RSRC2:TRAP_HANDLER: 0
; COMPUTE_PGM_RSRC2:TGID_X_EN: 1
; COMPUTE_PGM_RSRC2:TGID_Y_EN: 0
; COMPUTE_PGM_RSRC2:TGID_Z_EN: 0
; COMPUTE_PGM_RSRC2:TIDIG_COMP_CNT: 0
; COMPUTE_PGM_RSRC3_GFX90A:ACCUM_OFFSET: 14
; COMPUTE_PGM_RSRC3_GFX90A:TG_SPLIT: 0
	.section	.text._ZN7rocprim6detail20lookback_scan_kernelILNS0_25lookback_scan_determinismE0ELb1ENS0_19wrapped_scan_configINS_14default_configEiEEN6hipcub22TransformInputIteratorIiNS6_6CastOpIiEEPilEEPdNS6_3SumEiiNS0_19lookback_scan_stateIiLb1ELb1EEEEEvT2_T3_mT5_T4_T7_jPT6_SM_bb,"axG",@progbits,_ZN7rocprim6detail20lookback_scan_kernelILNS0_25lookback_scan_determinismE0ELb1ENS0_19wrapped_scan_configINS_14default_configEiEEN6hipcub22TransformInputIteratorIiNS6_6CastOpIiEEPilEEPdNS6_3SumEiiNS0_19lookback_scan_stateIiLb1ELb1EEEEEvT2_T3_mT5_T4_T7_jPT6_SM_bb,comdat
	.protected	_ZN7rocprim6detail20lookback_scan_kernelILNS0_25lookback_scan_determinismE0ELb1ENS0_19wrapped_scan_configINS_14default_configEiEEN6hipcub22TransformInputIteratorIiNS6_6CastOpIiEEPilEEPdNS6_3SumEiiNS0_19lookback_scan_stateIiLb1ELb1EEEEEvT2_T3_mT5_T4_T7_jPT6_SM_bb ; -- Begin function _ZN7rocprim6detail20lookback_scan_kernelILNS0_25lookback_scan_determinismE0ELb1ENS0_19wrapped_scan_configINS_14default_configEiEEN6hipcub22TransformInputIteratorIiNS6_6CastOpIiEEPilEEPdNS6_3SumEiiNS0_19lookback_scan_stateIiLb1ELb1EEEEEvT2_T3_mT5_T4_T7_jPT6_SM_bb
	.globl	_ZN7rocprim6detail20lookback_scan_kernelILNS0_25lookback_scan_determinismE0ELb1ENS0_19wrapped_scan_configINS_14default_configEiEEN6hipcub22TransformInputIteratorIiNS6_6CastOpIiEEPilEEPdNS6_3SumEiiNS0_19lookback_scan_stateIiLb1ELb1EEEEEvT2_T3_mT5_T4_T7_jPT6_SM_bb
	.p2align	8
	.type	_ZN7rocprim6detail20lookback_scan_kernelILNS0_25lookback_scan_determinismE0ELb1ENS0_19wrapped_scan_configINS_14default_configEiEEN6hipcub22TransformInputIteratorIiNS6_6CastOpIiEEPilEEPdNS6_3SumEiiNS0_19lookback_scan_stateIiLb1ELb1EEEEEvT2_T3_mT5_T4_T7_jPT6_SM_bb,@function
_ZN7rocprim6detail20lookback_scan_kernelILNS0_25lookback_scan_determinismE0ELb1ENS0_19wrapped_scan_configINS_14default_configEiEEN6hipcub22TransformInputIteratorIiNS6_6CastOpIiEEPilEEPdNS6_3SumEiiNS0_19lookback_scan_stateIiLb1ELb1EEEEEvT2_T3_mT5_T4_T7_jPT6_SM_bb: ; @_ZN7rocprim6detail20lookback_scan_kernelILNS0_25lookback_scan_determinismE0ELb1ENS0_19wrapped_scan_configINS_14default_configEiEEN6hipcub22TransformInputIteratorIiNS6_6CastOpIiEEPilEEPdNS6_3SumEiiNS0_19lookback_scan_stateIiLb1ELb1EEEEEvT2_T3_mT5_T4_T7_jPT6_SM_bb
; %bb.0:
	s_endpgm
	.section	.rodata,"a",@progbits
	.p2align	6, 0x0
	.amdhsa_kernel _ZN7rocprim6detail20lookback_scan_kernelILNS0_25lookback_scan_determinismE0ELb1ENS0_19wrapped_scan_configINS_14default_configEiEEN6hipcub22TransformInputIteratorIiNS6_6CastOpIiEEPilEEPdNS6_3SumEiiNS0_19lookback_scan_stateIiLb1ELb1EEEEEvT2_T3_mT5_T4_T7_jPT6_SM_bb
		.amdhsa_group_segment_fixed_size 0
		.amdhsa_private_segment_fixed_size 0
		.amdhsa_kernarg_size 76
		.amdhsa_user_sgpr_count 2
		.amdhsa_user_sgpr_dispatch_ptr 0
		.amdhsa_user_sgpr_queue_ptr 0
		.amdhsa_user_sgpr_kernarg_segment_ptr 1
		.amdhsa_user_sgpr_dispatch_id 0
		.amdhsa_user_sgpr_kernarg_preload_length 0
		.amdhsa_user_sgpr_kernarg_preload_offset 0
		.amdhsa_user_sgpr_private_segment_size 0
		.amdhsa_uses_dynamic_stack 0
		.amdhsa_enable_private_segment 0
		.amdhsa_system_sgpr_workgroup_id_x 1
		.amdhsa_system_sgpr_workgroup_id_y 0
		.amdhsa_system_sgpr_workgroup_id_z 0
		.amdhsa_system_sgpr_workgroup_info 0
		.amdhsa_system_vgpr_workitem_id 0
		.amdhsa_next_free_vgpr 1
		.amdhsa_next_free_sgpr 0
		.amdhsa_accum_offset 4
		.amdhsa_reserve_vcc 0
		.amdhsa_float_round_mode_32 0
		.amdhsa_float_round_mode_16_64 0
		.amdhsa_float_denorm_mode_32 3
		.amdhsa_float_denorm_mode_16_64 3
		.amdhsa_dx10_clamp 1
		.amdhsa_ieee_mode 1
		.amdhsa_fp16_overflow 0
		.amdhsa_tg_split 0
		.amdhsa_exception_fp_ieee_invalid_op 0
		.amdhsa_exception_fp_denorm_src 0
		.amdhsa_exception_fp_ieee_div_zero 0
		.amdhsa_exception_fp_ieee_overflow 0
		.amdhsa_exception_fp_ieee_underflow 0
		.amdhsa_exception_fp_ieee_inexact 0
		.amdhsa_exception_int_div_zero 0
	.end_amdhsa_kernel
	.section	.text._ZN7rocprim6detail20lookback_scan_kernelILNS0_25lookback_scan_determinismE0ELb1ENS0_19wrapped_scan_configINS_14default_configEiEEN6hipcub22TransformInputIteratorIiNS6_6CastOpIiEEPilEEPdNS6_3SumEiiNS0_19lookback_scan_stateIiLb1ELb1EEEEEvT2_T3_mT5_T4_T7_jPT6_SM_bb,"axG",@progbits,_ZN7rocprim6detail20lookback_scan_kernelILNS0_25lookback_scan_determinismE0ELb1ENS0_19wrapped_scan_configINS_14default_configEiEEN6hipcub22TransformInputIteratorIiNS6_6CastOpIiEEPilEEPdNS6_3SumEiiNS0_19lookback_scan_stateIiLb1ELb1EEEEEvT2_T3_mT5_T4_T7_jPT6_SM_bb,comdat
.Lfunc_end82:
	.size	_ZN7rocprim6detail20lookback_scan_kernelILNS0_25lookback_scan_determinismE0ELb1ENS0_19wrapped_scan_configINS_14default_configEiEEN6hipcub22TransformInputIteratorIiNS6_6CastOpIiEEPilEEPdNS6_3SumEiiNS0_19lookback_scan_stateIiLb1ELb1EEEEEvT2_T3_mT5_T4_T7_jPT6_SM_bb, .Lfunc_end82-_ZN7rocprim6detail20lookback_scan_kernelILNS0_25lookback_scan_determinismE0ELb1ENS0_19wrapped_scan_configINS_14default_configEiEEN6hipcub22TransformInputIteratorIiNS6_6CastOpIiEEPilEEPdNS6_3SumEiiNS0_19lookback_scan_stateIiLb1ELb1EEEEEvT2_T3_mT5_T4_T7_jPT6_SM_bb
                                        ; -- End function
	.section	.AMDGPU.csdata,"",@progbits
; Kernel info:
; codeLenInByte = 4
; NumSgprs: 6
; NumVgprs: 0
; NumAgprs: 0
; TotalNumVgprs: 0
; ScratchSize: 0
; MemoryBound: 0
; FloatMode: 240
; IeeeMode: 1
; LDSByteSize: 0 bytes/workgroup (compile time only)
; SGPRBlocks: 0
; VGPRBlocks: 0
; NumSGPRsForWavesPerEU: 6
; NumVGPRsForWavesPerEU: 1
; AccumOffset: 4
; Occupancy: 8
; WaveLimiterHint : 0
; COMPUTE_PGM_RSRC2:SCRATCH_EN: 0
; COMPUTE_PGM_RSRC2:USER_SGPR: 2
; COMPUTE_PGM_RSRC2:TRAP_HANDLER: 0
; COMPUTE_PGM_RSRC2:TGID_X_EN: 1
; COMPUTE_PGM_RSRC2:TGID_Y_EN: 0
; COMPUTE_PGM_RSRC2:TGID_Z_EN: 0
; COMPUTE_PGM_RSRC2:TIDIG_COMP_CNT: 0
; COMPUTE_PGM_RSRC3_GFX90A:ACCUM_OFFSET: 0
; COMPUTE_PGM_RSRC3_GFX90A:TG_SPLIT: 0
	.section	.text._ZN7rocprim6detail20lookback_scan_kernelILNS0_25lookback_scan_determinismE0ELb1ENS0_19wrapped_scan_configINS_14default_configEiEEN6hipcub22TransformInputIteratorIiNS6_6CastOpIiEEPilEEPdNS6_3SumEiiNS0_19lookback_scan_stateIiLb0ELb1EEEEEvT2_T3_mT5_T4_T7_jPT6_SM_bb,"axG",@progbits,_ZN7rocprim6detail20lookback_scan_kernelILNS0_25lookback_scan_determinismE0ELb1ENS0_19wrapped_scan_configINS_14default_configEiEEN6hipcub22TransformInputIteratorIiNS6_6CastOpIiEEPilEEPdNS6_3SumEiiNS0_19lookback_scan_stateIiLb0ELb1EEEEEvT2_T3_mT5_T4_T7_jPT6_SM_bb,comdat
	.protected	_ZN7rocprim6detail20lookback_scan_kernelILNS0_25lookback_scan_determinismE0ELb1ENS0_19wrapped_scan_configINS_14default_configEiEEN6hipcub22TransformInputIteratorIiNS6_6CastOpIiEEPilEEPdNS6_3SumEiiNS0_19lookback_scan_stateIiLb0ELb1EEEEEvT2_T3_mT5_T4_T7_jPT6_SM_bb ; -- Begin function _ZN7rocprim6detail20lookback_scan_kernelILNS0_25lookback_scan_determinismE0ELb1ENS0_19wrapped_scan_configINS_14default_configEiEEN6hipcub22TransformInputIteratorIiNS6_6CastOpIiEEPilEEPdNS6_3SumEiiNS0_19lookback_scan_stateIiLb0ELb1EEEEEvT2_T3_mT5_T4_T7_jPT6_SM_bb
	.globl	_ZN7rocprim6detail20lookback_scan_kernelILNS0_25lookback_scan_determinismE0ELb1ENS0_19wrapped_scan_configINS_14default_configEiEEN6hipcub22TransformInputIteratorIiNS6_6CastOpIiEEPilEEPdNS6_3SumEiiNS0_19lookback_scan_stateIiLb0ELb1EEEEEvT2_T3_mT5_T4_T7_jPT6_SM_bb
	.p2align	8
	.type	_ZN7rocprim6detail20lookback_scan_kernelILNS0_25lookback_scan_determinismE0ELb1ENS0_19wrapped_scan_configINS_14default_configEiEEN6hipcub22TransformInputIteratorIiNS6_6CastOpIiEEPilEEPdNS6_3SumEiiNS0_19lookback_scan_stateIiLb0ELb1EEEEEvT2_T3_mT5_T4_T7_jPT6_SM_bb,@function
_ZN7rocprim6detail20lookback_scan_kernelILNS0_25lookback_scan_determinismE0ELb1ENS0_19wrapped_scan_configINS_14default_configEiEEN6hipcub22TransformInputIteratorIiNS6_6CastOpIiEEPilEEPdNS6_3SumEiiNS0_19lookback_scan_stateIiLb0ELb1EEEEEvT2_T3_mT5_T4_T7_jPT6_SM_bb: ; @_ZN7rocprim6detail20lookback_scan_kernelILNS0_25lookback_scan_determinismE0ELb1ENS0_19wrapped_scan_configINS_14default_configEiEEN6hipcub22TransformInputIteratorIiNS6_6CastOpIiEEPilEEPdNS6_3SumEiiNS0_19lookback_scan_stateIiLb0ELb1EEEEEvT2_T3_mT5_T4_T7_jPT6_SM_bb
; %bb.0:
	s_load_dword s3, s[0:1], 0x30
	s_load_dwordx2 s[14:15], s[0:1], 0x0
	s_load_dwordx4 s[8:11], s[0:1], 0x10
	s_mul_i32 s12, s2, 0x1500
	s_mov_b32 s13, 0
	s_waitcnt lgkmcnt(0)
	s_add_i32 s3, s3, -1
	s_mul_i32 s4, s3, 0x1500
	s_sub_u32 s22, s10, s4
	s_subb_u32 s23, s11, 0
	s_cmp_lg_u32 s2, s3
	s_cselect_b64 s[10:11], -1, 0
	s_lshl_b64 s[4:5], s[12:13], 2
	s_add_u32 s6, s14, s4
	s_addc_u32 s7, s15, s5
	s_mov_b64 s[4:5], -1
	s_and_b64 vcc, exec, s[10:11]
	s_cbranch_vccz .LBB83_2
; %bb.1:
	v_lshlrev_b32_e32 v2, 2, v0
	v_mov_b32_e32 v3, 0
	v_lshl_add_u64 v[4:5], s[6:7], 0, v[2:3]
	v_add_co_u32_e32 v6, vcc, 0x1000, v4
	global_load_dword v1, v2, s[6:7]
	global_load_dword v3, v2, s[6:7] offset:1024
	global_load_dword v10, v2, s[6:7] offset:2048
	;; [unrolled: 1-line block ×3, first 2 shown]
	v_addc_co_u32_e32 v7, vcc, 0, v5, vcc
	v_add_co_u32_e32 v8, vcc, 0x2000, v4
	s_mov_b64 s[4:5], 0
	s_nop 0
	v_addc_co_u32_e32 v9, vcc, 0, v5, vcc
	global_load_dword v12, v[6:7], off
	global_load_dword v13, v[6:7], off offset:1024
	global_load_dword v14, v[6:7], off offset:2048
	;; [unrolled: 1-line block ×3, first 2 shown]
	global_load_dword v16, v[8:9], off
	global_load_dword v17, v[8:9], off offset:1024
	global_load_dword v18, v[8:9], off offset:2048
	;; [unrolled: 1-line block ×3, first 2 shown]
	v_add_co_u32_e32 v6, vcc, 0x3000, v4
	s_nop 1
	v_addc_co_u32_e32 v7, vcc, 0, v5, vcc
	v_add_co_u32_e32 v8, vcc, 0x4000, v4
	s_nop 1
	v_addc_co_u32_e32 v9, vcc, 0, v5, vcc
	global_load_dword v20, v[6:7], off
	global_load_dword v21, v[6:7], off offset:1024
	global_load_dword v22, v[6:7], off offset:2048
	;; [unrolled: 1-line block ×3, first 2 shown]
	global_load_dword v24, v[8:9], off
	global_load_dword v25, v[8:9], off offset:1024
	global_load_dword v26, v[8:9], off offset:2048
	;; [unrolled: 1-line block ×3, first 2 shown]
	v_add_co_u32_e32 v4, vcc, 0x5000, v4
	s_nop 1
	v_addc_co_u32_e32 v5, vcc, 0, v5, vcc
	global_load_dword v4, v[4:5], off
	s_waitcnt vmcnt(19)
	ds_write2st64_b32 v2, v1, v3 offset1:4
	s_waitcnt vmcnt(17)
	ds_write2st64_b32 v2, v10, v11 offset0:8 offset1:12
	s_waitcnt vmcnt(15)
	ds_write2st64_b32 v2, v12, v13 offset0:16 offset1:20
	;; [unrolled: 2-line block ×9, first 2 shown]
	s_waitcnt vmcnt(0)
	ds_write_b32 v2, v4 offset:20480
	s_waitcnt lgkmcnt(0)
	s_barrier
.LBB83_2:
	s_andn2_b64 vcc, exec, s[4:5]
	v_cmp_gt_u32_e64 s[4:5], s22, v0
	s_cbranch_vccnz .LBB83_46
; %bb.3:
	s_load_dword s3, s[6:7], 0x0
	v_lshlrev_b32_e32 v2, 2, v0
	v_mov_b32_e32 v3, 0
	v_lshl_add_u64 v[4:5], s[6:7], 0, v[2:3]
	s_waitcnt lgkmcnt(0)
	v_mov_b32_e32 v1, s3
	s_and_saveexec_b64 s[6:7], s[4:5]
	s_cbranch_execz .LBB83_5
; %bb.4:
	global_load_dword v1, v[4:5], off
.LBB83_5:
	s_or_b64 exec, exec, s[6:7]
	v_or_b32_e32 v3, 0x100, v0
	v_cmp_gt_u32_e32 vcc, s22, v3
	v_mov_b32_e32 v3, s3
	s_and_saveexec_b64 s[4:5], vcc
	s_cbranch_execz .LBB83_7
; %bb.6:
	global_load_dword v3, v[4:5], off offset:1024
.LBB83_7:
	s_or_b64 exec, exec, s[4:5]
	v_or_b32_e32 v6, 0x200, v0
	v_cmp_gt_u32_e32 vcc, s22, v6
	v_mov_b32_e32 v6, s3
	s_and_saveexec_b64 s[4:5], vcc
	s_cbranch_execz .LBB83_9
; %bb.8:
	global_load_dword v6, v[4:5], off offset:2048
.LBB83_9:
	s_or_b64 exec, exec, s[4:5]
	v_or_b32_e32 v7, 0x300, v0
	v_cmp_gt_u32_e32 vcc, s22, v7
	v_mov_b32_e32 v7, s3
	s_and_saveexec_b64 s[4:5], vcc
	s_cbranch_execz .LBB83_11
; %bb.10:
	global_load_dword v7, v[4:5], off offset:3072
.LBB83_11:
	s_or_b64 exec, exec, s[4:5]
	v_or_b32_e32 v8, 0x400, v0
	v_cmp_gt_u32_e32 vcc, s22, v8
	v_mov_b32_e32 v8, s3
	s_and_saveexec_b64 s[4:5], vcc
	s_cbranch_execz .LBB83_13
; %bb.12:
	v_add_co_u32_e32 v8, vcc, 0x1000, v4
	s_nop 1
	v_addc_co_u32_e32 v9, vcc, 0, v5, vcc
	global_load_dword v8, v[8:9], off
.LBB83_13:
	s_or_b64 exec, exec, s[4:5]
	v_or_b32_e32 v9, 0x500, v0
	v_cmp_gt_u32_e32 vcc, s22, v9
	v_mov_b32_e32 v9, s3
	s_and_saveexec_b64 s[4:5], vcc
	s_cbranch_execz .LBB83_15
; %bb.14:
	v_add_co_u32_e32 v10, vcc, 0x1000, v4
	s_nop 1
	v_addc_co_u32_e32 v11, vcc, 0, v5, vcc
	global_load_dword v9, v[10:11], off offset:1024
.LBB83_15:
	s_or_b64 exec, exec, s[4:5]
	v_or_b32_e32 v10, 0x600, v0
	v_cmp_gt_u32_e32 vcc, s22, v10
	v_mov_b32_e32 v10, s3
	s_and_saveexec_b64 s[4:5], vcc
	s_cbranch_execz .LBB83_17
; %bb.16:
	v_add_co_u32_e32 v10, vcc, 0x1000, v4
	s_nop 1
	v_addc_co_u32_e32 v11, vcc, 0, v5, vcc
	global_load_dword v10, v[10:11], off offset:2048
.LBB83_17:
	s_or_b64 exec, exec, s[4:5]
	v_or_b32_e32 v11, 0x700, v0
	v_cmp_gt_u32_e32 vcc, s22, v11
	v_mov_b32_e32 v11, s3
	s_and_saveexec_b64 s[4:5], vcc
	s_cbranch_execz .LBB83_19
; %bb.18:
	v_add_co_u32_e32 v12, vcc, 0x1000, v4
	s_nop 1
	v_addc_co_u32_e32 v13, vcc, 0, v5, vcc
	global_load_dword v11, v[12:13], off offset:3072
.LBB83_19:
	s_or_b64 exec, exec, s[4:5]
	v_or_b32_e32 v12, 0x800, v0
	v_cmp_gt_u32_e32 vcc, s22, v12
	v_mov_b32_e32 v12, s3
	s_and_saveexec_b64 s[4:5], vcc
	s_cbranch_execz .LBB83_21
; %bb.20:
	v_add_co_u32_e32 v12, vcc, 0x2000, v4
	s_nop 1
	v_addc_co_u32_e32 v13, vcc, 0, v5, vcc
	global_load_dword v12, v[12:13], off
.LBB83_21:
	s_or_b64 exec, exec, s[4:5]
	v_or_b32_e32 v13, 0x900, v0
	v_cmp_gt_u32_e32 vcc, s22, v13
	v_mov_b32_e32 v13, s3
	s_and_saveexec_b64 s[4:5], vcc
	s_cbranch_execz .LBB83_23
; %bb.22:
	v_add_co_u32_e32 v14, vcc, 0x2000, v4
	s_nop 1
	v_addc_co_u32_e32 v15, vcc, 0, v5, vcc
	global_load_dword v13, v[14:15], off offset:1024
.LBB83_23:
	s_or_b64 exec, exec, s[4:5]
	v_or_b32_e32 v14, 0xa00, v0
	v_cmp_gt_u32_e32 vcc, s22, v14
	v_mov_b32_e32 v14, s3
	s_and_saveexec_b64 s[4:5], vcc
	s_cbranch_execz .LBB83_25
; %bb.24:
	v_add_co_u32_e32 v14, vcc, 0x2000, v4
	s_nop 1
	v_addc_co_u32_e32 v15, vcc, 0, v5, vcc
	global_load_dword v14, v[14:15], off offset:2048
.LBB83_25:
	s_or_b64 exec, exec, s[4:5]
	v_or_b32_e32 v15, 0xb00, v0
	v_cmp_gt_u32_e32 vcc, s22, v15
	v_mov_b32_e32 v15, s3
	s_and_saveexec_b64 s[4:5], vcc
	s_cbranch_execz .LBB83_27
; %bb.26:
	v_add_co_u32_e32 v16, vcc, 0x2000, v4
	s_nop 1
	v_addc_co_u32_e32 v17, vcc, 0, v5, vcc
	global_load_dword v15, v[16:17], off offset:3072
.LBB83_27:
	;; [unrolled: 48-line block ×4, first 2 shown]
	s_or_b64 exec, exec, s[4:5]
	v_or_b32_e32 v24, 0x1400, v0
	v_cmp_gt_u32_e32 vcc, s22, v24
	v_mov_b32_e32 v24, s3
	s_and_saveexec_b64 s[4:5], vcc
	s_cbranch_execz .LBB83_45
; %bb.44:
	v_add_co_u32_e32 v4, vcc, 0x5000, v4
	s_nop 1
	v_addc_co_u32_e32 v5, vcc, 0, v5, vcc
	global_load_dword v24, v[4:5], off
.LBB83_45:
	s_or_b64 exec, exec, s[4:5]
	s_waitcnt vmcnt(0)
	ds_write2st64_b32 v2, v1, v3 offset1:4
	ds_write2st64_b32 v2, v6, v7 offset0:8 offset1:12
	ds_write2st64_b32 v2, v8, v9 offset0:16 offset1:20
	ds_write2st64_b32 v2, v10, v11 offset0:24 offset1:28
	ds_write2st64_b32 v2, v12, v13 offset0:32 offset1:36
	ds_write2st64_b32 v2, v14, v15 offset0:40 offset1:44
	ds_write2st64_b32 v2, v16, v17 offset0:48 offset1:52
	ds_write2st64_b32 v2, v18, v19 offset0:56 offset1:60
	ds_write2st64_b32 v2, v20, v21 offset0:64 offset1:68
	ds_write2st64_b32 v2, v22, v23 offset0:72 offset1:76
	ds_write_b32 v2, v24 offset:20480
	s_waitcnt lgkmcnt(0)
	s_barrier
.LBB83_46:
	s_load_dwordx2 s[16:17], s[0:1], 0x28
	v_mul_u32_u24_e32 v32, 21, v0
	v_lshlrev_b32_e32 v1, 2, v32
	s_waitcnt lgkmcnt(0)
	ds_read2_b32 v[20:21], v1 offset1:1
	ds_read2_b32 v[18:19], v1 offset0:2 offset1:3
	ds_read2_b32 v[16:17], v1 offset0:4 offset1:5
	;; [unrolled: 1-line block ×9, first 2 shown]
	ds_read_b32 v34, v1 offset:80
	s_waitcnt lgkmcnt(9)
	v_add3_u32 v1, v21, v20, v18
	s_cmp_lg_u32 s2, 0
	s_waitcnt lgkmcnt(8)
	v_add3_u32 v36, v1, v19, v16
	v_mbcnt_lo_u32_b32 v35, -1, 0
	v_lshrrev_b32_e32 v1, 6, v0
	v_or_b32_e32 v33, 63, v0
	s_waitcnt lgkmcnt(0)
	s_barrier
	s_cbranch_scc0 .LBB83_73
; %bb.47:
	v_add3_u32 v22, v36, v17, v14
	v_add3_u32 v22, v22, v15, v12
	;; [unrolled: 1-line block ×7, first 2 shown]
	v_mbcnt_hi_u32_b32 v25, -1, v35
	v_add3_u32 v22, v22, v3, v34
	v_and_b32_e32 v23, 15, v25
	v_cmp_ne_u32_e32 vcc, 0, v23
	v_mov_b32_dpp v24, v22 row_shr:1 row_mask:0xf bank_mask:0xf
	s_nop 0
	v_cndmask_b32_e32 v24, 0, v24, vcc
	v_add_u32_e32 v22, v24, v22
	v_cmp_lt_u32_e32 vcc, 1, v23
	s_nop 0
	v_mov_b32_dpp v24, v22 row_shr:2 row_mask:0xf bank_mask:0xf
	v_cndmask_b32_e32 v24, 0, v24, vcc
	v_add_u32_e32 v22, v22, v24
	v_cmp_lt_u32_e32 vcc, 3, v23
	s_nop 0
	v_mov_b32_dpp v24, v22 row_shr:4 row_mask:0xf bank_mask:0xf
	;; [unrolled: 5-line block ×3, first 2 shown]
	v_cndmask_b32_e32 v23, 0, v24, vcc
	v_add_u32_e32 v22, v22, v23
	v_bfe_i32 v24, v25, 4, 1
	v_cmp_lt_u32_e32 vcc, 31, v25
	v_mov_b32_dpp v23, v22 row_bcast:15 row_mask:0xf bank_mask:0xf
	v_and_b32_e32 v23, v24, v23
	v_add_u32_e32 v22, v22, v23
	s_nop 1
	v_mov_b32_dpp v23, v22 row_bcast:31 row_mask:0xf bank_mask:0xf
	v_cndmask_b32_e32 v23, 0, v23, vcc
	v_add_u32_e32 v22, v22, v23
	v_cmp_eq_u32_e32 vcc, v33, v0
	s_and_saveexec_b64 s[4:5], vcc
	s_cbranch_execz .LBB83_49
; %bb.48:
	v_lshlrev_b32_e32 v23, 2, v1
	ds_write_b32 v23, v22
.LBB83_49:
	s_or_b64 exec, exec, s[4:5]
	v_cmp_gt_u32_e32 vcc, 4, v0
	s_waitcnt lgkmcnt(0)
	s_barrier
	s_and_saveexec_b64 s[4:5], vcc
	s_cbranch_execz .LBB83_51
; %bb.50:
	v_lshlrev_b32_e32 v23, 2, v0
	ds_read_b32 v24, v23
	v_and_b32_e32 v26, 3, v25
	v_cmp_ne_u32_e32 vcc, 0, v26
	s_waitcnt lgkmcnt(0)
	v_mov_b32_dpp v27, v24 row_shr:1 row_mask:0xf bank_mask:0xf
	v_cndmask_b32_e32 v27, 0, v27, vcc
	v_add_u32_e32 v24, v27, v24
	v_cmp_lt_u32_e32 vcc, 1, v26
	s_nop 0
	v_mov_b32_dpp v27, v24 row_shr:2 row_mask:0xf bank_mask:0xf
	v_cndmask_b32_e32 v26, 0, v27, vcc
	v_add_u32_e32 v24, v24, v26
	ds_write_b32 v23, v24
.LBB83_51:
	s_or_b64 exec, exec, s[4:5]
	v_cmp_gt_u32_e32 vcc, 64, v0
	v_cmp_lt_u32_e64 s[4:5], 63, v0
	s_waitcnt lgkmcnt(0)
	s_barrier
	s_waitcnt lgkmcnt(0)
                                        ; implicit-def: $vgpr37
	s_and_saveexec_b64 s[6:7], s[4:5]
	s_cbranch_execz .LBB83_53
; %bb.52:
	v_lshl_add_u32 v23, v1, 2, -4
	ds_read_b32 v37, v23
	s_waitcnt lgkmcnt(0)
	v_add_u32_e32 v22, v37, v22
.LBB83_53:
	s_or_b64 exec, exec, s[6:7]
	v_add_u32_e32 v23, -1, v25
	v_and_b32_e32 v24, 64, v25
	v_cmp_lt_i32_e64 s[4:5], v23, v24
	s_nop 1
	v_cndmask_b32_e64 v23, v23, v25, s[4:5]
	v_lshlrev_b32_e32 v23, 2, v23
	ds_bpermute_b32 v38, v23, v22
	v_cmp_eq_u32_e64 s[4:5], 0, v25
	s_and_saveexec_b64 s[6:7], vcc
	s_cbranch_execz .LBB83_72
; %bb.54:
	v_mov_b32_e32 v29, 0
	ds_read_b32 v22, v29 offset:12
	s_and_saveexec_b64 s[18:19], s[4:5]
	s_cbranch_execz .LBB83_56
; %bb.55:
	s_add_i32 s20, s2, 64
	s_mov_b32 s21, 0
	s_lshl_b64 s[20:21], s[20:21], 3
	s_add_u32 s20, s16, s20
	s_addc_u32 s21, s17, s21
	v_mov_b32_e32 v23, 1
	s_waitcnt lgkmcnt(0)
	global_store_dwordx2 v29, v[22:23], s[20:21] sc1
.LBB83_56:
	s_or_b64 exec, exec, s[18:19]
	v_xad_u32 v24, v25, -1, s2
	v_add_u32_e32 v28, 64, v24
	v_lshl_add_u64 v[30:31], v[28:29], 3, s[16:17]
	global_load_dwordx2 v[26:27], v[30:31], off sc1
	s_waitcnt vmcnt(0)
	v_cmp_eq_u16_sdwa s[20:21], v27, v29 src0_sel:BYTE_0 src1_sel:DWORD
	s_and_saveexec_b64 s[18:19], s[20:21]
	s_cbranch_execz .LBB83_60
; %bb.57:
	s_mov_b64 s[20:21], 0
	v_mov_b32_e32 v23, 0
.LBB83_58:                              ; =>This Inner Loop Header: Depth=1
	global_load_dwordx2 v[26:27], v[30:31], off sc1
	s_waitcnt vmcnt(0)
	v_cmp_ne_u16_sdwa s[24:25], v27, v23 src0_sel:BYTE_0 src1_sel:DWORD
	s_or_b64 s[20:21], s[24:25], s[20:21]
	s_andn2_b64 exec, exec, s[20:21]
	s_cbranch_execnz .LBB83_58
; %bb.59:
	s_or_b64 exec, exec, s[20:21]
.LBB83_60:
	s_or_b64 exec, exec, s[18:19]
	v_and_b32_e32 v47, 63, v25
	v_mov_b32_e32 v23, 2
	v_cmp_ne_u32_e32 vcc, 63, v47
	v_cmp_eq_u16_sdwa s[18:19], v27, v23 src0_sel:BYTE_0 src1_sel:DWORD
	v_lshlrev_b64 v[28:29], v25, -1
	v_addc_co_u32_e32 v39, vcc, 0, v25, vcc
	v_and_b32_e32 v30, s19, v29
	v_lshlrev_b32_e32 v39, 2, v39
	v_or_b32_e32 v30, 0x80000000, v30
	ds_bpermute_b32 v41, v39, v26
	v_and_b32_e32 v31, s18, v28
	v_ffbl_b32_e32 v30, v30
	v_add_u32_e32 v30, 32, v30
	v_ffbl_b32_e32 v31, v31
	v_min_u32_e32 v30, v31, v30
	v_add_u32_e32 v40, 1, v25
	v_cmp_le_u32_e32 vcc, v40, v30
	v_add_u32_e32 v42, 2, v25
	v_add_u32_e32 v44, 4, v25
	s_waitcnt lgkmcnt(0)
	v_cndmask_b32_e32 v31, 0, v41, vcc
	v_cmp_gt_u32_e32 vcc, 62, v47
	v_add_u32_e32 v26, v31, v26
	v_add_u32_e32 v46, 8, v25
	v_cndmask_b32_e64 v31, 0, 1, vcc
	v_lshlrev_b32_e32 v31, 1, v31
	v_add_lshl_u32 v41, v31, v25, 2
	ds_bpermute_b32 v31, v41, v26
	v_cmp_le_u32_e32 vcc, v42, v30
	v_add_u32_e32 v49, 16, v25
	v_add_u32_e32 v51, 32, v25
	s_waitcnt lgkmcnt(0)
	v_cndmask_b32_e32 v31, 0, v31, vcc
	v_cmp_gt_u32_e32 vcc, 60, v47
	v_add_u32_e32 v26, v26, v31
	s_nop 0
	v_cndmask_b32_e64 v31, 0, 1, vcc
	v_lshlrev_b32_e32 v31, 2, v31
	v_add_lshl_u32 v43, v31, v25, 2
	ds_bpermute_b32 v31, v43, v26
	v_cmp_le_u32_e32 vcc, v44, v30
	s_waitcnt lgkmcnt(0)
	s_nop 0
	v_cndmask_b32_e32 v31, 0, v31, vcc
	v_cmp_gt_u32_e32 vcc, 56, v47
	v_add_u32_e32 v26, v26, v31
	s_nop 0
	v_cndmask_b32_e64 v31, 0, 1, vcc
	v_lshlrev_b32_e32 v31, 3, v31
	v_add_lshl_u32 v45, v31, v25, 2
	ds_bpermute_b32 v31, v45, v26
	v_cmp_le_u32_e32 vcc, v46, v30
	s_waitcnt lgkmcnt(0)
	s_nop 0
	;; [unrolled: 11-line block ×4, first 2 shown]
	v_cndmask_b32_e32 v25, 0, v31, vcc
	v_add_u32_e32 v26, v26, v25
	v_mov_b32_e32 v25, 0
	s_branch .LBB83_62
.LBB83_61:                              ;   in Loop: Header=BB83_62 Depth=1
	s_or_b64 exec, exec, s[18:19]
	v_cmp_eq_u16_sdwa s[18:19], v27, v23 src0_sel:BYTE_0 src1_sel:DWORD
	ds_bpermute_b32 v52, v39, v26
	v_subrev_u32_e32 v24, 64, v24
	v_and_b32_e32 v30, s19, v29
	v_or_b32_e32 v30, 0x80000000, v30
	v_and_b32_e32 v31, s18, v28
	v_ffbl_b32_e32 v30, v30
	v_add_u32_e32 v30, 32, v30
	v_ffbl_b32_e32 v31, v31
	v_min_u32_e32 v30, v31, v30
	v_cmp_le_u32_e32 vcc, v40, v30
	s_waitcnt lgkmcnt(0)
	s_nop 0
	v_cndmask_b32_e32 v31, 0, v52, vcc
	v_add_u32_e32 v26, v31, v26
	ds_bpermute_b32 v31, v41, v26
	v_cmp_le_u32_e32 vcc, v42, v30
	s_waitcnt lgkmcnt(0)
	s_nop 0
	v_cndmask_b32_e32 v31, 0, v31, vcc
	v_add_u32_e32 v26, v26, v31
	ds_bpermute_b32 v31, v43, v26
	v_cmp_le_u32_e32 vcc, v44, v30
	s_waitcnt lgkmcnt(0)
	s_nop 0
	v_cndmask_b32_e32 v31, 0, v31, vcc
	v_add_u32_e32 v26, v26, v31
	ds_bpermute_b32 v31, v45, v26
	v_cmp_le_u32_e32 vcc, v46, v30
	s_waitcnt lgkmcnt(0)
	s_nop 0
	v_cndmask_b32_e32 v31, 0, v31, vcc
	v_add_u32_e32 v26, v26, v31
	ds_bpermute_b32 v31, v48, v26
	v_cmp_le_u32_e32 vcc, v49, v30
	s_waitcnt lgkmcnt(0)
	s_nop 0
	v_cndmask_b32_e32 v31, 0, v31, vcc
	v_add_u32_e32 v26, v26, v31
	ds_bpermute_b32 v31, v50, v26
	v_cmp_le_u32_e32 vcc, v51, v30
	s_waitcnt lgkmcnt(0)
	s_nop 0
	v_cndmask_b32_e32 v30, 0, v31, vcc
	v_add3_u32 v26, v30, v47, v26
.LBB83_62:                              ; =>This Loop Header: Depth=1
                                        ;     Child Loop BB83_65 Depth 2
	v_cmp_ne_u16_sdwa s[18:19], v27, v23 src0_sel:BYTE_0 src1_sel:DWORD
	v_mov_b32_e32 v47, v26
	s_nop 0
	v_cndmask_b32_e64 v27, 0, 1, s[18:19]
	;;#ASMSTART
	;;#ASMEND
	s_nop 0
	v_cmp_ne_u32_e32 vcc, 0, v27
	s_cmp_lg_u64 vcc, exec
	s_cbranch_scc1 .LBB83_67
; %bb.63:                               ;   in Loop: Header=BB83_62 Depth=1
	v_lshl_add_u64 v[30:31], v[24:25], 3, s[16:17]
	global_load_dwordx2 v[26:27], v[30:31], off sc1
	s_waitcnt vmcnt(0)
	v_cmp_eq_u16_sdwa s[20:21], v27, v25 src0_sel:BYTE_0 src1_sel:DWORD
	s_and_saveexec_b64 s[18:19], s[20:21]
	s_cbranch_execz .LBB83_61
; %bb.64:                               ;   in Loop: Header=BB83_62 Depth=1
	s_mov_b64 s[20:21], 0
.LBB83_65:                              ;   Parent Loop BB83_62 Depth=1
                                        ; =>  This Inner Loop Header: Depth=2
	global_load_dwordx2 v[26:27], v[30:31], off sc1
	s_waitcnt vmcnt(0)
	v_cmp_ne_u16_sdwa s[24:25], v27, v25 src0_sel:BYTE_0 src1_sel:DWORD
	s_or_b64 s[20:21], s[24:25], s[20:21]
	s_andn2_b64 exec, exec, s[20:21]
	s_cbranch_execnz .LBB83_65
; %bb.66:                               ;   in Loop: Header=BB83_62 Depth=1
	s_or_b64 exec, exec, s[20:21]
	s_branch .LBB83_61
.LBB83_67:                              ;   in Loop: Header=BB83_62 Depth=1
                                        ; implicit-def: $vgpr26
                                        ; implicit-def: $vgpr27
	s_cbranch_execz .LBB83_62
; %bb.68:
	s_and_saveexec_b64 s[18:19], s[4:5]
	s_cbranch_execz .LBB83_70
; %bb.69:
	s_add_i32 s2, s2, 64
	s_mov_b32 s3, 0
	s_lshl_b64 s[2:3], s[2:3], 3
	s_add_u32 s2, s16, s2
	s_addc_u32 s3, s17, s3
	v_mov_b32_e32 v24, 0
	v_add_u32_e32 v22, v47, v22
	v_mov_b32_e32 v23, 2
	global_store_dwordx2 v24, v[22:23], s[2:3] sc1
.LBB83_70:
	s_or_b64 exec, exec, s[18:19]
	v_cmp_eq_u32_e32 vcc, 0, v0
	s_and_b64 exec, exec, vcc
	s_cbranch_execz .LBB83_72
; %bb.71:
	v_mov_b32_e32 v22, 0
	ds_write_b32 v22, v47 offset:12
.LBB83_72:
	s_or_b64 exec, exec, s[6:7]
	v_mov_b32_e32 v22, 0
	s_waitcnt lgkmcnt(0)
	s_barrier
	ds_read_b32 v22, v22 offset:12
	v_cndmask_b32_e64 v23, v38, v37, s[4:5]
	v_cmp_ne_u32_e32 vcc, 0, v0
	s_nop 1
	v_cndmask_b32_e32 v23, 0, v23, vcc
	s_waitcnt lgkmcnt(0)
	v_add_u32_e32 v22, v22, v23
	s_load_dwordx4 s[4:7], s[0:1], 0x38
	s_branch .LBB83_85
.LBB83_73:
                                        ; implicit-def: $vgpr22
	s_load_dwordx4 s[4:7], s[0:1], 0x38
	s_cbranch_execz .LBB83_85
; %bb.74:
	s_load_dword s2, s[0:1], 0x48
	s_load_dword s3, s[0:1], 0x20
	s_waitcnt lgkmcnt(0)
	s_bitcmp0_b32 s2, 0
	v_mov_b32_e32 v23, s3
	s_cbranch_scc1 .LBB83_76
; %bb.75:
	v_mov_b32_e32 v22, 0
	global_load_dword v22, v22, s[14:15] offset:-4
	s_load_dword s2, s[4:5], 0x0
	s_waitcnt vmcnt(0) lgkmcnt(0)
	v_add_u32_e32 v23, s2, v22
.LBB83_76:
	v_add3_u32 v22, v36, v17, v14
	v_add3_u32 v22, v22, v15, v12
	;; [unrolled: 1-line block ×8, first 2 shown]
	v_mbcnt_hi_u32_b32 v22, -1, v35
	v_and_b32_e32 v25, 15, v22
	v_mov_b32_dpp v26, v24 row_shr:1 row_mask:0xf bank_mask:0xf
	v_cmp_ne_u32_e32 vcc, 0, v25
	s_nop 1
	v_cndmask_b32_e32 v26, 0, v26, vcc
	v_add_u32_e32 v24, v26, v24
	v_cmp_lt_u32_e32 vcc, 1, v25
	s_nop 0
	v_mov_b32_dpp v26, v24 row_shr:2 row_mask:0xf bank_mask:0xf
	v_cndmask_b32_e32 v26, 0, v26, vcc
	v_add_u32_e32 v24, v24, v26
	v_cmp_lt_u32_e32 vcc, 3, v25
	s_nop 0
	v_mov_b32_dpp v26, v24 row_shr:4 row_mask:0xf bank_mask:0xf
	;; [unrolled: 5-line block ×3, first 2 shown]
	v_cndmask_b32_e32 v25, 0, v26, vcc
	v_add_u32_e32 v24, v24, v25
	v_bfe_i32 v26, v22, 4, 1
	v_cmp_lt_u32_e32 vcc, 31, v22
	v_mov_b32_dpp v25, v24 row_bcast:15 row_mask:0xf bank_mask:0xf
	v_and_b32_e32 v25, v26, v25
	v_add_u32_e32 v24, v24, v25
	s_nop 1
	v_mov_b32_dpp v25, v24 row_bcast:31 row_mask:0xf bank_mask:0xf
	v_cndmask_b32_e32 v25, 0, v25, vcc
	v_add_u32_e32 v24, v24, v25
	v_cmp_eq_u32_e32 vcc, v33, v0
	s_and_saveexec_b64 s[2:3], vcc
	s_cbranch_execz .LBB83_78
; %bb.77:
	v_lshlrev_b32_e32 v25, 2, v1
	ds_write_b32 v25, v24
.LBB83_78:
	s_or_b64 exec, exec, s[2:3]
	v_cmp_gt_u32_e32 vcc, 4, v0
	s_waitcnt lgkmcnt(0)
	s_barrier
	s_and_saveexec_b64 s[2:3], vcc
	s_cbranch_execz .LBB83_80
; %bb.79:
	v_lshlrev_b32_e32 v25, 2, v0
	ds_read_b32 v26, v25
	v_and_b32_e32 v27, 3, v22
	v_cmp_ne_u32_e32 vcc, 0, v27
	s_waitcnt lgkmcnt(0)
	v_mov_b32_dpp v28, v26 row_shr:1 row_mask:0xf bank_mask:0xf
	v_cndmask_b32_e32 v28, 0, v28, vcc
	v_add_u32_e32 v26, v28, v26
	v_cmp_lt_u32_e32 vcc, 1, v27
	s_nop 0
	v_mov_b32_dpp v28, v26 row_shr:2 row_mask:0xf bank_mask:0xf
	v_cndmask_b32_e32 v27, 0, v28, vcc
	v_add_u32_e32 v26, v26, v27
	ds_write_b32 v25, v26
.LBB83_80:
	s_or_b64 exec, exec, s[2:3]
	v_cmp_lt_u32_e32 vcc, 63, v0
	v_mov_b32_e32 v25, v23
	s_waitcnt lgkmcnt(0)
	s_barrier
	s_and_saveexec_b64 s[2:3], vcc
	s_cbranch_execz .LBB83_82
; %bb.81:
	v_lshl_add_u32 v1, v1, 2, -4
	ds_read_b32 v1, v1
	s_waitcnt lgkmcnt(0)
	v_add_u32_e32 v25, v1, v23
.LBB83_82:
	s_or_b64 exec, exec, s[2:3]
	v_add_u32_e32 v1, v25, v24
	v_add_u32_e32 v24, -1, v22
	v_and_b32_e32 v26, 64, v22
	v_cmp_lt_i32_e32 vcc, v24, v26
	s_nop 1
	v_cndmask_b32_e32 v24, v24, v22, vcc
	v_lshlrev_b32_e32 v24, 2, v24
	ds_bpermute_b32 v1, v24, v1
	v_cmp_eq_u32_e32 vcc, 0, v22
	s_waitcnt lgkmcnt(0)
	s_nop 0
	v_cndmask_b32_e32 v22, v1, v25, vcc
	v_cmp_eq_u32_e32 vcc, 0, v0
	s_and_saveexec_b64 s[2:3], vcc
	s_cbranch_execz .LBB83_84
; %bb.83:
	v_mov_b32_e32 v1, 0
	ds_read_b32 v22, v1 offset:12
	v_mov_b32_e32 v25, 2
	s_waitcnt lgkmcnt(0)
	v_add_u32_e32 v24, v22, v23
	v_mov_b32_e32 v22, v23
	global_store_dwordx2 v1, v[24:25], s[16:17] offset:512 sc1
.LBB83_84:
	s_or_b64 exec, exec, s[2:3]
.LBB83_85:
	v_add_u32_e32 v1, v22, v20
	v_add_u32_e32 v23, v1, v21
	;; [unrolled: 1-line block ×18, first 2 shown]
	s_lshl_b64 s[2:3], s[12:13], 3
	v_add_u32_e32 v2, v5, v2
	s_add_u32 s2, s8, s2
	v_add_u32_e32 v3, v2, v3
	s_addc_u32 s3, s9, s3
	s_waitcnt lgkmcnt(0)
	s_mov_b64 s[4:5], -1
	s_and_b64 vcc, exec, s[10:11]
	v_lshlrev_b32_e32 v20, 3, v0
	s_barrier
	s_cbranch_vccz .LBB83_87
; %bb.86:
	v_mul_u32_u24_e32 v21, 0x54, v0
	s_movk_i32 s4, 0x54
	ds_write2_b32 v21, v22, v1 offset1:1
	ds_write2_b32 v21, v23, v18 offset0:2 offset1:3
	ds_write2_b32 v21, v19, v16 offset0:4 offset1:5
	;; [unrolled: 1-line block ×9, first 2 shown]
	ds_write_b32 v21, v3 offset:80
	v_mul_i32_i24_e32 v21, 0xffffffb0, v0
	v_mad_u32_u24 v21, v0, s4, v21
	s_waitcnt lgkmcnt(0)
	s_barrier
	ds_read2st64_b32 v[24:25], v21 offset1:4
	ds_read2st64_b32 v[26:27], v21 offset0:8 offset1:12
	ds_read2st64_b32 v[28:29], v21 offset0:16 offset1:20
	;; [unrolled: 1-line block ×9, first 2 shown]
	ds_read_b32 v33, v21 offset:20480
	v_mov_b32_e32 v21, 0
	v_lshl_add_u64 v[46:47], s[2:3], 0, v[20:21]
	s_waitcnt lgkmcnt(10)
	v_cvt_f64_i32_e32 v[48:49], v24
	s_movk_i32 s4, 0x1000
	global_store_dwordx2 v20, v[48:49], s[2:3]
	v_add_co_u32_e32 v48, vcc, s4, v46
	s_movk_i32 s4, 0x2000
	s_nop 0
	v_addc_co_u32_e32 v49, vcc, 0, v47, vcc
	v_cvt_f64_i32_e32 v[24:25], v25
	v_add_co_u32_e32 v50, vcc, s4, v46
	global_store_dwordx2 v20, v[24:25], s[2:3] offset:2048
	s_waitcnt lgkmcnt(9)
	v_cvt_f64_i32_e32 v[24:25], v26
	v_addc_co_u32_e32 v51, vcc, 0, v47, vcc
	s_movk_i32 s4, 0x3000
	global_store_dwordx2 v[50:51], v[24:25], off offset:-4096
	v_cvt_f64_i32_e32 v[24:25], v27
	v_add_co_u32_e32 v26, vcc, s4, v46
	global_store_dwordx2 v[48:49], v[24:25], off offset:2048
	s_waitcnt lgkmcnt(8)
	v_cvt_f64_i32_e32 v[24:25], v28
	v_addc_co_u32_e32 v27, vcc, 0, v47, vcc
	s_movk_i32 s4, 0x4000
	global_store_dwordx2 v[50:51], v[24:25], off
	v_cvt_f64_i32_e32 v[24:25], v29
	v_add_co_u32_e32 v28, vcc, s4, v46
	global_store_dwordx2 v[50:51], v[24:25], off offset:2048
	s_waitcnt lgkmcnt(7)
	v_cvt_f64_i32_e32 v[24:25], v30
	v_addc_co_u32_e32 v29, vcc, 0, v47, vcc
	global_store_dwordx2 v[28:29], v[24:25], off offset:-4096
	v_cvt_f64_i32_e32 v[24:25], v31
	s_movk_i32 s4, 0x5000
	global_store_dwordx2 v[26:27], v[24:25], off offset:2048
	s_waitcnt lgkmcnt(6)
	v_cvt_f64_i32_e32 v[24:25], v34
	v_add_co_u32_e32 v26, vcc, s4, v46
	global_store_dwordx2 v[28:29], v[24:25], off
	v_cvt_f64_i32_e32 v[24:25], v35
	v_addc_co_u32_e32 v27, vcc, 0, v47, vcc
	s_movk_i32 s4, 0x6000
	global_store_dwordx2 v[28:29], v[24:25], off offset:2048
	v_add_co_u32_e32 v28, vcc, s4, v46
	s_waitcnt lgkmcnt(5)
	v_cvt_f64_i32_e32 v[24:25], v36
	v_addc_co_u32_e32 v29, vcc, 0, v47, vcc
	global_store_dwordx2 v[28:29], v[24:25], off offset:-4096
	v_cvt_f64_i32_e32 v[24:25], v37
	s_movk_i32 s4, 0x7000
	global_store_dwordx2 v[26:27], v[24:25], off offset:2048
	s_waitcnt lgkmcnt(4)
	v_cvt_f64_i32_e32 v[24:25], v38
	v_add_co_u32_e32 v26, vcc, s4, v46
	global_store_dwordx2 v[28:29], v[24:25], off
	v_cvt_f64_i32_e32 v[24:25], v39
	v_addc_co_u32_e32 v27, vcc, 0, v47, vcc
	s_mov_b32 s4, 0x8000
	global_store_dwordx2 v[28:29], v[24:25], off offset:2048
	v_add_co_u32_e32 v28, vcc, s4, v46
	s_waitcnt lgkmcnt(3)
	v_cvt_f64_i32_e32 v[24:25], v40
	v_addc_co_u32_e32 v29, vcc, 0, v47, vcc
	global_store_dwordx2 v[28:29], v[24:25], off offset:-4096
	v_cvt_f64_i32_e32 v[24:25], v41
	global_store_dwordx2 v[26:27], v[24:25], off offset:2048
	s_waitcnt lgkmcnt(2)
	v_cvt_f64_i32_e32 v[24:25], v42
	global_store_dwordx2 v[28:29], v[24:25], off
	v_cvt_f64_i32_e32 v[24:25], v43
	v_add_co_u32_e32 v26, vcc, 0x9000, v46
	global_store_dwordx2 v[28:29], v[24:25], off offset:2048
	s_waitcnt lgkmcnt(1)
	v_cvt_f64_i32_e32 v[24:25], v44
	v_addc_co_u32_e32 v27, vcc, 0, v47, vcc
	global_store_dwordx2 v[26:27], v[24:25], off
	v_cvt_f64_i32_e32 v[24:25], v45
	global_store_dwordx2 v[26:27], v[24:25], off offset:2048
	v_add_co_u32_e32 v26, vcc, 0xa000, v46
	s_waitcnt lgkmcnt(0)
	v_cvt_f64_i32_e32 v[24:25], v33
	v_addc_co_u32_e32 v27, vcc, 0, v47, vcc
	global_store_dwordx2 v[26:27], v[24:25], off
	s_mov_b64 s[4:5], 0
.LBB83_87:
	s_andn2_b64 vcc, exec, s[4:5]
	s_cbranch_vccnz .LBB83_208
; %bb.88:
	v_mul_u32_u24_e32 v21, 0x54, v0
	s_movk_i32 s4, 0x54
	ds_write2_b32 v21, v22, v1 offset1:1
	ds_write2_b32 v21, v23, v18 offset0:2 offset1:3
	ds_write2_b32 v21, v19, v16 offset0:4 offset1:5
	;; [unrolled: 1-line block ×9, first 2 shown]
	ds_write_b32 v21, v3 offset:80
	v_mul_i32_i24_e32 v1, 0xffffffb0, v0
	v_mad_u32_u24 v1, v0, s4, v1
	s_waitcnt lgkmcnt(0)
	s_barrier
	ds_read2st64_b32 v[4:5], v1 offset1:4
	ds_read2st64_b32 v[6:7], v1 offset0:8 offset1:12
	ds_read2st64_b32 v[8:9], v1 offset0:16 offset1:20
	;; [unrolled: 1-line block ×9, first 2 shown]
	ds_read_b32 v26, v1 offset:20480
	v_mov_b32_e32 v21, 0
	v_lshl_add_u64 v[24:25], s[2:3], 0, v[20:21]
	v_cmp_gt_u32_e32 vcc, s22, v0
	s_and_saveexec_b64 s[2:3], vcc
	s_cbranch_execz .LBB83_90
; %bb.89:
	s_waitcnt lgkmcnt(10)
	v_cvt_f64_i32_e32 v[28:29], v4
	global_store_dwordx2 v[24:25], v[28:29], off
.LBB83_90:
	s_or_b64 exec, exec, s[2:3]
	v_or_b32_e32 v1, 0x100, v0
	v_cmp_gt_u32_e32 vcc, s22, v1
	s_and_saveexec_b64 s[2:3], vcc
	s_cbranch_execz .LBB83_92
; %bb.91:
	s_waitcnt lgkmcnt(10)
	v_cvt_f64_i32_e32 v[28:29], v5
	global_store_dwordx2 v[24:25], v[28:29], off offset:2048
.LBB83_92:
	s_or_b64 exec, exec, s[2:3]
	v_or_b32_e32 v1, 0x200, v0
	v_cmp_gt_u32_e32 vcc, s22, v1
	s_and_saveexec_b64 s[2:3], vcc
	s_cbranch_execz .LBB83_94
; %bb.93:
	v_add_co_u32_e32 v30, vcc, 0x1000, v24
	s_waitcnt lgkmcnt(9)
	v_cvt_f64_i32_e32 v[28:29], v6
	v_addc_co_u32_e32 v31, vcc, 0, v25, vcc
	global_store_dwordx2 v[30:31], v[28:29], off
.LBB83_94:
	s_or_b64 exec, exec, s[2:3]
	v_or_b32_e32 v1, 0x300, v0
	v_cmp_gt_u32_e32 vcc, s22, v1
	s_and_saveexec_b64 s[2:3], vcc
	s_cbranch_execz .LBB83_96
; %bb.95:
	v_add_co_u32_e32 v30, vcc, 0x1000, v24
	s_waitcnt lgkmcnt(9)
	v_cvt_f64_i32_e32 v[28:29], v7
	v_addc_co_u32_e32 v31, vcc, 0, v25, vcc
	global_store_dwordx2 v[30:31], v[28:29], off offset:2048
.LBB83_96:
	s_or_b64 exec, exec, s[2:3]
	v_or_b32_e32 v1, 0x400, v0
	v_cmp_gt_u32_e32 vcc, s22, v1
	s_and_saveexec_b64 s[2:3], vcc
	s_cbranch_execz .LBB83_98
; %bb.97:
	v_add_co_u32_e32 v30, vcc, 0x2000, v24
	s_waitcnt lgkmcnt(8)
	v_cvt_f64_i32_e32 v[28:29], v8
	v_addc_co_u32_e32 v31, vcc, 0, v25, vcc
	global_store_dwordx2 v[30:31], v[28:29], off
.LBB83_98:
	s_or_b64 exec, exec, s[2:3]
	v_or_b32_e32 v1, 0x500, v0
	v_cmp_gt_u32_e32 vcc, s22, v1
	s_and_saveexec_b64 s[2:3], vcc
	s_cbranch_execz .LBB83_100
; %bb.99:
	v_add_co_u32_e32 v30, vcc, 0x2000, v24
	s_waitcnt lgkmcnt(8)
	v_cvt_f64_i32_e32 v[28:29], v9
	v_addc_co_u32_e32 v31, vcc, 0, v25, vcc
	global_store_dwordx2 v[30:31], v[28:29], off offset:2048
.LBB83_100:
	;; [unrolled: 24-line block ×9, first 2 shown]
	s_or_b64 exec, exec, s[2:3]
	v_or_b32_e32 v1, 0x1400, v0
	v_cmp_gt_u32_e32 vcc, s22, v1
	s_and_saveexec_b64 s[2:3], vcc
	s_cbranch_execz .LBB83_130
; %bb.129:
	v_add_co_u32_e32 v24, vcc, 0xa000, v24
	s_waitcnt lgkmcnt(0)
	v_cvt_f64_i32_e32 v[28:29], v26
	v_addc_co_u32_e32 v25, vcc, 0, v25, vcc
	global_store_dwordx2 v[24:25], v[28:29], off
.LBB83_130:
	s_or_b64 exec, exec, s[2:3]
	s_load_dword s0, s[0:1], 0x48
	s_waitcnt lgkmcnt(0)
	s_bfe_u32 s0, s0, 0x10008
	s_cmp_eq_u32 s0, 0
	s_cbranch_scc1 .LBB83_208
; %bb.131:
	s_add_u32 s0, s22, -1
	s_addc_u32 s1, s23, -1
	s_add_u32 s2, 0, 0x30c26c00
	s_addc_u32 s3, 0, 44
	s_add_i32 s3, s3, 0xc30c2e0
	s_mul_hi_u32 s9, s2, 0xffffffeb
	s_sub_i32 s9, s9, s2
	s_mul_i32 s10, s3, 0xffffffeb
	s_mul_i32 s4, s2, 0xffffffeb
	s_add_i32 s9, s9, s10
	s_mul_hi_u32 s5, s3, s4
	s_mul_i32 s8, s3, s4
	s_mul_i32 s11, s2, s9
	s_mul_hi_u32 s4, s2, s4
	s_mul_hi_u32 s10, s2, s9
	s_add_u32 s4, s4, s11
	s_addc_u32 s10, 0, s10
	s_add_u32 s4, s4, s8
	s_mul_hi_u32 s11, s3, s9
	s_addc_u32 s4, s10, s5
	s_addc_u32 s5, s11, 0
	s_mul_i32 s8, s3, s9
	s_add_u32 s4, s4, s8
	v_mov_b32_e32 v20, s4
	s_addc_u32 s5, 0, s5
	v_add_co_u32_e32 v20, vcc, s2, v20
	s_cmp_lg_u64 vcc, 0
	s_addc_u32 s2, s3, s5
	v_readfirstlane_b32 s5, v20
	s_mul_i32 s4, s0, s2
	s_mul_hi_u32 s8, s0, s5
	s_mul_hi_u32 s3, s0, s2
	s_add_u32 s4, s8, s4
	s_addc_u32 s3, 0, s3
	s_mul_hi_u32 s9, s1, s5
	s_mul_i32 s5, s1, s5
	s_add_u32 s4, s4, s5
	s_mul_hi_u32 s8, s1, s2
	s_addc_u32 s3, s3, s9
	s_addc_u32 s4, s8, 0
	s_mul_i32 s2, s1, s2
	s_add_u32 s2, s3, s2
	s_addc_u32 s3, 0, s4
	s_add_u32 s4, s2, 1
	s_addc_u32 s5, s3, 0
	s_add_u32 s8, s2, 2
	s_mul_i32 s10, s3, 21
	s_mul_hi_u32 s11, s2, 21
	s_addc_u32 s9, s3, 0
	s_add_i32 s11, s11, s10
	s_mul_i32 s10, s2, 21
	v_mov_b32_e32 v20, s10
	v_sub_co_u32_e32 v20, vcc, s0, v20
	s_cmp_lg_u64 vcc, 0
	v_mov_b32_e32 v1, v21
	s_subb_u32 s10, s1, s11
	v_subrev_co_u32_e32 v21, vcc, 21, v20
	s_cmp_lg_u64 vcc, 0
	s_subb_u32 s11, s10, 0
	v_readfirstlane_b32 s12, v21
	s_cmp_gt_u32 s12, 20
	s_cselect_b32 s12, -1, 0
	s_cmp_eq_u32 s11, 0
	s_cselect_b32 s11, s12, -1
	s_cmp_lg_u32 s11, 0
	s_cselect_b32 s4, s8, s4
	v_readfirstlane_b32 s8, v20
	s_cselect_b32 s5, s9, s5
	s_cmp_gt_u32 s8, 20
	s_cselect_b32 s8, -1, 0
	s_cmp_eq_u32 s10, 0
	s_cselect_b32 s8, s8, -1
	s_cmp_lg_u32 s8, 0
	s_cselect_b32 s3, s5, s3
	s_cselect_b32 s2, s4, s2
	v_cmp_eq_u64_e32 vcc, s[2:3], v[0:1]
	s_and_saveexec_b64 s[2:3], vcc
	s_cbranch_execz .LBB83_208
; %bb.132:
	v_mul_hi_u32_u24_e32 v1, 21, v0
	v_mov_b32_e32 v20, s1
	v_sub_co_u32_e32 v0, vcc, s0, v32
	s_nop 1
	v_subb_co_u32_e32 v1, vcc, v20, v1, vcc
	v_cmp_lt_i64_e32 vcc, 10, v[0:1]
	s_and_saveexec_b64 s[0:1], vcc
	s_xor_b64 s[0:1], exec, s[0:1]
	s_cbranch_execz .LBB83_170
; %bb.133:
	v_cmp_lt_i64_e32 vcc, 15, v[0:1]
	s_and_saveexec_b64 s[2:3], vcc
	s_xor_b64 s[2:3], exec, s[2:3]
	s_cbranch_execz .LBB83_151
; %bb.134:
	;; [unrolled: 5-line block ×5, first 2 shown]
	v_mov_b32_e32 v0, 0
	global_store_dword v0, v26, s[6:7]
                                        ; implicit-def: $vgpr18_vgpr19
.LBB83_138:
	s_andn2_saveexec_b64 s[10:11], s[10:11]
	s_cbranch_execz .LBB83_140
; %bb.139:
	v_mov_b32_e32 v0, 0
	global_store_dword v0, v19, s[6:7]
.LBB83_140:
	s_or_b64 exec, exec, s[10:11]
                                        ; implicit-def: $vgpr18_vgpr19
.LBB83_141:
	s_andn2_saveexec_b64 s[8:9], s[8:9]
	s_cbranch_execz .LBB83_143
; %bb.142:
	v_mov_b32_e32 v0, 0
	global_store_dword v0, v18, s[6:7]
.LBB83_143:
	s_or_b64 exec, exec, s[8:9]
                                        ; implicit-def: $vgpr22_vgpr23
                                        ; implicit-def: $vgpr0_vgpr1
.LBB83_144:
	s_andn2_saveexec_b64 s[4:5], s[4:5]
	s_cbranch_execz .LBB83_150
; %bb.145:
	v_cmp_lt_i64_e32 vcc, 16, v[0:1]
	s_and_saveexec_b64 s[8:9], vcc
	s_xor_b64 s[8:9], exec, s[8:9]
	s_cbranch_execz .LBB83_147
; %bb.146:
	v_mov_b32_e32 v0, 0
	global_store_dword v0, v23, s[6:7]
                                        ; implicit-def: $vgpr22_vgpr23
.LBB83_147:
	s_andn2_saveexec_b64 s[8:9], s[8:9]
	s_cbranch_execz .LBB83_149
; %bb.148:
	v_mov_b32_e32 v0, 0
	global_store_dword v0, v22, s[6:7]
.LBB83_149:
	s_or_b64 exec, exec, s[8:9]
.LBB83_150:
	s_or_b64 exec, exec, s[4:5]
                                        ; implicit-def: $vgpr0_vgpr1
                                        ; implicit-def: $vgpr2_vgpr3
                                        ; implicit-def: $vgpr12_vgpr13
                                        ; implicit-def: $vgpr16_vgpr17
.LBB83_151:
	s_andn2_saveexec_b64 s[2:3], s[2:3]
	s_cbranch_execz .LBB83_169
; %bb.152:
	v_cmp_lt_i64_e32 vcc, 12, v[0:1]
	s_and_saveexec_b64 s[4:5], vcc
	s_xor_b64 s[4:5], exec, s[4:5]
	s_cbranch_execz .LBB83_162
; %bb.153:
	v_cmp_lt_i64_e32 vcc, 13, v[0:1]
	s_and_saveexec_b64 s[8:9], vcc
	s_xor_b64 s[8:9], exec, s[8:9]
	;; [unrolled: 5-line block ×3, first 2 shown]
	s_cbranch_execz .LBB83_156
; %bb.155:
	v_mov_b32_e32 v0, 0
	global_store_dword v0, v17, s[6:7]
                                        ; implicit-def: $vgpr16_vgpr17
.LBB83_156:
	s_andn2_saveexec_b64 s[10:11], s[10:11]
	s_cbranch_execz .LBB83_158
; %bb.157:
	v_mov_b32_e32 v0, 0
	global_store_dword v0, v16, s[6:7]
.LBB83_158:
	s_or_b64 exec, exec, s[10:11]
                                        ; implicit-def: $vgpr12_vgpr13
.LBB83_159:
	s_andn2_saveexec_b64 s[8:9], s[8:9]
	s_cbranch_execz .LBB83_161
; %bb.160:
	v_mov_b32_e32 v0, 0
	global_store_dword v0, v13, s[6:7]
.LBB83_161:
	s_or_b64 exec, exec, s[8:9]
                                        ; implicit-def: $vgpr2_vgpr3
                                        ; implicit-def: $vgpr0_vgpr1
                                        ; implicit-def: $vgpr12_vgpr13
.LBB83_162:
	s_andn2_saveexec_b64 s[4:5], s[4:5]
	s_cbranch_execz .LBB83_168
; %bb.163:
	v_cmp_lt_i64_e32 vcc, 11, v[0:1]
	s_and_saveexec_b64 s[8:9], vcc
	s_xor_b64 s[8:9], exec, s[8:9]
	s_cbranch_execz .LBB83_165
; %bb.164:
	v_mov_b32_e32 v0, 0
	global_store_dword v0, v12, s[6:7]
                                        ; implicit-def: $vgpr2_vgpr3
.LBB83_165:
	s_andn2_saveexec_b64 s[8:9], s[8:9]
	s_cbranch_execz .LBB83_167
; %bb.166:
	v_mov_b32_e32 v0, 0
	global_store_dword v0, v3, s[6:7]
.LBB83_167:
	s_or_b64 exec, exec, s[8:9]
.LBB83_168:
	s_or_b64 exec, exec, s[4:5]
.LBB83_169:
	s_or_b64 exec, exec, s[2:3]
                                        ; implicit-def: $vgpr0_vgpr1
                                        ; implicit-def: $vgpr14_vgpr15
                                        ; implicit-def: $vgpr6_vgpr7
                                        ; implicit-def: $vgpr4_vgpr5
                                        ; implicit-def: $vgpr10_vgpr11
                                        ; implicit-def: $vgpr8_vgpr9
                                        ; implicit-def: $vgpr2_vgpr3
.LBB83_170:
	s_andn2_saveexec_b64 s[0:1], s[0:1]
	s_cbranch_execz .LBB83_208
; %bb.171:
	v_cmp_lt_i64_e32 vcc, 5, v[0:1]
	s_and_saveexec_b64 s[0:1], vcc
	s_xor_b64 s[0:1], exec, s[0:1]
	s_cbranch_execz .LBB83_189
; %bb.172:
	v_cmp_lt_i64_e32 vcc, 7, v[0:1]
	s_and_saveexec_b64 s[2:3], vcc
	s_xor_b64 s[2:3], exec, s[2:3]
	;; [unrolled: 5-line block ×4, first 2 shown]
	s_cbranch_execz .LBB83_176
; %bb.175:
	v_mov_b32_e32 v0, 0
	global_store_dword v0, v2, s[6:7]
                                        ; implicit-def: $vgpr10_vgpr11
.LBB83_176:
	s_andn2_saveexec_b64 s[8:9], s[8:9]
	s_cbranch_execz .LBB83_178
; %bb.177:
	v_mov_b32_e32 v0, 0
	global_store_dword v0, v11, s[6:7]
.LBB83_178:
	s_or_b64 exec, exec, s[8:9]
                                        ; implicit-def: $vgpr10_vgpr11
.LBB83_179:
	s_andn2_saveexec_b64 s[4:5], s[4:5]
	s_cbranch_execz .LBB83_181
; %bb.180:
	v_mov_b32_e32 v0, 0
	global_store_dword v0, v10, s[6:7]
.LBB83_181:
	s_or_b64 exec, exec, s[4:5]
                                        ; implicit-def: $vgpr14_vgpr15
                                        ; implicit-def: $vgpr0_vgpr1
.LBB83_182:
	s_andn2_saveexec_b64 s[2:3], s[2:3]
	s_cbranch_execz .LBB83_188
; %bb.183:
	v_cmp_lt_i64_e32 vcc, 6, v[0:1]
	s_and_saveexec_b64 s[4:5], vcc
	s_xor_b64 s[4:5], exec, s[4:5]
	s_cbranch_execz .LBB83_185
; %bb.184:
	v_mov_b32_e32 v0, 0
	global_store_dword v0, v15, s[6:7]
                                        ; implicit-def: $vgpr14_vgpr15
.LBB83_185:
	s_andn2_saveexec_b64 s[4:5], s[4:5]
	s_cbranch_execz .LBB83_187
; %bb.186:
	v_mov_b32_e32 v0, 0
	global_store_dword v0, v14, s[6:7]
.LBB83_187:
	s_or_b64 exec, exec, s[4:5]
.LBB83_188:
	s_or_b64 exec, exec, s[2:3]
                                        ; implicit-def: $vgpr0_vgpr1
                                        ; implicit-def: $vgpr6_vgpr7
                                        ; implicit-def: $vgpr4_vgpr5
                                        ; implicit-def: $vgpr8_vgpr9
.LBB83_189:
	s_andn2_saveexec_b64 s[0:1], s[0:1]
	s_cbranch_execz .LBB83_208
; %bb.190:
	v_cmp_lt_i64_e32 vcc, 2, v[0:1]
	s_and_saveexec_b64 s[0:1], vcc
	s_xor_b64 s[0:1], exec, s[0:1]
	s_cbranch_execz .LBB83_200
; %bb.191:
	v_cmp_lt_i64_e32 vcc, 3, v[0:1]
	s_and_saveexec_b64 s[2:3], vcc
	s_xor_b64 s[2:3], exec, s[2:3]
	;; [unrolled: 5-line block ×3, first 2 shown]
	s_cbranch_execz .LBB83_194
; %bb.193:
	v_mov_b32_e32 v0, 0
	global_store_dword v0, v9, s[6:7]
                                        ; implicit-def: $vgpr8_vgpr9
.LBB83_194:
	s_andn2_saveexec_b64 s[4:5], s[4:5]
	s_cbranch_execz .LBB83_196
; %bb.195:
	v_mov_b32_e32 v0, 0
	global_store_dword v0, v8, s[6:7]
.LBB83_196:
	s_or_b64 exec, exec, s[4:5]
                                        ; implicit-def: $vgpr6_vgpr7
.LBB83_197:
	s_andn2_saveexec_b64 s[2:3], s[2:3]
	s_cbranch_execz .LBB83_199
; %bb.198:
	v_mov_b32_e32 v0, 0
	global_store_dword v0, v7, s[6:7]
.LBB83_199:
	s_or_b64 exec, exec, s[2:3]
                                        ; implicit-def: $vgpr0_vgpr1
                                        ; implicit-def: $vgpr6_vgpr7
                                        ; implicit-def: $vgpr4_vgpr5
.LBB83_200:
	s_andn2_saveexec_b64 s[0:1], s[0:1]
	s_cbranch_execz .LBB83_208
; %bb.201:
	v_cmp_lt_i64_e32 vcc, 1, v[0:1]
	s_and_saveexec_b64 s[0:1], vcc
	s_xor_b64 s[0:1], exec, s[0:1]
	s_cbranch_execz .LBB83_203
; %bb.202:
	v_mov_b32_e32 v0, 0
	global_store_dword v0, v6, s[6:7]
                                        ; implicit-def: $vgpr4_vgpr5
                                        ; implicit-def: $vgpr0_vgpr1
.LBB83_203:
	s_andn2_saveexec_b64 s[0:1], s[0:1]
	s_cbranch_execz .LBB83_208
; %bb.204:
	v_cmp_ne_u64_e32 vcc, 1, v[0:1]
	s_and_saveexec_b64 s[0:1], vcc
	s_xor_b64 s[0:1], exec, s[0:1]
	s_cbranch_execz .LBB83_206
; %bb.205:
	v_mov_b32_e32 v0, 0
	global_store_dword v0, v4, s[6:7]
                                        ; implicit-def: $vgpr4_vgpr5
.LBB83_206:
	s_andn2_saveexec_b64 s[0:1], s[0:1]
	s_cbranch_execz .LBB83_208
; %bb.207:
	v_mov_b32_e32 v0, 0
	global_store_dword v0, v5, s[6:7]
.LBB83_208:
	s_endpgm
	.section	.rodata,"a",@progbits
	.p2align	6, 0x0
	.amdhsa_kernel _ZN7rocprim6detail20lookback_scan_kernelILNS0_25lookback_scan_determinismE0ELb1ENS0_19wrapped_scan_configINS_14default_configEiEEN6hipcub22TransformInputIteratorIiNS6_6CastOpIiEEPilEEPdNS6_3SumEiiNS0_19lookback_scan_stateIiLb0ELb1EEEEEvT2_T3_mT5_T4_T7_jPT6_SM_bb
		.amdhsa_group_segment_fixed_size 21504
		.amdhsa_private_segment_fixed_size 0
		.amdhsa_kernarg_size 76
		.amdhsa_user_sgpr_count 2
		.amdhsa_user_sgpr_dispatch_ptr 0
		.amdhsa_user_sgpr_queue_ptr 0
		.amdhsa_user_sgpr_kernarg_segment_ptr 1
		.amdhsa_user_sgpr_dispatch_id 0
		.amdhsa_user_sgpr_kernarg_preload_length 0
		.amdhsa_user_sgpr_kernarg_preload_offset 0
		.amdhsa_user_sgpr_private_segment_size 0
		.amdhsa_uses_dynamic_stack 0
		.amdhsa_enable_private_segment 0
		.amdhsa_system_sgpr_workgroup_id_x 1
		.amdhsa_system_sgpr_workgroup_id_y 0
		.amdhsa_system_sgpr_workgroup_id_z 0
		.amdhsa_system_sgpr_workgroup_info 0
		.amdhsa_system_vgpr_workitem_id 0
		.amdhsa_next_free_vgpr 53
		.amdhsa_next_free_sgpr 26
		.amdhsa_accum_offset 56
		.amdhsa_reserve_vcc 1
		.amdhsa_float_round_mode_32 0
		.amdhsa_float_round_mode_16_64 0
		.amdhsa_float_denorm_mode_32 3
		.amdhsa_float_denorm_mode_16_64 3
		.amdhsa_dx10_clamp 1
		.amdhsa_ieee_mode 1
		.amdhsa_fp16_overflow 0
		.amdhsa_tg_split 0
		.amdhsa_exception_fp_ieee_invalid_op 0
		.amdhsa_exception_fp_denorm_src 0
		.amdhsa_exception_fp_ieee_div_zero 0
		.amdhsa_exception_fp_ieee_overflow 0
		.amdhsa_exception_fp_ieee_underflow 0
		.amdhsa_exception_fp_ieee_inexact 0
		.amdhsa_exception_int_div_zero 0
	.end_amdhsa_kernel
	.section	.text._ZN7rocprim6detail20lookback_scan_kernelILNS0_25lookback_scan_determinismE0ELb1ENS0_19wrapped_scan_configINS_14default_configEiEEN6hipcub22TransformInputIteratorIiNS6_6CastOpIiEEPilEEPdNS6_3SumEiiNS0_19lookback_scan_stateIiLb0ELb1EEEEEvT2_T3_mT5_T4_T7_jPT6_SM_bb,"axG",@progbits,_ZN7rocprim6detail20lookback_scan_kernelILNS0_25lookback_scan_determinismE0ELb1ENS0_19wrapped_scan_configINS_14default_configEiEEN6hipcub22TransformInputIteratorIiNS6_6CastOpIiEEPilEEPdNS6_3SumEiiNS0_19lookback_scan_stateIiLb0ELb1EEEEEvT2_T3_mT5_T4_T7_jPT6_SM_bb,comdat
.Lfunc_end83:
	.size	_ZN7rocprim6detail20lookback_scan_kernelILNS0_25lookback_scan_determinismE0ELb1ENS0_19wrapped_scan_configINS_14default_configEiEEN6hipcub22TransformInputIteratorIiNS6_6CastOpIiEEPilEEPdNS6_3SumEiiNS0_19lookback_scan_stateIiLb0ELb1EEEEEvT2_T3_mT5_T4_T7_jPT6_SM_bb, .Lfunc_end83-_ZN7rocprim6detail20lookback_scan_kernelILNS0_25lookback_scan_determinismE0ELb1ENS0_19wrapped_scan_configINS_14default_configEiEEN6hipcub22TransformInputIteratorIiNS6_6CastOpIiEEPilEEPdNS6_3SumEiiNS0_19lookback_scan_stateIiLb0ELb1EEEEEvT2_T3_mT5_T4_T7_jPT6_SM_bb
                                        ; -- End function
	.section	.AMDGPU.csdata,"",@progbits
; Kernel info:
; codeLenInByte = 7124
; NumSgprs: 32
; NumVgprs: 53
; NumAgprs: 0
; TotalNumVgprs: 53
; ScratchSize: 0
; MemoryBound: 0
; FloatMode: 240
; IeeeMode: 1
; LDSByteSize: 21504 bytes/workgroup (compile time only)
; SGPRBlocks: 3
; VGPRBlocks: 6
; NumSGPRsForWavesPerEU: 32
; NumVGPRsForWavesPerEU: 53
; AccumOffset: 56
; Occupancy: 3
; WaveLimiterHint : 1
; COMPUTE_PGM_RSRC2:SCRATCH_EN: 0
; COMPUTE_PGM_RSRC2:USER_SGPR: 2
; COMPUTE_PGM_RSRC2:TRAP_HANDLER: 0
; COMPUTE_PGM_RSRC2:TGID_X_EN: 1
; COMPUTE_PGM_RSRC2:TGID_Y_EN: 0
; COMPUTE_PGM_RSRC2:TGID_Z_EN: 0
; COMPUTE_PGM_RSRC2:TIDIG_COMP_CNT: 0
; COMPUTE_PGM_RSRC3_GFX90A:ACCUM_OFFSET: 13
; COMPUTE_PGM_RSRC3_GFX90A:TG_SPLIT: 0
	.section	.text._ZN7rocprim6detail18single_scan_kernelILb1ENS0_19wrapped_scan_configINS_14default_configEiEEN6hipcub22TransformInputIteratorIiNS5_6CastOpIiEEPilEEPdNS5_3SumEiiEEvT1_mT4_T2_T3_,"axG",@progbits,_ZN7rocprim6detail18single_scan_kernelILb1ENS0_19wrapped_scan_configINS_14default_configEiEEN6hipcub22TransformInputIteratorIiNS5_6CastOpIiEEPilEEPdNS5_3SumEiiEEvT1_mT4_T2_T3_,comdat
	.protected	_ZN7rocprim6detail18single_scan_kernelILb1ENS0_19wrapped_scan_configINS_14default_configEiEEN6hipcub22TransformInputIteratorIiNS5_6CastOpIiEEPilEEPdNS5_3SumEiiEEvT1_mT4_T2_T3_ ; -- Begin function _ZN7rocprim6detail18single_scan_kernelILb1ENS0_19wrapped_scan_configINS_14default_configEiEEN6hipcub22TransformInputIteratorIiNS5_6CastOpIiEEPilEEPdNS5_3SumEiiEEvT1_mT4_T2_T3_
	.globl	_ZN7rocprim6detail18single_scan_kernelILb1ENS0_19wrapped_scan_configINS_14default_configEiEEN6hipcub22TransformInputIteratorIiNS5_6CastOpIiEEPilEEPdNS5_3SumEiiEEvT1_mT4_T2_T3_
	.p2align	8
	.type	_ZN7rocprim6detail18single_scan_kernelILb1ENS0_19wrapped_scan_configINS_14default_configEiEEN6hipcub22TransformInputIteratorIiNS5_6CastOpIiEEPilEEPdNS5_3SumEiiEEvT1_mT4_T2_T3_,@function
_ZN7rocprim6detail18single_scan_kernelILb1ENS0_19wrapped_scan_configINS_14default_configEiEEN6hipcub22TransformInputIteratorIiNS5_6CastOpIiEEPilEEPdNS5_3SumEiiEEvT1_mT4_T2_T3_: ; @_ZN7rocprim6detail18single_scan_kernelILb1ENS0_19wrapped_scan_configINS_14default_configEiEEN6hipcub22TransformInputIteratorIiNS5_6CastOpIiEEPilEEPdNS5_3SumEiiEEvT1_mT4_T2_T3_
; %bb.0:
	s_load_dwordx2 s[2:3], s[0:1], 0x0
	s_load_dword s33, s[0:1], 0x10
	v_mov_b32_e32 v3, 0
	v_lshlrev_b32_e32 v2, 2, v0
	s_waitcnt lgkmcnt(0)
	s_load_dword s46, s[2:3], 0x0
	v_lshl_add_u64 v[4:5], s[2:3], 0, v[2:3]
	v_cmp_gt_u32_e64 s[26:27], s33, v0
	s_waitcnt lgkmcnt(0)
	v_mov_b32_e32 v1, s46
	s_and_saveexec_b64 s[2:3], s[26:27]
	s_cbranch_execz .LBB84_2
; %bb.1:
	global_load_dword v1, v[4:5], off
.LBB84_2:
	s_or_b64 exec, exec, s[2:3]
	v_or_b32_e32 v3, 0x100, v0
	v_cmp_gt_u32_e64 s[2:3], s33, v3
	v_mov_b32_e32 v3, s46
	s_and_saveexec_b64 s[4:5], s[2:3]
	s_cbranch_execz .LBB84_4
; %bb.3:
	global_load_dword v3, v[4:5], off offset:1024
.LBB84_4:
	s_or_b64 exec, exec, s[4:5]
	v_or_b32_e32 v6, 0x200, v0
	v_cmp_gt_u32_e64 s[8:9], s33, v6
	v_mov_b32_e32 v6, s46
	s_and_saveexec_b64 s[4:5], s[8:9]
	s_cbranch_execz .LBB84_6
; %bb.5:
	global_load_dword v6, v[4:5], off offset:2048
.LBB84_6:
	;; [unrolled: 9-line block ×3, first 2 shown]
	s_or_b64 exec, exec, s[4:5]
	v_or_b32_e32 v8, 0x400, v0
	v_cmp_gt_u32_e64 s[4:5], s33, v8
	v_mov_b32_e32 v8, s46
	s_and_saveexec_b64 s[10:11], s[4:5]
	s_cbranch_execz .LBB84_10
; %bb.9:
	v_add_co_u32_e32 v8, vcc, 0x1000, v4
	s_nop 1
	v_addc_co_u32_e32 v9, vcc, 0, v5, vcc
	global_load_dword v8, v[8:9], off
.LBB84_10:
	s_or_b64 exec, exec, s[10:11]
	v_or_b32_e32 v9, 0x500, v0
	v_cmp_gt_u32_e64 s[10:11], s33, v9
	v_mov_b32_e32 v9, s46
	s_and_saveexec_b64 s[12:13], s[10:11]
	s_cbranch_execz .LBB84_12
; %bb.11:
	v_add_co_u32_e32 v10, vcc, 0x1000, v4
	s_nop 1
	v_addc_co_u32_e32 v11, vcc, 0, v5, vcc
	global_load_dword v9, v[10:11], off offset:1024
.LBB84_12:
	s_or_b64 exec, exec, s[12:13]
	v_or_b32_e32 v10, 0x600, v0
	v_cmp_gt_u32_e64 s[12:13], s33, v10
	v_mov_b32_e32 v10, s46
	s_and_saveexec_b64 s[14:15], s[12:13]
	s_cbranch_execz .LBB84_14
; %bb.13:
	v_add_co_u32_e32 v10, vcc, 0x1000, v4
	s_nop 1
	v_addc_co_u32_e32 v11, vcc, 0, v5, vcc
	global_load_dword v10, v[10:11], off offset:2048
.LBB84_14:
	s_or_b64 exec, exec, s[14:15]
	v_or_b32_e32 v11, 0x700, v0
	v_cmp_gt_u32_e64 s[14:15], s33, v11
	v_mov_b32_e32 v11, s46
	s_and_saveexec_b64 s[16:17], s[14:15]
	s_cbranch_execz .LBB84_16
; %bb.15:
	v_add_co_u32_e32 v12, vcc, 0x1000, v4
	s_nop 1
	v_addc_co_u32_e32 v13, vcc, 0, v5, vcc
	global_load_dword v11, v[12:13], off offset:3072
.LBB84_16:
	s_or_b64 exec, exec, s[16:17]
	v_or_b32_e32 v12, 0x800, v0
	v_cmp_gt_u32_e64 s[16:17], s33, v12
	v_mov_b32_e32 v12, s46
	s_and_saveexec_b64 s[18:19], s[16:17]
	s_cbranch_execz .LBB84_18
; %bb.17:
	v_add_co_u32_e32 v12, vcc, 0x2000, v4
	s_nop 1
	v_addc_co_u32_e32 v13, vcc, 0, v5, vcc
	global_load_dword v12, v[12:13], off
.LBB84_18:
	s_or_b64 exec, exec, s[18:19]
	v_or_b32_e32 v13, 0x900, v0
	v_cmp_gt_u32_e64 s[18:19], s33, v13
	v_mov_b32_e32 v13, s46
	s_and_saveexec_b64 s[20:21], s[18:19]
	s_cbranch_execz .LBB84_20
; %bb.19:
	v_add_co_u32_e32 v14, vcc, 0x2000, v4
	s_nop 1
	v_addc_co_u32_e32 v15, vcc, 0, v5, vcc
	global_load_dword v13, v[14:15], off offset:1024
.LBB84_20:
	s_or_b64 exec, exec, s[20:21]
	v_or_b32_e32 v14, 0xa00, v0
	v_cmp_gt_u32_e64 s[20:21], s33, v14
	v_mov_b32_e32 v14, s46
	s_and_saveexec_b64 s[22:23], s[20:21]
	s_cbranch_execz .LBB84_22
; %bb.21:
	v_add_co_u32_e32 v14, vcc, 0x2000, v4
	s_nop 1
	v_addc_co_u32_e32 v15, vcc, 0, v5, vcc
	global_load_dword v14, v[14:15], off offset:2048
.LBB84_22:
	s_or_b64 exec, exec, s[22:23]
	v_or_b32_e32 v15, 0xb00, v0
	v_cmp_gt_u32_e64 s[22:23], s33, v15
	v_mov_b32_e32 v15, s46
	s_and_saveexec_b64 s[24:25], s[22:23]
	s_cbranch_execz .LBB84_24
; %bb.23:
	v_add_co_u32_e32 v16, vcc, 0x2000, v4
	s_nop 1
	v_addc_co_u32_e32 v17, vcc, 0, v5, vcc
	global_load_dword v15, v[16:17], off offset:3072
.LBB84_24:
	;; [unrolled: 48-line block ×4, first 2 shown]
	s_or_b64 exec, exec, s[44:45]
	v_or_b32_e32 v24, 0x1400, v0
	v_cmp_gt_u32_e64 s[44:45], s33, v24
	v_mov_b32_e32 v24, s46
	s_and_saveexec_b64 s[46:47], s[44:45]
	s_cbranch_execz .LBB84_42
; %bb.41:
	v_add_co_u32_e32 v4, vcc, 0x5000, v4
	s_nop 1
	v_addc_co_u32_e32 v5, vcc, 0, v5, vcc
	global_load_dword v24, v[4:5], off
.LBB84_42:
	s_or_b64 exec, exec, s[46:47]
	s_movk_i32 s33, 0x50
	s_waitcnt vmcnt(0)
	ds_write2st64_b32 v2, v1, v3 offset1:4
	ds_write2st64_b32 v2, v6, v7 offset0:8 offset1:12
	ds_write2st64_b32 v2, v8, v9 offset0:16 offset1:20
	;; [unrolled: 1-line block ×9, first 2 shown]
	ds_write_b32 v2, v24 offset:20480
	v_mad_u32_u24 v1, v0, s33, v2
	s_waitcnt lgkmcnt(0)
	s_barrier
	ds_read2_b32 v[22:23], v1 offset1:1
	ds_read2_b32 v[20:21], v1 offset0:2 offset1:3
	ds_read2_b32 v[18:19], v1 offset0:4 offset1:5
	ds_read2_b32 v[16:17], v1 offset0:6 offset1:7
	ds_read2_b32 v[14:15], v1 offset0:8 offset1:9
	ds_read2_b32 v[12:13], v1 offset0:10 offset1:11
	ds_read2_b32 v[10:11], v1 offset0:12 offset1:13
	ds_read2_b32 v[8:9], v1 offset0:14 offset1:15
	ds_read2_b32 v[6:7], v1 offset0:16 offset1:17
	ds_read2_b32 v[4:5], v1 offset0:18 offset1:19
	ds_read_b32 v1, v1 offset:80
	s_waitcnt lgkmcnt(9)
	v_add3_u32 v3, v23, v22, v20
	s_waitcnt lgkmcnt(8)
	v_add3_u32 v3, v3, v21, v18
	;; [unrolled: 2-line block ×10, first 2 shown]
	v_mbcnt_lo_u32_b32 v1, -1, 0
	v_mbcnt_hi_u32_b32 v1, -1, v1
	v_and_b32_e32 v24, 15, v1
	v_mov_b32_dpp v25, v3 row_shr:1 row_mask:0xf bank_mask:0xf
	v_cmp_ne_u32_e32 vcc, 0, v24
	s_barrier
	s_nop 0
	v_cndmask_b32_e32 v25, 0, v25, vcc
	v_add_u32_e32 v3, v25, v3
	v_cmp_lt_u32_e32 vcc, 1, v24
	s_nop 0
	v_mov_b32_dpp v25, v3 row_shr:2 row_mask:0xf bank_mask:0xf
	v_cndmask_b32_e32 v25, 0, v25, vcc
	v_add_u32_e32 v3, v3, v25
	v_cmp_lt_u32_e32 vcc, 3, v24
	s_nop 0
	v_mov_b32_dpp v25, v3 row_shr:4 row_mask:0xf bank_mask:0xf
	v_cndmask_b32_e32 v25, 0, v25, vcc
	v_add_u32_e32 v3, v3, v25
	v_cmp_lt_u32_e32 vcc, 7, v24
	s_nop 0
	v_mov_b32_dpp v25, v3 row_shr:8 row_mask:0xf bank_mask:0xf
	v_cndmask_b32_e32 v24, 0, v25, vcc
	v_add_u32_e32 v3, v3, v24
	v_bfe_i32 v25, v1, 4, 1
	v_cmp_lt_u32_e32 vcc, 31, v1
	v_mov_b32_dpp v24, v3 row_bcast:15 row_mask:0xf bank_mask:0xf
	v_and_b32_e32 v24, v25, v24
	v_add_u32_e32 v3, v3, v24
	v_lshrrev_b32_e32 v25, 6, v0
	s_nop 0
	v_mov_b32_dpp v24, v3 row_bcast:31 row_mask:0xf bank_mask:0xf
	v_cndmask_b32_e32 v24, 0, v24, vcc
	v_add_u32_e32 v24, v3, v24
	v_or_b32_e32 v3, 63, v0
	v_cmp_eq_u32_e32 vcc, v3, v0
	s_and_saveexec_b64 s[46:47], vcc
	s_cbranch_execz .LBB84_44
; %bb.43:
	v_lshlrev_b32_e32 v3, 2, v25
	ds_write_b32 v3, v24
.LBB84_44:
	s_or_b64 exec, exec, s[46:47]
	v_cmp_gt_u32_e32 vcc, 4, v0
	s_waitcnt lgkmcnt(0)
	s_barrier
	s_and_saveexec_b64 s[46:47], vcc
	s_cbranch_execz .LBB84_46
; %bb.45:
	ds_read_b32 v3, v2
	v_and_b32_e32 v26, 3, v1
	v_cmp_ne_u32_e32 vcc, 0, v26
	s_waitcnt lgkmcnt(0)
	v_mov_b32_dpp v27, v3 row_shr:1 row_mask:0xf bank_mask:0xf
	v_cndmask_b32_e32 v27, 0, v27, vcc
	v_add_u32_e32 v3, v27, v3
	v_cmp_lt_u32_e32 vcc, 1, v26
	s_nop 0
	v_mov_b32_dpp v27, v3 row_shr:2 row_mask:0xf bank_mask:0xf
	v_cndmask_b32_e32 v26, 0, v27, vcc
	v_add_u32_e32 v3, v3, v26
	ds_write_b32 v2, v3
.LBB84_46:
	s_or_b64 exec, exec, s[46:47]
	s_load_dword s33, s[0:1], 0x18
	v_mul_u32_u24_e32 v3, 0x50, v0
	v_cmp_lt_u32_e32 vcc, 63, v0
	s_waitcnt lgkmcnt(0)
	s_barrier
	v_mov_b32_e32 v26, s33
	s_and_saveexec_b64 s[46:47], vcc
	s_cbranch_execz .LBB84_48
; %bb.47:
	v_lshl_add_u32 v25, v25, 2, -4
	ds_read_b32 v25, v25
	s_waitcnt lgkmcnt(0)
	v_add_u32_e32 v26, s33, v25
.LBB84_48:
	s_or_b64 exec, exec, s[46:47]
	v_add_u32_e32 v25, -1, v1
	v_and_b32_e32 v27, 64, v1
	v_cmp_lt_i32_e32 vcc, v25, v27
	v_add_u32_e32 v24, v26, v24
	v_add_u32_e32 v3, v2, v3
	v_cndmask_b32_e32 v25, v25, v1, vcc
	v_lshlrev_b32_e32 v25, 2, v25
	ds_bpermute_b32 v24, v25, v24
	v_cmp_eq_u32_e32 vcc, 0, v1
	s_waitcnt lgkmcnt(0)
	s_barrier
	v_cndmask_b32_e32 v1, v24, v26, vcc
	v_mov_b32_e32 v24, s33
	v_cmp_eq_u32_e32 vcc, 0, v0
	s_load_dwordx2 s[0:1], s[0:1], 0x20
	v_lshlrev_b32_e32 v0, 3, v0
	v_cndmask_b32_e32 v1, v1, v24, vcc
	v_add_u32_e32 v22, v1, v22
	v_add_u32_e32 v23, v22, v23
	;; [unrolled: 1-line block ×20, first 2 shown]
	ds_write2_b32 v3, v1, v22 offset1:1
	ds_write2_b32 v3, v23, v20 offset0:2 offset1:3
	ds_write2_b32 v3, v21, v18 offset0:4 offset1:5
	;; [unrolled: 1-line block ×9, first 2 shown]
	ds_write_b32 v3, v5 offset:80
	s_waitcnt lgkmcnt(0)
	s_barrier
	ds_read2st64_b32 v[22:23], v2 offset0:4 offset1:8
	ds_read2st64_b32 v[20:21], v2 offset0:12 offset1:16
	;; [unrolled: 1-line block ×10, first 2 shown]
	v_mov_b32_e32 v1, 0
	v_lshl_add_u64 v[0:1], s[0:1], 0, v[0:1]
	s_and_saveexec_b64 s[0:1], s[26:27]
	s_cbranch_execnz .LBB84_70
; %bb.49:
	s_or_b64 exec, exec, s[0:1]
	s_and_saveexec_b64 s[0:1], s[2:3]
	s_cbranch_execnz .LBB84_71
.LBB84_50:
	s_or_b64 exec, exec, s[0:1]
	s_and_saveexec_b64 s[0:1], s[8:9]
	s_cbranch_execnz .LBB84_72
.LBB84_51:
	s_or_b64 exec, exec, s[0:1]
	s_and_saveexec_b64 s[0:1], s[6:7]
	s_cbranch_execnz .LBB84_73
.LBB84_52:
	s_or_b64 exec, exec, s[0:1]
	s_and_saveexec_b64 s[0:1], s[4:5]
	s_cbranch_execnz .LBB84_74
.LBB84_53:
	s_or_b64 exec, exec, s[0:1]
	s_and_saveexec_b64 s[0:1], s[10:11]
	s_cbranch_execnz .LBB84_75
.LBB84_54:
	s_or_b64 exec, exec, s[0:1]
	s_and_saveexec_b64 s[0:1], s[12:13]
	s_cbranch_execnz .LBB84_76
.LBB84_55:
	s_or_b64 exec, exec, s[0:1]
	s_and_saveexec_b64 s[0:1], s[14:15]
	s_cbranch_execnz .LBB84_77
.LBB84_56:
	s_or_b64 exec, exec, s[0:1]
	s_and_saveexec_b64 s[0:1], s[16:17]
	s_cbranch_execnz .LBB84_78
.LBB84_57:
	s_or_b64 exec, exec, s[0:1]
	s_and_saveexec_b64 s[0:1], s[18:19]
	s_cbranch_execnz .LBB84_79
.LBB84_58:
	s_or_b64 exec, exec, s[0:1]
	s_and_saveexec_b64 s[0:1], s[20:21]
	s_cbranch_execnz .LBB84_80
.LBB84_59:
	s_or_b64 exec, exec, s[0:1]
	s_and_saveexec_b64 s[0:1], s[22:23]
	s_cbranch_execnz .LBB84_81
.LBB84_60:
	s_or_b64 exec, exec, s[0:1]
	s_and_saveexec_b64 s[0:1], s[24:25]
	s_cbranch_execnz .LBB84_82
.LBB84_61:
	s_or_b64 exec, exec, s[0:1]
	s_and_saveexec_b64 s[0:1], s[28:29]
	s_cbranch_execnz .LBB84_83
.LBB84_62:
	s_or_b64 exec, exec, s[0:1]
	s_and_saveexec_b64 s[0:1], s[30:31]
	s_cbranch_execnz .LBB84_84
.LBB84_63:
	s_or_b64 exec, exec, s[0:1]
	s_and_saveexec_b64 s[0:1], s[34:35]
	s_cbranch_execnz .LBB84_85
.LBB84_64:
	s_or_b64 exec, exec, s[0:1]
	s_and_saveexec_b64 s[0:1], s[36:37]
	s_cbranch_execnz .LBB84_86
.LBB84_65:
	s_or_b64 exec, exec, s[0:1]
	s_and_saveexec_b64 s[0:1], s[38:39]
	s_cbranch_execnz .LBB84_87
.LBB84_66:
	s_or_b64 exec, exec, s[0:1]
	s_and_saveexec_b64 s[0:1], s[40:41]
	s_cbranch_execnz .LBB84_88
.LBB84_67:
	s_or_b64 exec, exec, s[0:1]
	s_and_saveexec_b64 s[0:1], s[42:43]
	s_cbranch_execnz .LBB84_89
.LBB84_68:
	s_or_b64 exec, exec, s[0:1]
	s_and_saveexec_b64 s[0:1], s[44:45]
	s_cbranch_execnz .LBB84_90
.LBB84_69:
	s_endpgm
.LBB84_70:
	ds_read_b32 v2, v2
	s_waitcnt lgkmcnt(0)
	v_cvt_f64_i32_e32 v[2:3], v2
	global_store_dwordx2 v[0:1], v[2:3], off
	s_or_b64 exec, exec, s[0:1]
	s_and_saveexec_b64 s[0:1], s[2:3]
	s_cbranch_execz .LBB84_50
.LBB84_71:
	s_waitcnt lgkmcnt(9)
	v_cvt_f64_i32_e32 v[2:3], v22
	global_store_dwordx2 v[0:1], v[2:3], off offset:2048
	s_or_b64 exec, exec, s[0:1]
	s_and_saveexec_b64 s[0:1], s[8:9]
	s_cbranch_execz .LBB84_51
.LBB84_72:
	s_waitcnt lgkmcnt(9)
	v_add_co_u32_e32 v22, vcc, 0x1000, v0
	v_cvt_f64_i32_e32 v[2:3], v23
	s_nop 0
	v_addc_co_u32_e32 v23, vcc, 0, v1, vcc
	global_store_dwordx2 v[22:23], v[2:3], off
	s_or_b64 exec, exec, s[0:1]
	s_and_saveexec_b64 s[0:1], s[6:7]
	s_cbranch_execz .LBB84_52
.LBB84_73:
	s_waitcnt lgkmcnt(9)
	v_add_co_u32_e32 v22, vcc, 0x1000, v0
	s_waitcnt lgkmcnt(8)
	v_cvt_f64_i32_e32 v[2:3], v20
	v_addc_co_u32_e32 v23, vcc, 0, v1, vcc
	global_store_dwordx2 v[22:23], v[2:3], off offset:2048
	s_or_b64 exec, exec, s[0:1]
	s_and_saveexec_b64 s[0:1], s[4:5]
	s_cbranch_execz .LBB84_53
.LBB84_74:
	s_waitcnt lgkmcnt(8)
	v_add_co_u32_e32 v20, vcc, 0x2000, v0
	v_cvt_f64_i32_e32 v[2:3], v21
	s_nop 0
	v_addc_co_u32_e32 v21, vcc, 0, v1, vcc
	global_store_dwordx2 v[20:21], v[2:3], off
	s_or_b64 exec, exec, s[0:1]
	s_and_saveexec_b64 s[0:1], s[10:11]
	s_cbranch_execz .LBB84_54
.LBB84_75:
	s_waitcnt lgkmcnt(8)
	v_add_co_u32_e32 v20, vcc, 0x2000, v0
	s_waitcnt lgkmcnt(7)
	v_cvt_f64_i32_e32 v[2:3], v18
	v_addc_co_u32_e32 v21, vcc, 0, v1, vcc
	global_store_dwordx2 v[20:21], v[2:3], off offset:2048
	s_or_b64 exec, exec, s[0:1]
	s_and_saveexec_b64 s[0:1], s[12:13]
	s_cbranch_execz .LBB84_55
.LBB84_76:
	s_waitcnt lgkmcnt(7)
	v_add_co_u32_e32 v18, vcc, 0x3000, v0
	v_cvt_f64_i32_e32 v[2:3], v19
	s_nop 0
	v_addc_co_u32_e32 v19, vcc, 0, v1, vcc
	global_store_dwordx2 v[18:19], v[2:3], off
	s_or_b64 exec, exec, s[0:1]
	s_and_saveexec_b64 s[0:1], s[14:15]
	s_cbranch_execz .LBB84_56
.LBB84_77:
	s_waitcnt lgkmcnt(7)
	v_add_co_u32_e32 v18, vcc, 0x3000, v0
	s_waitcnt lgkmcnt(6)
	v_cvt_f64_i32_e32 v[2:3], v16
	v_addc_co_u32_e32 v19, vcc, 0, v1, vcc
	global_store_dwordx2 v[18:19], v[2:3], off offset:2048
	s_or_b64 exec, exec, s[0:1]
	s_and_saveexec_b64 s[0:1], s[16:17]
	s_cbranch_execz .LBB84_57
.LBB84_78:
	s_waitcnt lgkmcnt(6)
	v_add_co_u32_e32 v16, vcc, 0x4000, v0
	v_cvt_f64_i32_e32 v[2:3], v17
	s_nop 0
	v_addc_co_u32_e32 v17, vcc, 0, v1, vcc
	global_store_dwordx2 v[16:17], v[2:3], off
	s_or_b64 exec, exec, s[0:1]
	s_and_saveexec_b64 s[0:1], s[18:19]
	s_cbranch_execz .LBB84_58
.LBB84_79:
	s_waitcnt lgkmcnt(6)
	v_add_co_u32_e32 v16, vcc, 0x4000, v0
	s_waitcnt lgkmcnt(5)
	v_cvt_f64_i32_e32 v[2:3], v14
	v_addc_co_u32_e32 v17, vcc, 0, v1, vcc
	global_store_dwordx2 v[16:17], v[2:3], off offset:2048
	s_or_b64 exec, exec, s[0:1]
	s_and_saveexec_b64 s[0:1], s[20:21]
	s_cbranch_execz .LBB84_59
.LBB84_80:
	s_waitcnt lgkmcnt(5)
	v_add_co_u32_e32 v14, vcc, 0x5000, v0
	v_cvt_f64_i32_e32 v[2:3], v15
	s_nop 0
	v_addc_co_u32_e32 v15, vcc, 0, v1, vcc
	global_store_dwordx2 v[14:15], v[2:3], off
	s_or_b64 exec, exec, s[0:1]
	s_and_saveexec_b64 s[0:1], s[22:23]
	s_cbranch_execz .LBB84_60
.LBB84_81:
	s_waitcnt lgkmcnt(5)
	v_add_co_u32_e32 v14, vcc, 0x5000, v0
	s_waitcnt lgkmcnt(4)
	v_cvt_f64_i32_e32 v[2:3], v12
	v_addc_co_u32_e32 v15, vcc, 0, v1, vcc
	global_store_dwordx2 v[14:15], v[2:3], off offset:2048
	s_or_b64 exec, exec, s[0:1]
	s_and_saveexec_b64 s[0:1], s[24:25]
	s_cbranch_execz .LBB84_61
.LBB84_82:
	s_waitcnt lgkmcnt(4)
	v_add_co_u32_e32 v12, vcc, 0x6000, v0
	v_cvt_f64_i32_e32 v[2:3], v13
	s_nop 0
	v_addc_co_u32_e32 v13, vcc, 0, v1, vcc
	global_store_dwordx2 v[12:13], v[2:3], off
	s_or_b64 exec, exec, s[0:1]
	s_and_saveexec_b64 s[0:1], s[28:29]
	s_cbranch_execz .LBB84_62
.LBB84_83:
	s_waitcnt lgkmcnt(4)
	v_add_co_u32_e32 v12, vcc, 0x6000, v0
	s_waitcnt lgkmcnt(3)
	v_cvt_f64_i32_e32 v[2:3], v10
	v_addc_co_u32_e32 v13, vcc, 0, v1, vcc
	global_store_dwordx2 v[12:13], v[2:3], off offset:2048
	s_or_b64 exec, exec, s[0:1]
	s_and_saveexec_b64 s[0:1], s[30:31]
	s_cbranch_execz .LBB84_63
.LBB84_84:
	s_waitcnt lgkmcnt(3)
	v_add_co_u32_e32 v10, vcc, 0x7000, v0
	v_cvt_f64_i32_e32 v[2:3], v11
	s_nop 0
	v_addc_co_u32_e32 v11, vcc, 0, v1, vcc
	global_store_dwordx2 v[10:11], v[2:3], off
	s_or_b64 exec, exec, s[0:1]
	s_and_saveexec_b64 s[0:1], s[34:35]
	s_cbranch_execz .LBB84_64
.LBB84_85:
	s_waitcnt lgkmcnt(3)
	v_add_co_u32_e32 v10, vcc, 0x7000, v0
	s_waitcnt lgkmcnt(2)
	v_cvt_f64_i32_e32 v[2:3], v8
	v_addc_co_u32_e32 v11, vcc, 0, v1, vcc
	global_store_dwordx2 v[10:11], v[2:3], off offset:2048
	s_or_b64 exec, exec, s[0:1]
	s_and_saveexec_b64 s[0:1], s[36:37]
	s_cbranch_execz .LBB84_65
.LBB84_86:
	s_waitcnt lgkmcnt(2)
	v_add_co_u32_e32 v8, vcc, 0x8000, v0
	v_cvt_f64_i32_e32 v[2:3], v9
	s_nop 0
	v_addc_co_u32_e32 v9, vcc, 0, v1, vcc
	global_store_dwordx2 v[8:9], v[2:3], off
	s_or_b64 exec, exec, s[0:1]
	s_and_saveexec_b64 s[0:1], s[38:39]
	s_cbranch_execz .LBB84_66
.LBB84_87:
	s_waitcnt lgkmcnt(2)
	v_add_co_u32_e32 v8, vcc, 0x8000, v0
	s_waitcnt lgkmcnt(1)
	v_cvt_f64_i32_e32 v[2:3], v6
	v_addc_co_u32_e32 v9, vcc, 0, v1, vcc
	global_store_dwordx2 v[8:9], v[2:3], off offset:2048
	s_or_b64 exec, exec, s[0:1]
	s_and_saveexec_b64 s[0:1], s[40:41]
	s_cbranch_execz .LBB84_67
.LBB84_88:
	s_waitcnt lgkmcnt(1)
	v_add_co_u32_e32 v6, vcc, 0x9000, v0
	v_cvt_f64_i32_e32 v[2:3], v7
	s_nop 0
	v_addc_co_u32_e32 v7, vcc, 0, v1, vcc
	global_store_dwordx2 v[6:7], v[2:3], off
	s_or_b64 exec, exec, s[0:1]
	s_and_saveexec_b64 s[0:1], s[42:43]
	s_cbranch_execz .LBB84_68
.LBB84_89:
	s_waitcnt lgkmcnt(1)
	v_add_co_u32_e32 v6, vcc, 0x9000, v0
	s_waitcnt lgkmcnt(0)
	v_cvt_f64_i32_e32 v[2:3], v4
	v_addc_co_u32_e32 v7, vcc, 0, v1, vcc
	global_store_dwordx2 v[6:7], v[2:3], off offset:2048
	s_or_b64 exec, exec, s[0:1]
	s_and_saveexec_b64 s[0:1], s[44:45]
	s_cbranch_execz .LBB84_69
.LBB84_90:
	v_add_co_u32_e32 v0, vcc, 0xa000, v0
	s_waitcnt lgkmcnt(0)
	v_cvt_f64_i32_e32 v[2:3], v5
	v_addc_co_u32_e32 v1, vcc, 0, v1, vcc
	global_store_dwordx2 v[0:1], v[2:3], off
	s_endpgm
	.section	.rodata,"a",@progbits
	.p2align	6, 0x0
	.amdhsa_kernel _ZN7rocprim6detail18single_scan_kernelILb1ENS0_19wrapped_scan_configINS_14default_configEiEEN6hipcub22TransformInputIteratorIiNS5_6CastOpIiEEPilEEPdNS5_3SumEiiEEvT1_mT4_T2_T3_
		.amdhsa_group_segment_fixed_size 21504
		.amdhsa_private_segment_fixed_size 0
		.amdhsa_kernarg_size 44
		.amdhsa_user_sgpr_count 2
		.amdhsa_user_sgpr_dispatch_ptr 0
		.amdhsa_user_sgpr_queue_ptr 0
		.amdhsa_user_sgpr_kernarg_segment_ptr 1
		.amdhsa_user_sgpr_dispatch_id 0
		.amdhsa_user_sgpr_kernarg_preload_length 0
		.amdhsa_user_sgpr_kernarg_preload_offset 0
		.amdhsa_user_sgpr_private_segment_size 0
		.amdhsa_uses_dynamic_stack 0
		.amdhsa_enable_private_segment 0
		.amdhsa_system_sgpr_workgroup_id_x 1
		.amdhsa_system_sgpr_workgroup_id_y 0
		.amdhsa_system_sgpr_workgroup_id_z 0
		.amdhsa_system_sgpr_workgroup_info 0
		.amdhsa_system_vgpr_workitem_id 0
		.amdhsa_next_free_vgpr 28
		.amdhsa_next_free_sgpr 48
		.amdhsa_accum_offset 28
		.amdhsa_reserve_vcc 1
		.amdhsa_float_round_mode_32 0
		.amdhsa_float_round_mode_16_64 0
		.amdhsa_float_denorm_mode_32 3
		.amdhsa_float_denorm_mode_16_64 3
		.amdhsa_dx10_clamp 1
		.amdhsa_ieee_mode 1
		.amdhsa_fp16_overflow 0
		.amdhsa_tg_split 0
		.amdhsa_exception_fp_ieee_invalid_op 0
		.amdhsa_exception_fp_denorm_src 0
		.amdhsa_exception_fp_ieee_div_zero 0
		.amdhsa_exception_fp_ieee_overflow 0
		.amdhsa_exception_fp_ieee_underflow 0
		.amdhsa_exception_fp_ieee_inexact 0
		.amdhsa_exception_int_div_zero 0
	.end_amdhsa_kernel
	.section	.text._ZN7rocprim6detail18single_scan_kernelILb1ENS0_19wrapped_scan_configINS_14default_configEiEEN6hipcub22TransformInputIteratorIiNS5_6CastOpIiEEPilEEPdNS5_3SumEiiEEvT1_mT4_T2_T3_,"axG",@progbits,_ZN7rocprim6detail18single_scan_kernelILb1ENS0_19wrapped_scan_configINS_14default_configEiEEN6hipcub22TransformInputIteratorIiNS5_6CastOpIiEEPilEEPdNS5_3SumEiiEEvT1_mT4_T2_T3_,comdat
.Lfunc_end84:
	.size	_ZN7rocprim6detail18single_scan_kernelILb1ENS0_19wrapped_scan_configINS_14default_configEiEEN6hipcub22TransformInputIteratorIiNS5_6CastOpIiEEPilEEPdNS5_3SumEiiEEvT1_mT4_T2_T3_, .Lfunc_end84-_ZN7rocprim6detail18single_scan_kernelILb1ENS0_19wrapped_scan_configINS_14default_configEiEEN6hipcub22TransformInputIteratorIiNS5_6CastOpIiEEPilEEPdNS5_3SumEiiEEvT1_mT4_T2_T3_
                                        ; -- End function
	.section	.AMDGPU.csdata,"",@progbits
; Kernel info:
; codeLenInByte = 3320
; NumSgprs: 54
; NumVgprs: 28
; NumAgprs: 0
; TotalNumVgprs: 28
; ScratchSize: 0
; MemoryBound: 0
; FloatMode: 240
; IeeeMode: 1
; LDSByteSize: 21504 bytes/workgroup (compile time only)
; SGPRBlocks: 6
; VGPRBlocks: 3
; NumSGPRsForWavesPerEU: 54
; NumVGPRsForWavesPerEU: 28
; AccumOffset: 28
; Occupancy: 3
; WaveLimiterHint : 0
; COMPUTE_PGM_RSRC2:SCRATCH_EN: 0
; COMPUTE_PGM_RSRC2:USER_SGPR: 2
; COMPUTE_PGM_RSRC2:TRAP_HANDLER: 0
; COMPUTE_PGM_RSRC2:TGID_X_EN: 1
; COMPUTE_PGM_RSRC2:TGID_Y_EN: 0
; COMPUTE_PGM_RSRC2:TGID_Z_EN: 0
; COMPUTE_PGM_RSRC2:TIDIG_COMP_CNT: 0
; COMPUTE_PGM_RSRC3_GFX90A:ACCUM_OFFSET: 6
; COMPUTE_PGM_RSRC3_GFX90A:TG_SPLIT: 0
	.section	.text._ZN7rocprim6detail20lookback_scan_kernelILNS0_25lookback_scan_determinismE0ELb1ENS0_19wrapped_scan_configINS_14default_configEsEEN6hipcub22TransformInputIteratorIsNS6_6CastOpIsEEPslEEPfNS6_3MaxEssNS0_19lookback_scan_stateIsLb1ELb1EEEEEvT2_T3_mT5_T4_T7_jPT6_SM_bb,"axG",@progbits,_ZN7rocprim6detail20lookback_scan_kernelILNS0_25lookback_scan_determinismE0ELb1ENS0_19wrapped_scan_configINS_14default_configEsEEN6hipcub22TransformInputIteratorIsNS6_6CastOpIsEEPslEEPfNS6_3MaxEssNS0_19lookback_scan_stateIsLb1ELb1EEEEEvT2_T3_mT5_T4_T7_jPT6_SM_bb,comdat
	.protected	_ZN7rocprim6detail20lookback_scan_kernelILNS0_25lookback_scan_determinismE0ELb1ENS0_19wrapped_scan_configINS_14default_configEsEEN6hipcub22TransformInputIteratorIsNS6_6CastOpIsEEPslEEPfNS6_3MaxEssNS0_19lookback_scan_stateIsLb1ELb1EEEEEvT2_T3_mT5_T4_T7_jPT6_SM_bb ; -- Begin function _ZN7rocprim6detail20lookback_scan_kernelILNS0_25lookback_scan_determinismE0ELb1ENS0_19wrapped_scan_configINS_14default_configEsEEN6hipcub22TransformInputIteratorIsNS6_6CastOpIsEEPslEEPfNS6_3MaxEssNS0_19lookback_scan_stateIsLb1ELb1EEEEEvT2_T3_mT5_T4_T7_jPT6_SM_bb
	.globl	_ZN7rocprim6detail20lookback_scan_kernelILNS0_25lookback_scan_determinismE0ELb1ENS0_19wrapped_scan_configINS_14default_configEsEEN6hipcub22TransformInputIteratorIsNS6_6CastOpIsEEPslEEPfNS6_3MaxEssNS0_19lookback_scan_stateIsLb1ELb1EEEEEvT2_T3_mT5_T4_T7_jPT6_SM_bb
	.p2align	8
	.type	_ZN7rocprim6detail20lookback_scan_kernelILNS0_25lookback_scan_determinismE0ELb1ENS0_19wrapped_scan_configINS_14default_configEsEEN6hipcub22TransformInputIteratorIsNS6_6CastOpIsEEPslEEPfNS6_3MaxEssNS0_19lookback_scan_stateIsLb1ELb1EEEEEvT2_T3_mT5_T4_T7_jPT6_SM_bb,@function
_ZN7rocprim6detail20lookback_scan_kernelILNS0_25lookback_scan_determinismE0ELb1ENS0_19wrapped_scan_configINS_14default_configEsEEN6hipcub22TransformInputIteratorIsNS6_6CastOpIsEEPslEEPfNS6_3MaxEssNS0_19lookback_scan_stateIsLb1ELb1EEEEEvT2_T3_mT5_T4_T7_jPT6_SM_bb: ; @_ZN7rocprim6detail20lookback_scan_kernelILNS0_25lookback_scan_determinismE0ELb1ENS0_19wrapped_scan_configINS_14default_configEsEEN6hipcub22TransformInputIteratorIsNS6_6CastOpIsEEPslEEPfNS6_3MaxEssNS0_19lookback_scan_stateIsLb1ELb1EEEEEvT2_T3_mT5_T4_T7_jPT6_SM_bb
; %bb.0:
	s_endpgm
	.section	.rodata,"a",@progbits
	.p2align	6, 0x0
	.amdhsa_kernel _ZN7rocprim6detail20lookback_scan_kernelILNS0_25lookback_scan_determinismE0ELb1ENS0_19wrapped_scan_configINS_14default_configEsEEN6hipcub22TransformInputIteratorIsNS6_6CastOpIsEEPslEEPfNS6_3MaxEssNS0_19lookback_scan_stateIsLb1ELb1EEEEEvT2_T3_mT5_T4_T7_jPT6_SM_bb
		.amdhsa_group_segment_fixed_size 0
		.amdhsa_private_segment_fixed_size 0
		.amdhsa_kernarg_size 76
		.amdhsa_user_sgpr_count 2
		.amdhsa_user_sgpr_dispatch_ptr 0
		.amdhsa_user_sgpr_queue_ptr 0
		.amdhsa_user_sgpr_kernarg_segment_ptr 1
		.amdhsa_user_sgpr_dispatch_id 0
		.amdhsa_user_sgpr_kernarg_preload_length 0
		.amdhsa_user_sgpr_kernarg_preload_offset 0
		.amdhsa_user_sgpr_private_segment_size 0
		.amdhsa_uses_dynamic_stack 0
		.amdhsa_enable_private_segment 0
		.amdhsa_system_sgpr_workgroup_id_x 1
		.amdhsa_system_sgpr_workgroup_id_y 0
		.amdhsa_system_sgpr_workgroup_id_z 0
		.amdhsa_system_sgpr_workgroup_info 0
		.amdhsa_system_vgpr_workitem_id 0
		.amdhsa_next_free_vgpr 1
		.amdhsa_next_free_sgpr 0
		.amdhsa_accum_offset 4
		.amdhsa_reserve_vcc 0
		.amdhsa_float_round_mode_32 0
		.amdhsa_float_round_mode_16_64 0
		.amdhsa_float_denorm_mode_32 3
		.amdhsa_float_denorm_mode_16_64 3
		.amdhsa_dx10_clamp 1
		.amdhsa_ieee_mode 1
		.amdhsa_fp16_overflow 0
		.amdhsa_tg_split 0
		.amdhsa_exception_fp_ieee_invalid_op 0
		.amdhsa_exception_fp_denorm_src 0
		.amdhsa_exception_fp_ieee_div_zero 0
		.amdhsa_exception_fp_ieee_overflow 0
		.amdhsa_exception_fp_ieee_underflow 0
		.amdhsa_exception_fp_ieee_inexact 0
		.amdhsa_exception_int_div_zero 0
	.end_amdhsa_kernel
	.section	.text._ZN7rocprim6detail20lookback_scan_kernelILNS0_25lookback_scan_determinismE0ELb1ENS0_19wrapped_scan_configINS_14default_configEsEEN6hipcub22TransformInputIteratorIsNS6_6CastOpIsEEPslEEPfNS6_3MaxEssNS0_19lookback_scan_stateIsLb1ELb1EEEEEvT2_T3_mT5_T4_T7_jPT6_SM_bb,"axG",@progbits,_ZN7rocprim6detail20lookback_scan_kernelILNS0_25lookback_scan_determinismE0ELb1ENS0_19wrapped_scan_configINS_14default_configEsEEN6hipcub22TransformInputIteratorIsNS6_6CastOpIsEEPslEEPfNS6_3MaxEssNS0_19lookback_scan_stateIsLb1ELb1EEEEEvT2_T3_mT5_T4_T7_jPT6_SM_bb,comdat
.Lfunc_end85:
	.size	_ZN7rocprim6detail20lookback_scan_kernelILNS0_25lookback_scan_determinismE0ELb1ENS0_19wrapped_scan_configINS_14default_configEsEEN6hipcub22TransformInputIteratorIsNS6_6CastOpIsEEPslEEPfNS6_3MaxEssNS0_19lookback_scan_stateIsLb1ELb1EEEEEvT2_T3_mT5_T4_T7_jPT6_SM_bb, .Lfunc_end85-_ZN7rocprim6detail20lookback_scan_kernelILNS0_25lookback_scan_determinismE0ELb1ENS0_19wrapped_scan_configINS_14default_configEsEEN6hipcub22TransformInputIteratorIsNS6_6CastOpIsEEPslEEPfNS6_3MaxEssNS0_19lookback_scan_stateIsLb1ELb1EEEEEvT2_T3_mT5_T4_T7_jPT6_SM_bb
                                        ; -- End function
	.section	.AMDGPU.csdata,"",@progbits
; Kernel info:
; codeLenInByte = 4
; NumSgprs: 6
; NumVgprs: 0
; NumAgprs: 0
; TotalNumVgprs: 0
; ScratchSize: 0
; MemoryBound: 0
; FloatMode: 240
; IeeeMode: 1
; LDSByteSize: 0 bytes/workgroup (compile time only)
; SGPRBlocks: 0
; VGPRBlocks: 0
; NumSGPRsForWavesPerEU: 6
; NumVGPRsForWavesPerEU: 1
; AccumOffset: 4
; Occupancy: 8
; WaveLimiterHint : 0
; COMPUTE_PGM_RSRC2:SCRATCH_EN: 0
; COMPUTE_PGM_RSRC2:USER_SGPR: 2
; COMPUTE_PGM_RSRC2:TRAP_HANDLER: 0
; COMPUTE_PGM_RSRC2:TGID_X_EN: 1
; COMPUTE_PGM_RSRC2:TGID_Y_EN: 0
; COMPUTE_PGM_RSRC2:TGID_Z_EN: 0
; COMPUTE_PGM_RSRC2:TIDIG_COMP_CNT: 0
; COMPUTE_PGM_RSRC3_GFX90A:ACCUM_OFFSET: 0
; COMPUTE_PGM_RSRC3_GFX90A:TG_SPLIT: 0
	.section	.text._ZN7rocprim6detail20lookback_scan_kernelILNS0_25lookback_scan_determinismE0ELb1ENS0_19wrapped_scan_configINS_14default_configEsEEN6hipcub22TransformInputIteratorIsNS6_6CastOpIsEEPslEEPfNS6_3MaxEssNS0_19lookback_scan_stateIsLb0ELb1EEEEEvT2_T3_mT5_T4_T7_jPT6_SM_bb,"axG",@progbits,_ZN7rocprim6detail20lookback_scan_kernelILNS0_25lookback_scan_determinismE0ELb1ENS0_19wrapped_scan_configINS_14default_configEsEEN6hipcub22TransformInputIteratorIsNS6_6CastOpIsEEPslEEPfNS6_3MaxEssNS0_19lookback_scan_stateIsLb0ELb1EEEEEvT2_T3_mT5_T4_T7_jPT6_SM_bb,comdat
	.protected	_ZN7rocprim6detail20lookback_scan_kernelILNS0_25lookback_scan_determinismE0ELb1ENS0_19wrapped_scan_configINS_14default_configEsEEN6hipcub22TransformInputIteratorIsNS6_6CastOpIsEEPslEEPfNS6_3MaxEssNS0_19lookback_scan_stateIsLb0ELb1EEEEEvT2_T3_mT5_T4_T7_jPT6_SM_bb ; -- Begin function _ZN7rocprim6detail20lookback_scan_kernelILNS0_25lookback_scan_determinismE0ELb1ENS0_19wrapped_scan_configINS_14default_configEsEEN6hipcub22TransformInputIteratorIsNS6_6CastOpIsEEPslEEPfNS6_3MaxEssNS0_19lookback_scan_stateIsLb0ELb1EEEEEvT2_T3_mT5_T4_T7_jPT6_SM_bb
	.globl	_ZN7rocprim6detail20lookback_scan_kernelILNS0_25lookback_scan_determinismE0ELb1ENS0_19wrapped_scan_configINS_14default_configEsEEN6hipcub22TransformInputIteratorIsNS6_6CastOpIsEEPslEEPfNS6_3MaxEssNS0_19lookback_scan_stateIsLb0ELb1EEEEEvT2_T3_mT5_T4_T7_jPT6_SM_bb
	.p2align	8
	.type	_ZN7rocprim6detail20lookback_scan_kernelILNS0_25lookback_scan_determinismE0ELb1ENS0_19wrapped_scan_configINS_14default_configEsEEN6hipcub22TransformInputIteratorIsNS6_6CastOpIsEEPslEEPfNS6_3MaxEssNS0_19lookback_scan_stateIsLb0ELb1EEEEEvT2_T3_mT5_T4_T7_jPT6_SM_bb,@function
_ZN7rocprim6detail20lookback_scan_kernelILNS0_25lookback_scan_determinismE0ELb1ENS0_19wrapped_scan_configINS_14default_configEsEEN6hipcub22TransformInputIteratorIsNS6_6CastOpIsEEPslEEPfNS6_3MaxEssNS0_19lookback_scan_stateIsLb0ELb1EEEEEvT2_T3_mT5_T4_T7_jPT6_SM_bb: ; @_ZN7rocprim6detail20lookback_scan_kernelILNS0_25lookback_scan_determinismE0ELb1ENS0_19wrapped_scan_configINS_14default_configEsEEN6hipcub22TransformInputIteratorIsNS6_6CastOpIsEEPslEEPfNS6_3MaxEssNS0_19lookback_scan_stateIsLb0ELb1EEEEEvT2_T3_mT5_T4_T7_jPT6_SM_bb
; %bb.0:
	s_load_dword s3, s[0:1], 0x30
	s_load_dwordx2 s[14:15], s[0:1], 0x0
	s_load_dwordx4 s[8:11], s[0:1], 0x10
	s_mul_i32 s12, s2, 0x1800
	s_mov_b32 s13, 0
	s_waitcnt lgkmcnt(0)
	s_add_i32 s3, s3, -1
	s_mul_i32 s4, s3, 0x1800
	s_sub_u32 s22, s10, s4
	s_subb_u32 s23, s11, 0
	s_cmp_lg_u32 s2, s3
	s_cselect_b64 s[10:11], -1, 0
	s_lshl_b64 s[4:5], s[12:13], 1
	s_add_u32 s6, s14, s4
	s_addc_u32 s7, s15, s5
	s_mov_b64 s[4:5], -1
	s_and_b64 vcc, exec, s[10:11]
	v_lshlrev_b32_e32 v14, 1, v0
	s_cbranch_vccz .LBB86_2
; %bb.1:
	v_mov_b32_e32 v15, 0
	v_lshl_add_u64 v[2:3], s[6:7], 0, v[14:15]
	v_add_co_u32_e32 v4, vcc, 0x1000, v2
	global_load_ushort v1, v14, s[6:7]
	global_load_ushort v6, v14, s[6:7] offset:512
	global_load_ushort v7, v14, s[6:7] offset:1024
	;; [unrolled: 1-line block ×7, first 2 shown]
	v_addc_co_u32_e32 v5, vcc, 0, v3, vcc
	v_add_co_u32_e32 v2, vcc, 0x2000, v2
	global_load_ushort v13, v[4:5], off
	global_load_ushort v15, v[4:5], off offset:512
	global_load_ushort v16, v[4:5], off offset:1024
	global_load_ushort v17, v[4:5], off offset:1536
	global_load_ushort v18, v[4:5], off offset:2048
	global_load_ushort v19, v[4:5], off offset:2560
	global_load_ushort v20, v[4:5], off offset:3072
	global_load_ushort v21, v[4:5], off offset:3584
	v_addc_co_u32_e32 v3, vcc, 0, v3, vcc
	global_load_ushort v4, v[2:3], off
	global_load_ushort v5, v[2:3], off offset:512
	global_load_ushort v22, v[2:3], off offset:1024
	;; [unrolled: 1-line block ×7, first 2 shown]
	s_mov_b64 s[4:5], 0
	s_waitcnt vmcnt(23)
	ds_write_b16 v14, v1
	s_waitcnt vmcnt(22)
	ds_write_b16 v14, v6 offset:512
	s_waitcnt vmcnt(21)
	ds_write_b16 v14, v7 offset:1024
	;; [unrolled: 2-line block ×23, first 2 shown]
	s_waitcnt lgkmcnt(0)
	s_barrier
.LBB86_2:
	s_andn2_b64 vcc, exec, s[4:5]
	v_cmp_gt_u32_e64 s[4:5], s22, v0
	s_cbranch_vccnz .LBB86_52
; %bb.3:
	v_mov_b32_e32 v15, 0
	global_load_ushort v1, v15, s[6:7]
	v_lshl_add_u64 v[2:3], s[6:7], 0, v[14:15]
	s_waitcnt vmcnt(0)
	v_mov_b32_e32 v4, v1
	s_and_saveexec_b64 s[6:7], s[4:5]
	s_cbranch_execz .LBB86_5
; %bb.4:
	global_load_ushort v4, v[2:3], off
.LBB86_5:
	s_or_b64 exec, exec, s[6:7]
	v_or_b32_e32 v5, 0x100, v0
	v_cmp_gt_u32_e32 vcc, s22, v5
	v_mov_b32_e32 v5, v1
	s_and_saveexec_b64 s[4:5], vcc
	s_cbranch_execz .LBB86_7
; %bb.6:
	global_load_ushort v5, v[2:3], off offset:512
.LBB86_7:
	s_or_b64 exec, exec, s[4:5]
	v_or_b32_e32 v6, 0x200, v0
	v_cmp_gt_u32_e32 vcc, s22, v6
	v_mov_b32_e32 v6, v1
	s_and_saveexec_b64 s[4:5], vcc
	s_cbranch_execz .LBB86_9
; %bb.8:
	global_load_ushort v6, v[2:3], off offset:1024
.LBB86_9:
	;; [unrolled: 9-line block ×7, first 2 shown]
	s_or_b64 exec, exec, s[4:5]
	v_or_b32_e32 v12, 0x800, v0
	v_cmp_gt_u32_e32 vcc, s22, v12
	v_mov_b32_e32 v12, v1
	s_and_saveexec_b64 s[4:5], vcc
	s_cbranch_execz .LBB86_21
; %bb.20:
	v_add_co_u32_e32 v12, vcc, 0x1000, v2
	s_nop 1
	v_addc_co_u32_e32 v13, vcc, 0, v3, vcc
	global_load_ushort v12, v[12:13], off
.LBB86_21:
	s_or_b64 exec, exec, s[4:5]
	v_or_b32_e32 v13, 0x900, v0
	v_cmp_gt_u32_e32 vcc, s22, v13
	v_mov_b32_e32 v13, v1
	s_and_saveexec_b64 s[4:5], vcc
	s_cbranch_execz .LBB86_23
; %bb.22:
	v_add_co_u32_e32 v16, vcc, 0x1000, v2
	s_nop 1
	v_addc_co_u32_e32 v17, vcc, 0, v3, vcc
	global_load_ushort v13, v[16:17], off offset:512
.LBB86_23:
	s_or_b64 exec, exec, s[4:5]
	v_or_b32_e32 v15, 0xa00, v0
	v_cmp_gt_u32_e32 vcc, s22, v15
	v_mov_b32_e32 v15, v1
	s_and_saveexec_b64 s[4:5], vcc
	s_cbranch_execz .LBB86_25
; %bb.24:
	v_add_co_u32_e32 v16, vcc, 0x1000, v2
	s_nop 1
	v_addc_co_u32_e32 v17, vcc, 0, v3, vcc
	global_load_ushort v15, v[16:17], off offset:1024
.LBB86_25:
	;; [unrolled: 12-line block ×7, first 2 shown]
	s_or_b64 exec, exec, s[4:5]
	v_or_b32_e32 v21, 0x1000, v0
	v_cmp_gt_u32_e32 vcc, s22, v21
	v_mov_b32_e32 v21, v1
	s_and_saveexec_b64 s[4:5], vcc
	s_cbranch_execz .LBB86_37
; %bb.36:
	v_add_co_u32_e32 v22, vcc, 0x2000, v2
	s_nop 1
	v_addc_co_u32_e32 v23, vcc, 0, v3, vcc
	global_load_ushort v21, v[22:23], off
.LBB86_37:
	s_or_b64 exec, exec, s[4:5]
	v_or_b32_e32 v22, 0x1100, v0
	v_cmp_gt_u32_e32 vcc, s22, v22
	v_mov_b32_e32 v22, v1
	s_and_saveexec_b64 s[4:5], vcc
	s_cbranch_execz .LBB86_39
; %bb.38:
	v_add_co_u32_e32 v22, vcc, 0x2000, v2
	s_nop 1
	v_addc_co_u32_e32 v23, vcc, 0, v3, vcc
	global_load_ushort v22, v[22:23], off offset:512
.LBB86_39:
	s_or_b64 exec, exec, s[4:5]
	v_or_b32_e32 v23, 0x1200, v0
	v_cmp_gt_u32_e32 vcc, s22, v23
	v_mov_b32_e32 v23, v1
	s_and_saveexec_b64 s[4:5], vcc
	s_cbranch_execz .LBB86_41
; %bb.40:
	v_add_co_u32_e32 v24, vcc, 0x2000, v2
	s_nop 1
	v_addc_co_u32_e32 v25, vcc, 0, v3, vcc
	global_load_ushort v23, v[24:25], off offset:1024
.LBB86_41:
	;; [unrolled: 12-line block ×6, first 2 shown]
	s_or_b64 exec, exec, s[4:5]
	v_or_b32_e32 v28, 0x1700, v0
	v_cmp_gt_u32_e32 vcc, s22, v28
	s_and_saveexec_b64 s[4:5], vcc
	s_cbranch_execz .LBB86_51
; %bb.50:
	v_add_co_u32_e32 v2, vcc, 0x2000, v2
	s_nop 1
	v_addc_co_u32_e32 v3, vcc, 0, v3, vcc
	global_load_ushort v1, v[2:3], off offset:3584
.LBB86_51:
	s_or_b64 exec, exec, s[4:5]
	s_waitcnt vmcnt(0)
	ds_write_b16 v14, v4
	ds_write_b16 v14, v5 offset:512
	ds_write_b16 v14, v6 offset:1024
	;; [unrolled: 1-line block ×23, first 2 shown]
	s_waitcnt lgkmcnt(0)
	s_barrier
.LBB86_52:
	v_mul_u32_u24_e32 v15, 24, v0
	v_lshlrev_b32_e32 v1, 1, v15
	ds_read_b128 v[10:13], v1
	ds_read_b128 v[6:9], v1 offset:16
	ds_read_b128 v[2:5], v1 offset:32
	s_load_dwordx2 s[16:17], s[0:1], 0x28
	s_cmp_lg_u32 s2, 0
	v_mbcnt_lo_u32_b32 v35, -1, 0
	s_waitcnt lgkmcnt(0)
	v_lshrrev_b32_e32 v31, 16, v11
	v_max_i16_sdwa v16, v10, v10 dst_sel:DWORD dst_unused:UNUSED_PAD src0_sel:DWORD src1_sel:WORD_1
	v_lshrrev_b32_e32 v30, 16, v12
	v_lshrrev_b32_e32 v29, 16, v13
	;; [unrolled: 1-line block ×10, first 2 shown]
	v_max3_i16 v36, v16, v11, v31
	v_lshrrev_b32_e32 v32, 6, v0
	v_or_b32_e32 v33, 63, v0
	s_barrier
	s_cbranch_scc0 .LBB86_79
; %bb.53:
	v_max3_i16 v16, v36, v12, v30
	v_max3_i16 v16, v16, v13, v29
	;; [unrolled: 1-line block ×10, first 2 shown]
	v_mbcnt_hi_u32_b32 v17, -1, v35
	v_and_b32_e32 v19, 0xffff, v16
	v_and_b32_e32 v18, 15, v17
	v_cmp_eq_u32_e32 vcc, 0, v18
	v_mov_b32_dpp v19, v19 row_shr:1 row_mask:0xf bank_mask:0xf
	v_max_i16_e32 v19, v19, v16
	v_cndmask_b32_e32 v16, v19, v16, vcc
	v_and_b32_e32 v19, 0xffff, v16
	v_cmp_lt_u32_e32 vcc, 1, v18
	s_nop 0
	v_mov_b32_dpp v19, v19 row_shr:2 row_mask:0xf bank_mask:0xf
	v_max_i16_e32 v19, v19, v16
	v_cndmask_b32_e32 v16, v16, v19, vcc
	v_and_b32_e32 v19, 0xffff, v16
	v_cmp_lt_u32_e32 vcc, 3, v18
	s_nop 0
	;; [unrolled: 6-line block ×3, first 2 shown]
	v_mov_b32_dpp v19, v19 row_shr:8 row_mask:0xf bank_mask:0xf
	v_max_i16_e32 v19, v19, v16
	v_cndmask_b32_e32 v16, v16, v19, vcc
	v_and_b32_e32 v18, 0xffff, v16
	v_and_b32_e32 v19, 16, v17
	v_cmp_eq_u32_e32 vcc, 0, v19
	v_mov_b32_dpp v18, v18 row_bcast:15 row_mask:0xf bank_mask:0xf
	v_max_i16_e32 v18, v18, v16
	v_cndmask_b32_e32 v16, v18, v16, vcc
	v_and_b32_e32 v18, 0xffff, v16
	v_cmp_lt_u32_e32 vcc, 31, v17
	s_nop 0
	v_mov_b32_dpp v18, v18 row_bcast:31 row_mask:0xf bank_mask:0xf
	v_max_i16_e32 v18, v18, v16
	v_cndmask_b32_e32 v16, v16, v18, vcc
	v_cmp_eq_u32_e32 vcc, v33, v0
	s_and_saveexec_b64 s[4:5], vcc
	s_cbranch_execz .LBB86_55
; %bb.54:
	v_lshlrev_b32_e32 v18, 1, v32
	ds_write_b16 v18, v16
.LBB86_55:
	s_or_b64 exec, exec, s[4:5]
	v_cmp_gt_u32_e32 vcc, 4, v0
	s_waitcnt lgkmcnt(0)
	s_barrier
	s_and_saveexec_b64 s[4:5], vcc
	s_cbranch_execz .LBB86_57
; %bb.56:
	ds_read_u16 v18, v14
	v_and_b32_e32 v19, 3, v17
	v_cmp_eq_u32_e32 vcc, 0, v19
	s_waitcnt lgkmcnt(0)
	v_and_b32_e32 v20, 0xffff, v18
	s_nop 1
	v_mov_b32_dpp v20, v20 row_shr:1 row_mask:0xf bank_mask:0xf
	v_max_i16_e32 v20, v20, v18
	v_cndmask_b32_e32 v18, v20, v18, vcc
	v_and_b32_e32 v20, 0xffff, v18
	v_cmp_lt_u32_e32 vcc, 1, v19
	s_nop 0
	v_mov_b32_dpp v20, v20 row_shr:2 row_mask:0xf bank_mask:0xf
	v_max_i16_e32 v20, v20, v18
	v_cndmask_b32_e32 v18, v18, v20, vcc
	ds_write_b16 v14, v18
.LBB86_57:
	s_or_b64 exec, exec, s[4:5]
	v_cmp_gt_u32_e32 vcc, 64, v0
	v_cmp_lt_u32_e64 s[4:5], 63, v0
	s_waitcnt lgkmcnt(0)
	s_barrier
	s_waitcnt lgkmcnt(0)
                                        ; implicit-def: $vgpr37
	s_and_saveexec_b64 s[6:7], s[4:5]
	s_cbranch_execz .LBB86_59
; %bb.58:
	v_lshl_add_u32 v18, v32, 1, -2
	ds_read_u16 v37, v18
	s_waitcnt lgkmcnt(0)
	v_max_i16_e32 v16, v37, v16
.LBB86_59:
	s_or_b64 exec, exec, s[6:7]
	v_add_u32_e32 v18, -1, v17
	v_and_b32_e32 v19, 64, v17
	v_cmp_lt_i32_e64 s[4:5], v18, v19
	v_and_b32_e32 v16, 0xffff, v16
	s_nop 0
	v_cndmask_b32_e64 v18, v18, v17, s[4:5]
	v_lshlrev_b32_e32 v18, 2, v18
	ds_bpermute_b32 v38, v18, v16
	v_cmp_eq_u32_e64 s[4:5], 0, v17
	s_and_saveexec_b64 s[18:19], vcc
	s_cbranch_execz .LBB86_78
; %bb.60:
	v_mov_b32_e32 v19, 0
	ds_read_u16 v39, v19 offset:6
	s_and_saveexec_b64 s[6:7], s[4:5]
	s_cbranch_execz .LBB86_62
; %bb.61:
	s_add_i32 s20, s2, 64
	s_mov_b32 s21, 0
	s_lshl_b64 s[20:21], s[20:21], 2
	s_add_u32 s20, s16, s20
	s_addc_u32 s21, s17, s21
	s_waitcnt lgkmcnt(0)
	v_or_b32_e32 v16, 0x10000, v39
	global_store_dword v19, v16, s[20:21] sc1
.LBB86_62:
	s_or_b64 exec, exec, s[6:7]
	v_xad_u32 v16, v17, -1, s2
	v_add_u32_e32 v18, 64, v16
	v_lshl_add_u64 v[20:21], v[18:19], 2, s[16:17]
	global_load_dword v45, v[20:21], off sc1
	s_waitcnt vmcnt(0)
	v_lshrrev_b32_e32 v40, 16, v45
	v_cmp_eq_u16_sdwa s[20:21], v40, v19 src0_sel:BYTE_0 src1_sel:DWORD
	s_and_saveexec_b64 s[6:7], s[20:21]
	s_cbranch_execz .LBB86_66
; %bb.63:
	s_mov_b64 s[20:21], 0
	v_mov_b32_e32 v18, 0
.LBB86_64:                              ; =>This Inner Loop Header: Depth=1
	global_load_dword v45, v[20:21], off sc1
	s_waitcnt vmcnt(0)
	v_lshrrev_b32_e32 v40, 16, v45
	v_cmp_ne_u16_sdwa s[24:25], v40, v18 src0_sel:BYTE_0 src1_sel:DWORD
	s_or_b64 s[20:21], s[24:25], s[20:21]
	s_andn2_b64 exec, exec, s[20:21]
	s_cbranch_execnz .LBB86_64
; %bb.65:
	s_or_b64 exec, exec, s[20:21]
.LBB86_66:
	s_or_b64 exec, exec, s[6:7]
	v_and_b32_e32 v52, 63, v17
	v_cmp_ne_u32_e32 vcc, 63, v52
	v_mov_b32_e32 v41, 2
	v_cmp_eq_u16_sdwa s[6:7], v40, v41 src0_sel:BYTE_0 src1_sel:DWORD
	v_addc_co_u32_e32 v42, vcc, 0, v17, vcc
	v_lshlrev_b64 v[18:19], v17, -1
	v_and_b32_e32 v44, 0xffff, v45
	v_lshlrev_b32_e32 v42, 2, v42
	v_and_b32_e32 v20, s7, v19
	ds_bpermute_b32 v46, v42, v44
	v_or_b32_e32 v20, 0x80000000, v20
	v_and_b32_e32 v21, s6, v18
	v_ffbl_b32_e32 v20, v20
	v_add_u32_e32 v20, 32, v20
	v_ffbl_b32_e32 v21, v21
	v_min_u32_e32 v20, v21, v20
	v_add_u32_e32 v43, 1, v17
	s_waitcnt lgkmcnt(0)
	v_max_i16_e32 v21, v46, v45
	v_cmp_gt_u32_e32 vcc, v43, v20
	v_cmp_gt_u32_e64 s[6:7], 62, v52
	s_nop 0
	v_cndmask_b32_e32 v46, v21, v44, vcc
	v_cndmask_b32_e64 v44, 0, 1, s[6:7]
	v_lshlrev_b32_e32 v44, 1, v44
	v_add_lshl_u32 v44, v44, v17, 2
	ds_bpermute_b32 v47, v44, v46
	v_cndmask_b32_e32 v21, v21, v45, vcc
	v_add_u32_e32 v45, 2, v17
	v_cmp_gt_u32_e32 vcc, v45, v20
	v_cmp_gt_u32_e64 s[6:7], 60, v52
	s_waitcnt lgkmcnt(0)
	v_max_i16_e32 v47, v47, v21
	v_cndmask_b32_e32 v48, v47, v46, vcc
	v_cndmask_b32_e64 v46, 0, 1, s[6:7]
	v_lshlrev_b32_e32 v46, 2, v46
	v_add_lshl_u32 v46, v46, v17, 2
	ds_bpermute_b32 v49, v46, v48
	v_cndmask_b32_e32 v21, v47, v21, vcc
	v_add_u32_e32 v47, 4, v17
	v_cmp_gt_u32_e32 vcc, v47, v20
	v_cmp_gt_u32_e64 s[6:7], 56, v52
	s_waitcnt lgkmcnt(0)
	v_max_i16_e32 v49, v49, v21
	;; [unrolled: 11-line block ×3, first 2 shown]
	v_cndmask_b32_e32 v53, v51, v50, vcc
	v_cndmask_b32_e64 v50, 0, 1, s[6:7]
	v_lshlrev_b32_e32 v50, 4, v50
	v_add_lshl_u32 v50, v50, v17, 2
	ds_bpermute_b32 v54, v50, v53
	v_cmp_gt_u32_e64 s[6:7], 32, v52
	v_cndmask_b32_e32 v21, v51, v21, vcc
	v_add_u32_e32 v51, 16, v17
	v_cndmask_b32_e64 v52, 0, 1, s[6:7]
	s_waitcnt lgkmcnt(0)
	v_max_i16_e32 v55, v54, v21
	v_cmp_gt_u32_e32 vcc, v51, v20
	v_lshlrev_b32_e32 v52, 5, v52
	s_nop 0
	v_cndmask_b32_e32 v54, v55, v53, vcc
	v_add_lshl_u32 v53, v52, v17, 2
	ds_bpermute_b32 v52, v53, v54
	v_add_u32_e32 v54, 32, v17
	v_cndmask_b32_e32 v17, v55, v21, vcc
	v_cmp_gt_u32_e32 vcc, v54, v20
	s_waitcnt lgkmcnt(0)
	v_max_i16_e32 v21, v52, v17
	v_cndmask_b32_e32 v20, v21, v17, vcc
	v_mov_b32_e32 v17, 0
	s_branch .LBB86_68
.LBB86_67:                              ;   in Loop: Header=BB86_68 Depth=1
	s_or_b64 exec, exec, s[6:7]
	v_cmp_eq_u16_sdwa s[6:7], v40, v41 src0_sel:BYTE_0 src1_sel:DWORD
	v_and_b32_e32 v56, 0xffff, v55
	ds_bpermute_b32 v57, v42, v56
	v_and_b32_e32 v20, s7, v19
	v_or_b32_e32 v20, 0x80000000, v20
	v_and_b32_e32 v21, s6, v18
	v_ffbl_b32_e32 v20, v20
	v_add_u32_e32 v20, 32, v20
	v_ffbl_b32_e32 v21, v21
	v_min_u32_e32 v20, v21, v20
	s_waitcnt lgkmcnt(0)
	v_max_i16_e32 v21, v57, v55
	v_cmp_gt_u32_e32 vcc, v43, v20
	v_subrev_u32_e32 v16, 64, v16
	s_nop 0
	v_cndmask_b32_e32 v56, v21, v56, vcc
	ds_bpermute_b32 v57, v44, v56
	v_cndmask_b32_e32 v21, v21, v55, vcc
	v_cmp_gt_u32_e32 vcc, v45, v20
	s_waitcnt lgkmcnt(0)
	v_max_i16_e32 v55, v57, v21
	v_cndmask_b32_e32 v56, v55, v56, vcc
	ds_bpermute_b32 v57, v46, v56
	v_cndmask_b32_e32 v21, v55, v21, vcc
	v_cmp_gt_u32_e32 vcc, v47, v20
	s_waitcnt lgkmcnt(0)
	v_max_i16_e32 v55, v57, v21
	;; [unrolled: 6-line block ×5, first 2 shown]
	v_cndmask_b32_e32 v20, v55, v21, vcc
	v_max_i16_e32 v20, v20, v52
.LBB86_68:                              ; =>This Loop Header: Depth=1
                                        ;     Child Loop BB86_71 Depth 2
	v_cmp_ne_u16_sdwa s[6:7], v40, v41 src0_sel:BYTE_0 src1_sel:DWORD
	v_mov_b32_e32 v52, v20
	s_nop 0
	v_cndmask_b32_e64 v21, 0, 1, s[6:7]
	;;#ASMSTART
	;;#ASMEND
	s_nop 0
	v_cmp_ne_u32_e32 vcc, 0, v21
	s_cmp_lg_u64 vcc, exec
	s_cbranch_scc1 .LBB86_73
; %bb.69:                               ;   in Loop: Header=BB86_68 Depth=1
	v_lshl_add_u64 v[20:21], v[16:17], 2, s[16:17]
	global_load_dword v55, v[20:21], off sc1
	s_waitcnt vmcnt(0)
	v_lshrrev_b32_e32 v40, 16, v55
	v_cmp_eq_u16_sdwa s[20:21], v40, v17 src0_sel:BYTE_0 src1_sel:DWORD
	s_and_saveexec_b64 s[6:7], s[20:21]
	s_cbranch_execz .LBB86_67
; %bb.70:                               ;   in Loop: Header=BB86_68 Depth=1
	s_mov_b64 s[20:21], 0
.LBB86_71:                              ;   Parent Loop BB86_68 Depth=1
                                        ; =>  This Inner Loop Header: Depth=2
	global_load_dword v55, v[20:21], off sc1
	s_waitcnt vmcnt(0)
	v_lshrrev_b32_e32 v40, 16, v55
	v_cmp_ne_u16_sdwa s[24:25], v40, v17 src0_sel:BYTE_0 src1_sel:DWORD
	s_or_b64 s[20:21], s[24:25], s[20:21]
	s_andn2_b64 exec, exec, s[20:21]
	s_cbranch_execnz .LBB86_71
; %bb.72:                               ;   in Loop: Header=BB86_68 Depth=1
	s_or_b64 exec, exec, s[20:21]
	s_branch .LBB86_67
.LBB86_73:                              ;   in Loop: Header=BB86_68 Depth=1
                                        ; implicit-def: $vgpr20
                                        ; implicit-def: $vgpr40
	s_cbranch_execz .LBB86_68
; %bb.74:
	s_and_saveexec_b64 s[6:7], s[4:5]
	s_cbranch_execz .LBB86_76
; %bb.75:
	s_add_i32 s2, s2, 64
	s_mov_b32 s3, 0
	s_lshl_b64 s[2:3], s[2:3], 2
	s_add_u32 s2, s16, s2
	v_max_i16_e32 v17, v52, v39
	s_addc_u32 s3, s17, s3
	v_mov_b32_e32 v16, 0
	v_or_b32_e32 v17, 0x20000, v17
	global_store_dword v16, v17, s[2:3] sc1
.LBB86_76:
	s_or_b64 exec, exec, s[6:7]
	v_cmp_eq_u32_e32 vcc, 0, v0
	s_and_b64 exec, exec, vcc
	s_cbranch_execz .LBB86_78
; %bb.77:
	v_mov_b32_e32 v16, 0
	ds_write_b16 v16, v52 offset:6
.LBB86_78:
	s_or_b64 exec, exec, s[18:19]
	v_mov_b32_e32 v16, 0
	s_waitcnt lgkmcnt(0)
	s_barrier
	ds_read_u16 v16, v16 offset:6
	v_cndmask_b32_e64 v17, v38, v37, s[4:5]
	v_cmp_eq_u32_e32 vcc, 0, v0
	s_waitcnt lgkmcnt(0)
	v_max_i16_e32 v17, v16, v17
	v_cndmask_b32_e32 v17, v17, v16, vcc
	v_max_i16_e32 v16, v17, v10
	v_max_i16_sdwa v18, v16, v10 dst_sel:DWORD dst_unused:UNUSED_PAD src0_sel:DWORD src1_sel:WORD_1
	v_max_i16_e32 v19, v18, v11
	v_max_i16_e32 v20, v19, v31
	;; [unrolled: 1-line block ×21, first 2 shown]
	s_load_dwordx4 s[4:7], s[0:1], 0x38
	s_branch .LBB86_91
.LBB86_79:
                                        ; implicit-def: $vgpr17
                                        ; implicit-def: $vgpr16
                                        ; implicit-def: $vgpr18
                                        ; implicit-def: $vgpr19
                                        ; implicit-def: $vgpr20
                                        ; implicit-def: $vgpr37
                                        ; implicit-def: $vgpr39
                                        ; implicit-def: $vgpr41
                                        ; implicit-def: $vgpr21
                                        ; implicit-def: $vgpr38
                                        ; implicit-def: $vgpr40
                                        ; implicit-def: $vgpr42
                                        ; implicit-def: $vgpr43
                                        ; implicit-def: $vgpr45
                                        ; implicit-def: $vgpr47
                                        ; implicit-def: $vgpr49
                                        ; implicit-def: $vgpr44
                                        ; implicit-def: $vgpr46
                                        ; implicit-def: $vgpr48
                                        ; implicit-def: $vgpr50
                                        ; implicit-def: $vgpr51
                                        ; implicit-def: $vgpr52
                                        ; implicit-def: $vgpr53
                                        ; implicit-def: $vgpr54
	s_load_dwordx4 s[4:7], s[0:1], 0x38
	s_cbranch_execz .LBB86_91
; %bb.80:
	s_load_dword s2, s[0:1], 0x48
	s_load_dword s3, s[0:1], 0x20
	s_waitcnt lgkmcnt(0)
	s_bitcmp0_b32 s2, 0
	v_mov_b32_e32 v54, s3
	s_cbranch_scc1 .LBB86_82
; %bb.81:
	v_mov_b32_e32 v16, 0
	global_load_ushort v17, v16, s[14:15] offset:-2
	global_load_ushort v18, v16, s[4:5]
	s_waitcnt vmcnt(0)
	v_max_i16_e32 v54, v18, v17
.LBB86_82:
	v_max3_i16 v16, v36, v12, v30
	v_max3_i16 v16, v16, v13, v29
	;; [unrolled: 1-line block ×10, first 2 shown]
	v_mbcnt_hi_u32_b32 v16, -1, v35
	v_and_b32_e32 v19, 0xffff, v17
	v_and_b32_e32 v18, 15, v16
	v_cmp_eq_u32_e32 vcc, 0, v18
	v_mov_b32_dpp v19, v19 row_shr:1 row_mask:0xf bank_mask:0xf
	v_max_i16_e32 v19, v19, v17
	v_cndmask_b32_e32 v17, v19, v17, vcc
	v_and_b32_e32 v19, 0xffff, v17
	v_cmp_lt_u32_e32 vcc, 1, v18
	s_nop 0
	v_mov_b32_dpp v19, v19 row_shr:2 row_mask:0xf bank_mask:0xf
	v_max_i16_e32 v19, v19, v17
	v_cndmask_b32_e32 v17, v17, v19, vcc
	v_and_b32_e32 v19, 0xffff, v17
	v_cmp_lt_u32_e32 vcc, 3, v18
	s_nop 0
	;; [unrolled: 6-line block ×3, first 2 shown]
	v_mov_b32_dpp v19, v19 row_shr:8 row_mask:0xf bank_mask:0xf
	v_max_i16_e32 v19, v19, v17
	v_cndmask_b32_e32 v17, v17, v19, vcc
	v_and_b32_e32 v18, 0xffff, v17
	v_and_b32_e32 v19, 16, v16
	v_cmp_eq_u32_e32 vcc, 0, v19
	v_mov_b32_dpp v18, v18 row_bcast:15 row_mask:0xf bank_mask:0xf
	v_max_i16_e32 v18, v18, v17
	v_cndmask_b32_e32 v17, v18, v17, vcc
	v_and_b32_e32 v18, 0xffff, v17
	v_cmp_lt_u32_e32 vcc, 31, v16
	s_nop 0
	v_mov_b32_dpp v18, v18 row_bcast:31 row_mask:0xf bank_mask:0xf
	v_max_i16_e32 v18, v18, v17
	v_cndmask_b32_e32 v17, v17, v18, vcc
	v_cmp_eq_u32_e32 vcc, v33, v0
	s_and_saveexec_b64 s[2:3], vcc
	s_cbranch_execz .LBB86_84
; %bb.83:
	v_lshlrev_b32_e32 v18, 1, v32
	ds_write_b16 v18, v17
.LBB86_84:
	s_or_b64 exec, exec, s[2:3]
	v_cmp_gt_u32_e32 vcc, 4, v0
	s_waitcnt lgkmcnt(0)
	s_barrier
	s_and_saveexec_b64 s[2:3], vcc
	s_cbranch_execz .LBB86_86
; %bb.85:
	s_movk_i32 s4, 0xffd2
	v_mad_i32_i24 v18, v0, s4, v1
	ds_read_u16 v19, v18
	v_and_b32_e32 v20, 3, v16
	v_cmp_eq_u32_e32 vcc, 0, v20
	s_waitcnt lgkmcnt(0)
	v_and_b32_e32 v21, 0xffff, v19
	s_nop 1
	v_mov_b32_dpp v21, v21 row_shr:1 row_mask:0xf bank_mask:0xf
	v_max_i16_e32 v21, v21, v19
	v_cndmask_b32_e32 v19, v21, v19, vcc
	v_and_b32_e32 v21, 0xffff, v19
	v_cmp_lt_u32_e32 vcc, 1, v20
	s_nop 0
	v_mov_b32_dpp v21, v21 row_shr:2 row_mask:0xf bank_mask:0xf
	v_max_i16_e32 v21, v21, v19
	v_cndmask_b32_e32 v19, v19, v21, vcc
	ds_write_b16 v18, v19
.LBB86_86:
	s_or_b64 exec, exec, s[2:3]
	v_cmp_lt_u32_e32 vcc, 63, v0
	v_mov_b32_e32 v18, v54
	s_waitcnt lgkmcnt(0)
	s_barrier
	s_and_saveexec_b64 s[2:3], vcc
	s_cbranch_execz .LBB86_88
; %bb.87:
	v_lshl_add_u32 v18, v32, 1, -2
	ds_read_u16 v18, v18
	s_waitcnt lgkmcnt(0)
	v_max_i16_e32 v18, v54, v18
.LBB86_88:
	s_or_b64 exec, exec, s[2:3]
	v_add_u32_e32 v19, -1, v16
	v_and_b32_e32 v20, 64, v16
	v_cmp_lt_i32_e32 vcc, v19, v20
	v_max_i16_e32 v17, v18, v17
	s_nop 0
	v_cndmask_b32_e32 v19, v19, v16, vcc
	v_lshlrev_b32_e32 v19, 2, v19
	ds_bpermute_b32 v17, v19, v17
	v_cmp_eq_u32_e32 vcc, 0, v16
	s_waitcnt lgkmcnt(0)
	s_nop 0
	v_cndmask_b32_e32 v17, v17, v18, vcc
	v_cmp_eq_u32_e32 vcc, 0, v0
	s_nop 1
	v_cndmask_b32_e32 v16, v17, v54, vcc
	v_max_i16_e32 v16, v16, v10
	v_max_i16_sdwa v18, v16, v10 dst_sel:DWORD dst_unused:UNUSED_PAD src0_sel:DWORD src1_sel:WORD_1
	v_max_i16_e32 v19, v18, v11
	v_max_i16_e32 v20, v19, v31
	;; [unrolled: 1-line block ×20, first 2 shown]
	s_and_saveexec_b64 s[2:3], vcc
	s_cbranch_execz .LBB86_90
; %bb.89:
	v_mov_b32_e32 v2, 0
	ds_read_u16 v3, v2 offset:6
	v_mov_b32_e32 v17, v54
	s_waitcnt lgkmcnt(0)
	v_max_i16_e32 v3, v54, v3
	v_or_b32_e32 v3, 0x20000, v3
	global_store_dword v2, v3, s[16:17] offset:256 sc1
.LBB86_90:
	s_or_b64 exec, exec, s[2:3]
	v_max_i16_e32 v54, v53, v5
.LBB86_91:
	s_lshl_b64 s[2:3], s[12:13], 2
	s_add_u32 s2, s8, s2
	s_addc_u32 s3, s9, s3
	s_waitcnt lgkmcnt(0)
	s_mov_b64 s[4:5], -1
	s_and_b64 vcc, exec, s[10:11]
	v_lshlrev_b32_e32 v2, 2, v0
	s_barrier
	s_cbranch_vccz .LBB86_93
; %bb.92:
	s_mov_b32 s4, 0x5040100
	v_perm_b32 v7, v41, v39, s4
	v_perm_b32 v6, v37, v20, s4
	;; [unrolled: 1-line block ×4, first 2 shown]
	ds_write_b128 v1, v[4:7]
	v_perm_b32 v7, v49, v47, s4
	v_perm_b32 v6, v45, v43, s4
	v_perm_b32 v5, v42, v40, s4
	v_perm_b32 v4, v38, v21, s4
	ds_write_b128 v1, v[4:7] offset:16
	v_perm_b32 v7, v54, v53, s4
	v_perm_b32 v6, v52, v51, s4
	;; [unrolled: 1-line block ×4, first 2 shown]
	v_mov_b32_e32 v3, 0
	ds_write_b128 v1, v[4:7] offset:32
	s_waitcnt lgkmcnt(0)
	s_barrier
	ds_read_i16 v6, v14
	ds_read_i16 v7, v14 offset:512
	ds_read_i16 v8, v14 offset:1024
	;; [unrolled: 1-line block ×23, first 2 shown]
	v_lshl_add_u64 v[4:5], s[2:3], 0, v[2:3]
	s_waitcnt lgkmcnt(14)
	v_cvt_f32_i32_e32 v3, v6
	v_cvt_f32_i32_e32 v6, v7
	;; [unrolled: 1-line block ×4, first 2 shown]
	s_movk_i32 s4, 0x1000
	global_store_dword v2, v3, s[2:3]
	global_store_dword v2, v6, s[2:3] offset:1024
	global_store_dword v2, v7, s[2:3] offset:2048
	;; [unrolled: 1-line block ×3, first 2 shown]
	v_cvt_f32_i32_e32 v3, v10
	v_add_co_u32_e32 v6, vcc, s4, v4
	s_movk_i32 s4, 0x2000
	s_nop 0
	v_addc_co_u32_e32 v7, vcc, 0, v5, vcc
	v_cvt_f32_i32_e32 v10, v11
	v_add_co_u32_e32 v8, vcc, s4, v4
	v_cvt_f32_i32_e32 v11, v12
	s_nop 0
	v_addc_co_u32_e32 v9, vcc, 0, v5, vcc
	v_cvt_f32_i32_e32 v12, v13
	global_store_dword v[8:9], v3, off offset:-4096
	global_store_dword v[6:7], v10, off offset:1024
	global_store_dword v[6:7], v11, off offset:2048
	;; [unrolled: 1-line block ×3, first 2 shown]
	v_cvt_f32_i32_e32 v3, v22
	v_cvt_f32_i32_e32 v6, v23
	s_waitcnt lgkmcnt(13)
	v_cvt_f32_i32_e32 v7, v24
	s_waitcnt lgkmcnt(12)
	v_cvt_f32_i32_e32 v10, v25
	s_movk_i32 s4, 0x3000
	global_store_dword v[8:9], v3, off
	global_store_dword v[8:9], v6, off offset:1024
	global_store_dword v[8:9], v7, off offset:2048
	global_store_dword v[8:9], v10, off offset:3072
	s_waitcnt lgkmcnt(11)
	v_cvt_f32_i32_e32 v3, v26
	v_add_co_u32_e32 v6, vcc, s4, v4
	s_movk_i32 s4, 0x4000
	s_nop 0
	v_addc_co_u32_e32 v7, vcc, 0, v5, vcc
	s_waitcnt lgkmcnt(10)
	v_cvt_f32_i32_e32 v10, v27
	v_add_co_u32_e32 v8, vcc, s4, v4
	s_waitcnt lgkmcnt(9)
	v_cvt_f32_i32_e32 v11, v28
	v_addc_co_u32_e32 v9, vcc, 0, v5, vcc
	s_waitcnt lgkmcnt(8)
	v_cvt_f32_i32_e32 v12, v29
	global_store_dword v[8:9], v3, off offset:-4096
	global_store_dword v[6:7], v10, off offset:1024
	global_store_dword v[6:7], v11, off offset:2048
	;; [unrolled: 1-line block ×3, first 2 shown]
	s_waitcnt lgkmcnt(7)
	v_cvt_f32_i32_e32 v3, v30
	s_waitcnt lgkmcnt(6)
	v_cvt_f32_i32_e32 v6, v31
	s_waitcnt lgkmcnt(5)
	v_cvt_f32_i32_e32 v7, v32
	s_waitcnt lgkmcnt(4)
	v_cvt_f32_i32_e32 v10, v33
	global_store_dword v[8:9], v3, off
	global_store_dword v[8:9], v6, off offset:1024
	global_store_dword v[8:9], v7, off offset:2048
	global_store_dword v[8:9], v10, off offset:3072
	s_waitcnt lgkmcnt(3)
	v_cvt_f32_i32_e32 v3, v34
	s_waitcnt lgkmcnt(2)
	v_cvt_f32_i32_e32 v6, v35
	v_add_co_u32_e32 v4, vcc, 0x5000, v4
	s_waitcnt lgkmcnt(1)
	v_cvt_f32_i32_e32 v7, v36
	v_addc_co_u32_e32 v5, vcc, 0, v5, vcc
	s_waitcnt lgkmcnt(0)
	v_cvt_f32_i32_e32 v8, v14
	global_store_dword v[4:5], v3, off
	global_store_dword v[4:5], v6, off offset:1024
	global_store_dword v[4:5], v7, off offset:2048
	;; [unrolled: 1-line block ×3, first 2 shown]
	s_mov_b64 s[4:5], 0
.LBB86_93:
	s_andn2_b64 vcc, exec, s[4:5]
	s_cbranch_vccnz .LBB86_150
; %bb.94:
	s_mov_b32 s4, 0x5040100
	v_perm_b32 v7, v41, v39, s4
	v_perm_b32 v6, v37, v20, s4
	;; [unrolled: 1-line block ×4, first 2 shown]
	ds_write_b128 v1, v[4:7]
	v_perm_b32 v7, v49, v47, s4
	v_perm_b32 v6, v45, v43, s4
	;; [unrolled: 1-line block ×4, first 2 shown]
	ds_write_b128 v1, v[4:7] offset:16
	v_perm_b32 v7, v54, v53, s4
	v_perm_b32 v6, v52, v51, s4
	;; [unrolled: 1-line block ×4, first 2 shown]
	s_movk_i32 s4, 0xffd2
	ds_write_b128 v1, v[4:7] offset:32
	v_mad_i32_i24 v1, v0, s4, v1
	s_waitcnt lgkmcnt(0)
	s_barrier
	ds_read_u16 v7, v1
	ds_read_u16 v6, v1 offset:512
	ds_read_u16 v9, v1 offset:1024
	;; [unrolled: 1-line block ×23, first 2 shown]
	v_mov_b32_e32 v3, 0
	v_lshl_add_u64 v[4:5], s[2:3], 0, v[2:3]
	v_cmp_gt_u32_e32 vcc, s22, v0
	s_and_saveexec_b64 s[2:3], vcc
	s_cbranch_execz .LBB86_96
; %bb.95:
	s_waitcnt lgkmcnt(14)
	v_cvt_f32_i32_sdwa v1, sext(v7) dst_sel:DWORD dst_unused:UNUSED_PAD src0_sel:WORD_0
	global_store_dword v[4:5], v1, off
.LBB86_96:
	s_or_b64 exec, exec, s[2:3]
	v_or_b32_e32 v1, 0x100, v0
	v_cmp_gt_u32_e32 vcc, s22, v1
	s_and_saveexec_b64 s[2:3], vcc
	s_cbranch_execz .LBB86_98
; %bb.97:
	s_waitcnt lgkmcnt(14)
	v_cvt_f32_i32_sdwa v1, sext(v6) dst_sel:DWORD dst_unused:UNUSED_PAD src0_sel:WORD_0
	global_store_dword v[4:5], v1, off offset:1024
.LBB86_98:
	s_or_b64 exec, exec, s[2:3]
	v_or_b32_e32 v1, 0x200, v0
	v_cmp_gt_u32_e32 vcc, s22, v1
	s_and_saveexec_b64 s[2:3], vcc
	s_cbranch_execz .LBB86_100
; %bb.99:
	s_waitcnt lgkmcnt(14)
	v_cvt_f32_i32_sdwa v1, sext(v9) dst_sel:DWORD dst_unused:UNUSED_PAD src0_sel:WORD_0
	global_store_dword v[4:5], v1, off offset:2048
.LBB86_100:
	;; [unrolled: 10-line block ×3, first 2 shown]
	s_or_b64 exec, exec, s[2:3]
	v_or_b32_e32 v1, 0x400, v0
	v_cmp_gt_u32_e32 vcc, s22, v1
	s_and_saveexec_b64 s[2:3], vcc
	s_cbranch_execz .LBB86_104
; %bb.103:
	s_waitcnt lgkmcnt(14)
	v_cvt_f32_i32_sdwa v1, sext(v8) dst_sel:DWORD dst_unused:UNUSED_PAD src0_sel:WORD_0
	v_add_co_u32_e32 v32, vcc, 0x1000, v4
	s_nop 1
	v_addc_co_u32_e32 v33, vcc, 0, v5, vcc
	global_store_dword v[32:33], v1, off
.LBB86_104:
	s_or_b64 exec, exec, s[2:3]
	v_or_b32_e32 v1, 0x500, v0
	v_cmp_gt_u32_e32 vcc, s22, v1
	s_and_saveexec_b64 s[2:3], vcc
	s_cbranch_execz .LBB86_106
; %bb.105:
	s_waitcnt lgkmcnt(14)
	v_cvt_f32_i32_sdwa v1, sext(v11) dst_sel:DWORD dst_unused:UNUSED_PAD src0_sel:WORD_0
	v_add_co_u32_e32 v32, vcc, 0x1000, v4
	s_nop 1
	v_addc_co_u32_e32 v33, vcc, 0, v5, vcc
	global_store_dword v[32:33], v1, off offset:1024
.LBB86_106:
	s_or_b64 exec, exec, s[2:3]
	v_or_b32_e32 v1, 0x600, v0
	v_cmp_gt_u32_e32 vcc, s22, v1
	s_and_saveexec_b64 s[2:3], vcc
	s_cbranch_execz .LBB86_108
; %bb.107:
	s_waitcnt lgkmcnt(14)
	v_cvt_f32_i32_sdwa v1, sext(v20) dst_sel:DWORD dst_unused:UNUSED_PAD src0_sel:WORD_0
	v_add_co_u32_e32 v32, vcc, 0x1000, v4
	s_nop 1
	v_addc_co_u32_e32 v33, vcc, 0, v5, vcc
	global_store_dword v[32:33], v1, off offset:2048
.LBB86_108:
	s_or_b64 exec, exec, s[2:3]
	v_or_b32_e32 v1, 0x700, v0
	v_cmp_gt_u32_e32 vcc, s22, v1
	s_and_saveexec_b64 s[2:3], vcc
	s_cbranch_execz .LBB86_110
; %bb.109:
	s_waitcnt lgkmcnt(14)
	v_cvt_f32_i32_sdwa v1, sext(v18) dst_sel:DWORD dst_unused:UNUSED_PAD src0_sel:WORD_0
	v_add_co_u32_e32 v32, vcc, 0x1000, v4
	s_nop 1
	v_addc_co_u32_e32 v33, vcc, 0, v5, vcc
	global_store_dword v[32:33], v1, off offset:3072
.LBB86_110:
	s_or_b64 exec, exec, s[2:3]
	v_or_b32_e32 v1, 0x800, v0
	v_cmp_gt_u32_e32 vcc, s22, v1
	s_and_saveexec_b64 s[2:3], vcc
	s_cbranch_execz .LBB86_112
; %bb.111:
	s_waitcnt lgkmcnt(14)
	v_cvt_f32_i32_sdwa v1, sext(v19) dst_sel:DWORD dst_unused:UNUSED_PAD src0_sel:WORD_0
	v_add_co_u32_e32 v32, vcc, 0x2000, v4
	s_nop 1
	v_addc_co_u32_e32 v33, vcc, 0, v5, vcc
	global_store_dword v[32:33], v1, off
.LBB86_112:
	s_or_b64 exec, exec, s[2:3]
	v_or_b32_e32 v1, 0x900, v0
	v_cmp_gt_u32_e32 vcc, s22, v1
	s_and_saveexec_b64 s[2:3], vcc
	s_cbranch_execz .LBB86_114
; %bb.113:
	s_waitcnt lgkmcnt(14)
	v_cvt_f32_i32_sdwa v1, sext(v26) dst_sel:DWORD dst_unused:UNUSED_PAD src0_sel:WORD_0
	v_add_co_u32_e32 v32, vcc, 0x2000, v4
	s_nop 1
	v_addc_co_u32_e32 v33, vcc, 0, v5, vcc
	global_store_dword v[32:33], v1, off offset:1024
.LBB86_114:
	s_or_b64 exec, exec, s[2:3]
	v_or_b32_e32 v1, 0xa00, v0
	v_cmp_gt_u32_e32 vcc, s22, v1
	s_and_saveexec_b64 s[2:3], vcc
	s_cbranch_execz .LBB86_116
; %bb.115:
	s_waitcnt lgkmcnt(13)
	v_cvt_f32_i32_sdwa v1, sext(v23) dst_sel:DWORD dst_unused:UNUSED_PAD src0_sel:WORD_0
	v_add_co_u32_e32 v32, vcc, 0x2000, v4
	s_nop 1
	v_addc_co_u32_e32 v33, vcc, 0, v5, vcc
	global_store_dword v[32:33], v1, off offset:2048
.LBB86_116:
	s_or_b64 exec, exec, s[2:3]
	v_or_b32_e32 v1, 0xb00, v0
	v_cmp_gt_u32_e32 vcc, s22, v1
	s_and_saveexec_b64 s[2:3], vcc
	s_cbranch_execz .LBB86_118
; %bb.117:
	s_waitcnt lgkmcnt(12)
	v_cvt_f32_i32_sdwa v1, sext(v22) dst_sel:DWORD dst_unused:UNUSED_PAD src0_sel:WORD_0
	v_add_co_u32_e32 v32, vcc, 0x2000, v4
	s_nop 1
	v_addc_co_u32_e32 v33, vcc, 0, v5, vcc
	global_store_dword v[32:33], v1, off offset:3072
.LBB86_118:
	;; [unrolled: 52-line block ×5, first 2 shown]
	s_or_b64 exec, exec, s[2:3]
	s_load_dword s0, s[0:1], 0x48
	s_waitcnt lgkmcnt(0)
	s_bfe_u32 s0, s0, 0x10008
	s_cmp_eq_u32 s0, 0
	s_cbranch_scc1 .LBB86_150
; %bb.143:
	s_add_u32 s0, s22, -1
	s_addc_u32 s1, s23, -1
	s_add_u32 s2, 0, 0xaaaa0000
	s_addc_u32 s3, 0, 42
	s_add_i32 s3, s3, 0xaaaaa80
	s_mul_hi_u32 s9, s2, 0xffffffe8
	s_sub_i32 s9, s9, s2
	s_mul_i32 s10, s3, 0xffffffe8
	s_mul_i32 s4, s2, 0xffffffe8
	s_add_i32 s9, s9, s10
	s_mul_hi_u32 s5, s3, s4
	s_mul_i32 s8, s3, s4
	s_mul_i32 s11, s2, s9
	s_mul_hi_u32 s4, s2, s4
	s_mul_hi_u32 s10, s2, s9
	s_add_u32 s4, s4, s11
	s_addc_u32 s10, 0, s10
	s_add_u32 s4, s4, s8
	s_mul_hi_u32 s11, s3, s9
	s_addc_u32 s4, s10, s5
	s_addc_u32 s5, s11, 0
	s_mul_i32 s8, s3, s9
	s_add_u32 s4, s4, s8
	v_mov_b32_e32 v2, s4
	s_addc_u32 s5, 0, s5
	v_add_co_u32_e32 v2, vcc, s2, v2
	s_cmp_lg_u64 vcc, 0
	s_addc_u32 s2, s3, s5
	v_readfirstlane_b32 s5, v2
	s_mul_i32 s4, s0, s2
	s_mul_hi_u32 s8, s0, s5
	s_mul_hi_u32 s3, s0, s2
	s_add_u32 s4, s8, s4
	s_addc_u32 s3, 0, s3
	s_mul_hi_u32 s9, s1, s5
	s_mul_i32 s5, s1, s5
	s_add_u32 s4, s4, s5
	s_mul_hi_u32 s8, s1, s2
	s_addc_u32 s3, s3, s9
	s_addc_u32 s4, s8, 0
	s_mul_i32 s2, s1, s2
	s_add_u32 s2, s3, s2
	s_addc_u32 s3, 0, s4
	s_add_u32 s4, s2, 1
	s_addc_u32 s5, s3, 0
	s_add_u32 s8, s2, 2
	s_mul_i32 s10, s3, 24
	s_mul_hi_u32 s11, s2, 24
	s_addc_u32 s9, s3, 0
	s_add_i32 s11, s11, s10
	s_mul_i32 s10, s2, 24
	v_mov_b32_e32 v2, s10
	v_sub_co_u32_e32 v2, vcc, s0, v2
	s_cmp_lg_u64 vcc, 0
	v_mov_b32_e32 v1, v3
	s_subb_u32 s10, s1, s11
	v_subrev_co_u32_e32 v3, vcc, 24, v2
	s_cmp_lg_u64 vcc, 0
	s_subb_u32 s11, s10, 0
	v_readfirstlane_b32 s12, v3
	s_cmp_gt_u32 s12, 23
	s_cselect_b32 s12, -1, 0
	s_cmp_eq_u32 s11, 0
	s_cselect_b32 s11, s12, -1
	s_cmp_lg_u32 s11, 0
	s_cselect_b32 s4, s8, s4
	v_readfirstlane_b32 s8, v2
	s_cselect_b32 s5, s9, s5
	s_cmp_gt_u32 s8, 23
	s_cselect_b32 s8, -1, 0
	s_cmp_eq_u32 s10, 0
	s_cselect_b32 s8, s8, -1
	s_cmp_lg_u32 s8, 0
	s_cselect_b32 s3, s5, s3
	s_cselect_b32 s2, s4, s2
	v_cmp_eq_u64_e32 vcc, s[2:3], v[0:1]
	s_and_saveexec_b64 s[2:3], vcc
	s_cbranch_execz .LBB86_150
; %bb.144:
	v_mul_hi_u32_u24_e32 v1, 24, v0
	v_mov_b32_e32 v2, s1
	v_sub_co_u32_e32 v0, vcc, s0, v15
	s_mov_b64 s[0:1], 0
	s_nop 0
	v_subb_co_u32_e32 v1, vcc, v2, v1, vcc
	v_cmp_lt_i64_e32 vcc, 11, v[0:1]
	s_mov_b64 s[10:11], 0
	s_mov_b64 s[8:9], 0
	;; [unrolled: 1-line block ×3, first 2 shown]
	s_and_saveexec_b64 s[2:3], vcc
	s_xor_b64 s[2:3], exec, s[2:3]
	s_cbranch_execnz .LBB86_151
; %bb.145:
	s_andn2_saveexec_b64 s[2:3], s[2:3]
	s_cbranch_execnz .LBB86_196
.LBB86_146:
	s_or_b64 exec, exec, s[2:3]
	s_and_saveexec_b64 s[2:3], s[10:11]
	s_cbranch_execnz .LBB86_213
.LBB86_147:
	s_or_b64 exec, exec, s[2:3]
	s_and_saveexec_b64 s[2:3], s[8:9]
	s_cbranch_execnz .LBB86_214
.LBB86_148:
	s_or_b64 exec, exec, s[2:3]
	s_and_saveexec_b64 s[2:3], s[4:5]
	s_xor_b64 s[2:3], exec, s[2:3]
	s_cbranch_execnz .LBB86_215
.LBB86_149:
	s_or_b64 exec, exec, s[2:3]
	s_and_b64 exec, exec, s[0:1]
	s_cbranch_execnz .LBB86_216
.LBB86_150:
	s_endpgm
.LBB86_151:
	v_cmp_lt_i64_e32 vcc, 17, v[0:1]
	s_and_saveexec_b64 s[12:13], vcc
	s_xor_b64 s[12:13], exec, s[12:13]
	s_cbranch_execz .LBB86_173
; %bb.152:
	v_cmp_lt_i64_e32 vcc, 20, v[0:1]
                                        ; implicit-def: $vgpr12
	s_and_saveexec_b64 s[14:15], vcc
	s_xor_b64 s[14:15], exec, s[14:15]
	s_cbranch_execz .LBB86_162
; %bb.153:
	v_cmp_lt_i64_e32 vcc, 21, v[0:1]
	s_mov_b64 s[16:17], 0
                                        ; implicit-def: $vgpr12
	s_and_saveexec_b64 s[4:5], vcc
	s_xor_b64 s[4:5], exec, s[4:5]
	s_cbranch_execz .LBB86_159
; %bb.154:
	v_cmp_lt_i64_e32 vcc, 22, v[0:1]
	s_and_saveexec_b64 s[16:17], vcc
	s_xor_b64 s[16:17], exec, s[16:17]
	s_cbranch_execz .LBB86_156
; %bb.155:
	v_mov_b32_e32 v2, 0
	global_store_short v2, v30, s[6:7]
                                        ; implicit-def: $vgpr29
.LBB86_156:
	s_or_saveexec_b64 s[16:17], s[16:17]
	s_mov_b64 s[18:19], 0
	s_xor_b64 exec, exec, s[16:17]
; %bb.157:
	s_mov_b64 s[18:19], exec
; %bb.158:
	s_or_b64 exec, exec, s[16:17]
	s_and_b64 s[16:17], s[18:19], exec
	v_mov_b32_e32 v12, v29
                                        ; implicit-def: $vgpr13
.LBB86_159:
	s_andn2_saveexec_b64 s[4:5], s[4:5]
; %bb.160:
	s_mov_b64 s[8:9], exec
                                        ; implicit-def: $vgpr12
; %bb.161:
	s_or_b64 exec, exec, s[4:5]
	s_and_b64 s[4:5], s[16:17], exec
	s_and_b64 s[8:9], s[8:9], exec
                                        ; implicit-def: $vgpr27
                                        ; implicit-def: $vgpr14
                                        ; implicit-def: $vgpr24
.LBB86_162:
	s_andn2_saveexec_b64 s[14:15], s[14:15]
	s_cbranch_execz .LBB86_172
; %bb.163:
	v_cmp_lt_i64_e32 vcc, 18, v[0:1]
	s_mov_b64 s[16:17], 0
	s_and_saveexec_b64 s[10:11], vcc
	s_xor_b64 s[10:11], exec, s[10:11]
	s_cbranch_execz .LBB86_169
; %bb.164:
	v_cmp_lt_i64_e32 vcc, 19, v[0:1]
	s_and_saveexec_b64 s[18:19], vcc
	s_xor_b64 s[18:19], exec, s[18:19]
; %bb.165:
	s_mov_b64 s[16:17], exec
                                        ; implicit-def: $vgpr24
; %bb.166:
	s_andn2_saveexec_b64 s[18:19], s[18:19]
	s_cbranch_execz .LBB86_168
; %bb.167:
	v_mov_b32_e32 v2, 0
	global_store_short v2, v24, s[6:7]
                                        ; implicit-def: $vgpr14
.LBB86_168:
	s_or_b64 exec, exec, s[18:19]
	s_and_b64 s[16:17], s[16:17], exec
                                        ; implicit-def: $vgpr27
.LBB86_169:
	s_andn2_saveexec_b64 s[10:11], s[10:11]
	s_cbranch_execz .LBB86_171
; %bb.170:
	v_mov_b32_e32 v2, 0
	global_store_short v2, v27, s[6:7]
                                        ; implicit-def: $vgpr14
.LBB86_171:
	s_or_b64 exec, exec, s[10:11]
	s_and_b64 s[10:11], s[16:17], exec
                                        ; implicit-def: $vgpr12
                                        ; implicit-def: $vgpr13
.LBB86_172:
	s_or_b64 exec, exec, s[14:15]
	s_and_b64 s[4:5], s[4:5], exec
	s_and_b64 s[8:9], s[8:9], exec
	;; [unrolled: 1-line block ×3, first 2 shown]
                                        ; implicit-def: $vgpr21
                                        ; implicit-def: $vgpr16
                                        ; implicit-def: $vgpr17
                                        ; implicit-def: $vgpr25
                                        ; implicit-def: $vgpr28
.LBB86_173:
	s_andn2_saveexec_b64 s[12:13], s[12:13]
	s_cbranch_execz .LBB86_195
; %bb.174:
	v_cmp_lt_i64_e32 vcc, 14, v[0:1]
	s_mov_b64 s[14:15], s[4:5]
	s_and_saveexec_b64 s[16:17], vcc
	s_xor_b64 s[16:17], exec, s[16:17]
	s_cbranch_execz .LBB86_184
; %bb.175:
	v_cmp_lt_i64_e32 vcc, 15, v[0:1]
	s_and_saveexec_b64 s[14:15], vcc
	s_xor_b64 s[14:15], exec, s[14:15]
	s_cbranch_execz .LBB86_181
; %bb.176:
	v_cmp_lt_i64_e32 vcc, 16, v[0:1]
	s_and_saveexec_b64 s[18:19], vcc
	s_xor_b64 s[18:19], exec, s[18:19]
	s_cbranch_execz .LBB86_178
; %bb.177:
	v_mov_b32_e32 v2, 0
	global_store_short v2, v28, s[6:7]
                                        ; implicit-def: $vgpr25
.LBB86_178:
	s_andn2_saveexec_b64 s[18:19], s[18:19]
	s_cbranch_execz .LBB86_180
; %bb.179:
	v_mov_b32_e32 v2, 0
	global_store_short v2, v25, s[6:7]
.LBB86_180:
	s_or_b64 exec, exec, s[18:19]
                                        ; implicit-def: $vgpr12
.LBB86_181:
	s_or_saveexec_b64 s[14:15], s[14:15]
	s_mov_b64 s[18:19], s[4:5]
	s_xor_b64 exec, exec, s[14:15]
; %bb.182:
	s_or_b64 s[18:19], s[4:5], exec
; %bb.183:
	s_or_b64 exec, exec, s[14:15]
	s_andn2_b64 s[14:15], s[4:5], exec
	s_and_b64 s[18:19], s[18:19], exec
	s_or_b64 s[14:15], s[14:15], s[18:19]
                                        ; implicit-def: $vgpr21
                                        ; implicit-def: $vgpr16
                                        ; implicit-def: $vgpr17
.LBB86_184:
	s_or_saveexec_b64 s[16:17], s[16:17]
	s_mov_b64 s[18:19], s[8:9]
                                        ; implicit-def: $vgpr13
	s_xor_b64 exec, exec, s[16:17]
	s_cbranch_execz .LBB86_194
; %bb.185:
	v_cmp_lt_i64_e32 vcc, 12, v[0:1]
	s_mov_b64 s[20:21], s[8:9]
	s_mov_b64 s[22:23], s[14:15]
                                        ; implicit-def: $vgpr12
                                        ; implicit-def: $vgpr13
	s_and_saveexec_b64 s[18:19], vcc
	s_xor_b64 s[18:19], exec, s[18:19]
	s_cbranch_execz .LBB86_191
; %bb.186:
	v_cmp_lt_i64_e32 vcc, 13, v[0:1]
	s_mov_b64 s[20:21], s[14:15]
	s_and_saveexec_b64 s[22:23], vcc
	s_xor_b64 s[22:23], exec, s[22:23]
; %bb.187:
	s_or_b64 s[20:21], s[14:15], exec
                                        ; implicit-def: $vgpr16
; %bb.188:
	s_or_saveexec_b64 s[22:23], s[22:23]
	s_mov_b64 s[24:25], s[8:9]
	s_xor_b64 exec, exec, s[22:23]
; %bb.189:
	s_or_b64 s[24:25], s[8:9], exec
                                        ; implicit-def: $vgpr17
; %bb.190:
	s_or_b64 exec, exec, s[22:23]
	s_andn2_b64 s[22:23], s[14:15], exec
	s_and_b64 s[20:21], s[20:21], exec
	s_or_b64 s[22:23], s[22:23], s[20:21]
	s_andn2_b64 s[20:21], s[8:9], exec
	s_and_b64 s[24:25], s[24:25], exec
	s_or_b64 s[20:21], s[20:21], s[24:25]
	v_mov_b32_e32 v12, v17
	v_mov_b32_e32 v13, v16
                                        ; implicit-def: $vgpr21
.LBB86_191:
	s_andn2_saveexec_b64 s[18:19], s[18:19]
; %bb.192:
	s_or_b64 s[20:21], s[20:21], exec
                                        ; implicit-def: $vgpr12
	v_mov_b32_e32 v13, v21
; %bb.193:
	s_or_b64 exec, exec, s[18:19]
	s_andn2_b64 s[14:15], s[14:15], exec
	s_and_b64 s[18:19], s[22:23], exec
	s_or_b64 s[14:15], s[14:15], s[18:19]
	s_andn2_b64 s[18:19], s[8:9], exec
	s_and_b64 s[20:21], s[20:21], exec
	s_or_b64 s[18:19], s[18:19], s[20:21]
.LBB86_194:
	s_or_b64 exec, exec, s[16:17]
	s_andn2_b64 s[4:5], s[4:5], exec
	s_and_b64 s[14:15], s[14:15], exec
	s_or_b64 s[4:5], s[4:5], s[14:15]
	s_andn2_b64 s[8:9], s[8:9], exec
	s_and_b64 s[14:15], s[18:19], exec
	s_or_b64 s[8:9], s[8:9], s[14:15]
                                        ; implicit-def: $vgpr14
.LBB86_195:
	s_or_b64 exec, exec, s[12:13]
	s_and_b64 s[4:5], s[4:5], exec
	s_and_b64 s[8:9], s[8:9], exec
	;; [unrolled: 1-line block ×3, first 2 shown]
                                        ; implicit-def: $vgpr20
                                        ; implicit-def: $vgpr18
                                        ; implicit-def: $vgpr19
                                        ; implicit-def: $vgpr26
                                        ; implicit-def: $vgpr23
                                        ; implicit-def: $vgpr22
	s_andn2_saveexec_b64 s[2:3], s[2:3]
	s_cbranch_execz .LBB86_146
.LBB86_196:
	v_cmp_lt_i64_e32 vcc, 5, v[0:1]
	s_mov_b64 s[14:15], -1
	s_mov_b64 s[12:13], s[10:11]
	s_mov_b64 s[16:17], s[8:9]
	;; [unrolled: 1-line block ×3, first 2 shown]
                                        ; implicit-def: $vgpr12
                                        ; implicit-def: $vgpr13
                                        ; implicit-def: $vgpr14
	s_and_saveexec_b64 s[0:1], vcc
	s_cbranch_execz .LBB86_212
; %bb.197:
	v_cmp_lt_i64_e32 vcc, 8, v[0:1]
	s_mov_b64 s[12:13], s[10:11]
                                        ; implicit-def: $vgpr14
	s_and_saveexec_b64 s[14:15], vcc
	s_xor_b64 s[14:15], exec, s[14:15]
	s_cbranch_execz .LBB86_207
; %bb.198:
	v_cmp_lt_i64_e32 vcc, 9, v[0:1]
	s_and_saveexec_b64 s[12:13], vcc
	s_xor_b64 s[12:13], exec, s[12:13]
	s_cbranch_execz .LBB86_204
; %bb.199:
	v_cmp_lt_i64_e32 vcc, 10, v[0:1]
	s_and_saveexec_b64 s[16:17], vcc
	s_xor_b64 s[16:17], exec, s[16:17]
; %bb.200:
                                        ; implicit-def: $vgpr23
; %bb.201:
	s_andn2_saveexec_b64 s[16:17], s[16:17]
; %bb.202:
	v_mov_b32_e32 v22, v23
; %bb.203:
	s_or_b64 exec, exec, s[16:17]
                                        ; implicit-def: $vgpr26
.LBB86_204:
	s_andn2_saveexec_b64 s[12:13], s[12:13]
; %bb.205:
	v_mov_b32_e32 v22, v26
; %bb.206:
	s_or_b64 exec, exec, s[12:13]
	s_or_b64 s[12:13], s[10:11], exec
	v_mov_b32_e32 v14, v22
                                        ; implicit-def: $vgpr20
                                        ; implicit-def: $vgpr18
                                        ; implicit-def: $vgpr19
.LBB86_207:
	s_or_saveexec_b64 s[14:15], s[14:15]
	s_mov_b64 s[16:17], s[8:9]
	s_mov_b64 s[20:21], s[4:5]
                                        ; implicit-def: $vgpr12
                                        ; implicit-def: $vgpr13
	s_xor_b64 exec, exec, s[14:15]
	s_cbranch_execz .LBB86_211
; %bb.208:
	v_cmp_lt_i64_e32 vcc, 6, v[0:1]
	s_mov_b64 s[20:21], -1
	s_mov_b64 s[18:19], s[12:13]
	s_mov_b64 s[16:17], s[8:9]
	s_and_saveexec_b64 s[22:23], vcc
; %bb.209:
	v_cmp_lt_i64_e32 vcc, 7, v[0:1]
	s_andn2_b64 s[18:19], s[12:13], exec
	s_and_b64 s[24:25], vcc, exec
	s_xor_b64 s[20:21], exec, -1
	s_or_b64 s[16:17], s[8:9], exec
	s_or_b64 s[18:19], s[18:19], s[24:25]
                                        ; implicit-def: $vgpr20
; %bb.210:
	s_or_b64 exec, exec, s[22:23]
	s_andn2_b64 s[22:23], s[4:5], exec
	s_and_b64 s[20:21], s[20:21], exec
	s_or_b64 s[20:21], s[22:23], s[20:21]
	s_andn2_b64 s[22:23], s[8:9], exec
	s_and_b64 s[16:17], s[16:17], exec
	s_andn2_b64 s[12:13], s[12:13], exec
	s_and_b64 s[18:19], s[18:19], exec
	s_or_b64 s[16:17], s[22:23], s[16:17]
	s_or_b64 s[12:13], s[12:13], s[18:19]
	v_mov_b32_e32 v12, v20
	v_mov_b32_e32 v13, v18
	;; [unrolled: 1-line block ×3, first 2 shown]
.LBB86_211:
	s_or_b64 exec, exec, s[14:15]
	s_andn2_b64 s[18:19], s[4:5], exec
	s_and_b64 s[20:21], s[20:21], exec
	s_or_b64 s[18:19], s[18:19], s[20:21]
	s_andn2_b64 s[20:21], s[8:9], exec
	s_and_b64 s[16:17], s[16:17], exec
	s_or_b64 s[16:17], s[20:21], s[16:17]
	s_andn2_b64 s[20:21], s[10:11], exec
	s_and_b64 s[12:13], s[12:13], exec
	s_xor_b64 s[14:15], exec, -1
	s_or_b64 s[12:13], s[20:21], s[12:13]
.LBB86_212:
	s_or_b64 exec, exec, s[0:1]
	s_and_b64 s[0:1], s[14:15], exec
	s_andn2_b64 s[4:5], s[4:5], exec
	s_and_b64 s[14:15], s[18:19], exec
	s_or_b64 s[4:5], s[4:5], s[14:15]
	s_andn2_b64 s[8:9], s[8:9], exec
	s_and_b64 s[14:15], s[16:17], exec
	s_andn2_b64 s[10:11], s[10:11], exec
	s_and_b64 s[12:13], s[12:13], exec
	s_or_b64 s[8:9], s[8:9], s[14:15]
	s_or_b64 s[10:11], s[10:11], s[12:13]
	s_or_b64 exec, exec, s[2:3]
	s_and_saveexec_b64 s[2:3], s[10:11]
	s_cbranch_execz .LBB86_147
.LBB86_213:
	v_mov_b32_e32 v2, 0
	s_andn2_b64 s[8:9], s[8:9], exec
	global_store_short v2, v14, s[6:7]
                                        ; implicit-def: $vgpr12
                                        ; implicit-def: $vgpr13
	s_or_b64 exec, exec, s[2:3]
	s_and_saveexec_b64 s[2:3], s[8:9]
	s_cbranch_execz .LBB86_148
.LBB86_214:
	v_mov_b32_e32 v2, 0
	global_store_short v2, v13, s[6:7]
                                        ; implicit-def: $vgpr12
	s_or_b64 exec, exec, s[2:3]
	s_and_saveexec_b64 s[2:3], s[4:5]
	s_xor_b64 s[2:3], exec, s[2:3]
	s_cbranch_execz .LBB86_149
.LBB86_215:
	v_mov_b32_e32 v2, 0
	global_store_short v2, v12, s[6:7]
	s_or_b64 exec, exec, s[2:3]
	s_and_b64 exec, exec, s[0:1]
	s_cbranch_execz .LBB86_150
.LBB86_216:
	v_cmp_lt_i64_e32 vcc, 2, v[0:1]
	s_and_saveexec_b64 s[0:1], vcc
	s_xor_b64 s[0:1], exec, s[0:1]
	s_cbranch_execz .LBB86_226
; %bb.217:
	v_cmp_lt_i64_e32 vcc, 3, v[0:1]
	s_and_saveexec_b64 s[2:3], vcc
	s_xor_b64 s[2:3], exec, s[2:3]
	s_cbranch_execz .LBB86_223
; %bb.218:
	;; [unrolled: 5-line block ×3, first 2 shown]
	v_mov_b32_e32 v0, 0
	global_store_short v0, v11, s[6:7]
                                        ; implicit-def: $vgpr8
.LBB86_220:
	s_andn2_saveexec_b64 s[4:5], s[4:5]
	s_cbranch_execz .LBB86_222
; %bb.221:
	v_mov_b32_e32 v0, 0
	global_store_short v0, v8, s[6:7]
.LBB86_222:
	s_or_b64 exec, exec, s[4:5]
                                        ; implicit-def: $vgpr10
.LBB86_223:
	s_andn2_saveexec_b64 s[2:3], s[2:3]
	s_cbranch_execz .LBB86_225
; %bb.224:
	v_mov_b32_e32 v0, 0
	global_store_short v0, v10, s[6:7]
.LBB86_225:
	s_or_b64 exec, exec, s[2:3]
                                        ; implicit-def: $vgpr0_vgpr1
                                        ; implicit-def: $vgpr9
                                        ; implicit-def: $vgpr6
                                        ; implicit-def: $vgpr7
.LBB86_226:
	s_andn2_saveexec_b64 s[0:1], s[0:1]
	s_cbranch_execz .LBB86_150
; %bb.227:
	v_cmp_lt_i64_e32 vcc, 1, v[0:1]
	s_and_saveexec_b64 s[0:1], vcc
	s_xor_b64 s[0:1], exec, s[0:1]
	s_cbranch_execz .LBB86_229
; %bb.228:
	v_mov_b32_e32 v0, 0
	global_store_short v0, v9, s[6:7]
                                        ; implicit-def: $vgpr6
                                        ; implicit-def: $vgpr0_vgpr1
                                        ; implicit-def: $vgpr7
.LBB86_229:
	s_andn2_saveexec_b64 s[0:1], s[0:1]
	s_cbranch_execz .LBB86_150
; %bb.230:
	v_cmp_ne_u64_e32 vcc, 1, v[0:1]
	s_and_saveexec_b64 s[0:1], vcc
	s_xor_b64 s[0:1], exec, s[0:1]
	s_cbranch_execz .LBB86_232
; %bb.231:
	v_mov_b32_e32 v0, 0
	global_store_short v0, v7, s[6:7]
                                        ; implicit-def: $vgpr6
.LBB86_232:
	s_andn2_saveexec_b64 s[0:1], s[0:1]
	s_cbranch_execz .LBB86_150
; %bb.233:
	v_mov_b32_e32 v0, 0
	global_store_short v0, v6, s[6:7]
	s_endpgm
	.section	.rodata,"a",@progbits
	.p2align	6, 0x0
	.amdhsa_kernel _ZN7rocprim6detail20lookback_scan_kernelILNS0_25lookback_scan_determinismE0ELb1ENS0_19wrapped_scan_configINS_14default_configEsEEN6hipcub22TransformInputIteratorIsNS6_6CastOpIsEEPslEEPfNS6_3MaxEssNS0_19lookback_scan_stateIsLb0ELb1EEEEEvT2_T3_mT5_T4_T7_jPT6_SM_bb
		.amdhsa_group_segment_fixed_size 12288
		.amdhsa_private_segment_fixed_size 0
		.amdhsa_kernarg_size 76
		.amdhsa_user_sgpr_count 2
		.amdhsa_user_sgpr_dispatch_ptr 0
		.amdhsa_user_sgpr_queue_ptr 0
		.amdhsa_user_sgpr_kernarg_segment_ptr 1
		.amdhsa_user_sgpr_dispatch_id 0
		.amdhsa_user_sgpr_kernarg_preload_length 0
		.amdhsa_user_sgpr_kernarg_preload_offset 0
		.amdhsa_user_sgpr_private_segment_size 0
		.amdhsa_uses_dynamic_stack 0
		.amdhsa_enable_private_segment 0
		.amdhsa_system_sgpr_workgroup_id_x 1
		.amdhsa_system_sgpr_workgroup_id_y 0
		.amdhsa_system_sgpr_workgroup_id_z 0
		.amdhsa_system_sgpr_workgroup_info 0
		.amdhsa_system_vgpr_workitem_id 0
		.amdhsa_next_free_vgpr 58
		.amdhsa_next_free_sgpr 26
		.amdhsa_accum_offset 60
		.amdhsa_reserve_vcc 1
		.amdhsa_float_round_mode_32 0
		.amdhsa_float_round_mode_16_64 0
		.amdhsa_float_denorm_mode_32 3
		.amdhsa_float_denorm_mode_16_64 3
		.amdhsa_dx10_clamp 1
		.amdhsa_ieee_mode 1
		.amdhsa_fp16_overflow 0
		.amdhsa_tg_split 0
		.amdhsa_exception_fp_ieee_invalid_op 0
		.amdhsa_exception_fp_denorm_src 0
		.amdhsa_exception_fp_ieee_div_zero 0
		.amdhsa_exception_fp_ieee_overflow 0
		.amdhsa_exception_fp_ieee_underflow 0
		.amdhsa_exception_fp_ieee_inexact 0
		.amdhsa_exception_int_div_zero 0
	.end_amdhsa_kernel
	.section	.text._ZN7rocprim6detail20lookback_scan_kernelILNS0_25lookback_scan_determinismE0ELb1ENS0_19wrapped_scan_configINS_14default_configEsEEN6hipcub22TransformInputIteratorIsNS6_6CastOpIsEEPslEEPfNS6_3MaxEssNS0_19lookback_scan_stateIsLb0ELb1EEEEEvT2_T3_mT5_T4_T7_jPT6_SM_bb,"axG",@progbits,_ZN7rocprim6detail20lookback_scan_kernelILNS0_25lookback_scan_determinismE0ELb1ENS0_19wrapped_scan_configINS_14default_configEsEEN6hipcub22TransformInputIteratorIsNS6_6CastOpIsEEPslEEPfNS6_3MaxEssNS0_19lookback_scan_stateIsLb0ELb1EEEEEvT2_T3_mT5_T4_T7_jPT6_SM_bb,comdat
.Lfunc_end86:
	.size	_ZN7rocprim6detail20lookback_scan_kernelILNS0_25lookback_scan_determinismE0ELb1ENS0_19wrapped_scan_configINS_14default_configEsEEN6hipcub22TransformInputIteratorIsNS6_6CastOpIsEEPslEEPfNS6_3MaxEssNS0_19lookback_scan_stateIsLb0ELb1EEEEEvT2_T3_mT5_T4_T7_jPT6_SM_bb, .Lfunc_end86-_ZN7rocprim6detail20lookback_scan_kernelILNS0_25lookback_scan_determinismE0ELb1ENS0_19wrapped_scan_configINS_14default_configEsEEN6hipcub22TransformInputIteratorIsNS6_6CastOpIsEEPslEEPfNS6_3MaxEssNS0_19lookback_scan_stateIsLb0ELb1EEEEEvT2_T3_mT5_T4_T7_jPT6_SM_bb
                                        ; -- End function
	.section	.AMDGPU.csdata,"",@progbits
; Kernel info:
; codeLenInByte = 8788
; NumSgprs: 32
; NumVgprs: 58
; NumAgprs: 0
; TotalNumVgprs: 58
; ScratchSize: 0
; MemoryBound: 0
; FloatMode: 240
; IeeeMode: 1
; LDSByteSize: 12288 bytes/workgroup (compile time only)
; SGPRBlocks: 3
; VGPRBlocks: 7
; NumSGPRsForWavesPerEU: 32
; NumVGPRsForWavesPerEU: 58
; AccumOffset: 60
; Occupancy: 5
; WaveLimiterHint : 1
; COMPUTE_PGM_RSRC2:SCRATCH_EN: 0
; COMPUTE_PGM_RSRC2:USER_SGPR: 2
; COMPUTE_PGM_RSRC2:TRAP_HANDLER: 0
; COMPUTE_PGM_RSRC2:TGID_X_EN: 1
; COMPUTE_PGM_RSRC2:TGID_Y_EN: 0
; COMPUTE_PGM_RSRC2:TGID_Z_EN: 0
; COMPUTE_PGM_RSRC2:TIDIG_COMP_CNT: 0
; COMPUTE_PGM_RSRC3_GFX90A:ACCUM_OFFSET: 14
; COMPUTE_PGM_RSRC3_GFX90A:TG_SPLIT: 0
	.section	.text._ZN7rocprim6detail18single_scan_kernelILb1ENS0_19wrapped_scan_configINS_14default_configEsEEN6hipcub22TransformInputIteratorIsNS5_6CastOpIsEEPslEEPfNS5_3MaxEssEEvT1_mT4_T2_T3_,"axG",@progbits,_ZN7rocprim6detail18single_scan_kernelILb1ENS0_19wrapped_scan_configINS_14default_configEsEEN6hipcub22TransformInputIteratorIsNS5_6CastOpIsEEPslEEPfNS5_3MaxEssEEvT1_mT4_T2_T3_,comdat
	.protected	_ZN7rocprim6detail18single_scan_kernelILb1ENS0_19wrapped_scan_configINS_14default_configEsEEN6hipcub22TransformInputIteratorIsNS5_6CastOpIsEEPslEEPfNS5_3MaxEssEEvT1_mT4_T2_T3_ ; -- Begin function _ZN7rocprim6detail18single_scan_kernelILb1ENS0_19wrapped_scan_configINS_14default_configEsEEN6hipcub22TransformInputIteratorIsNS5_6CastOpIsEEPslEEPfNS5_3MaxEssEEvT1_mT4_T2_T3_
	.globl	_ZN7rocprim6detail18single_scan_kernelILb1ENS0_19wrapped_scan_configINS_14default_configEsEEN6hipcub22TransformInputIteratorIsNS5_6CastOpIsEEPslEEPfNS5_3MaxEssEEvT1_mT4_T2_T3_
	.p2align	8
	.type	_ZN7rocprim6detail18single_scan_kernelILb1ENS0_19wrapped_scan_configINS_14default_configEsEEN6hipcub22TransformInputIteratorIsNS5_6CastOpIsEEPslEEPfNS5_3MaxEssEEvT1_mT4_T2_T3_,@function
_ZN7rocprim6detail18single_scan_kernelILb1ENS0_19wrapped_scan_configINS_14default_configEsEEN6hipcub22TransformInputIteratorIsNS5_6CastOpIsEEPslEEPfNS5_3MaxEssEEvT1_mT4_T2_T3_: ; @_ZN7rocprim6detail18single_scan_kernelILb1ENS0_19wrapped_scan_configINS_14default_configEsEEN6hipcub22TransformInputIteratorIsNS5_6CastOpIsEEPslEEPfNS5_3MaxEssEEvT1_mT4_T2_T3_
; %bb.0:
	s_load_dwordx2 s[2:3], s[0:1], 0x0
	s_load_dword s33, s[0:1], 0x10
	v_mov_b32_e32 v15, 0
	v_lshlrev_b32_e32 v14, 1, v0
	s_waitcnt lgkmcnt(0)
	global_load_ushort v1, v15, s[2:3]
	v_lshl_add_u64 v[2:3], s[2:3], 0, v[14:15]
	v_cmp_gt_u32_e64 s[50:51], s33, v0
	s_waitcnt vmcnt(0)
	v_mov_b32_e32 v4, v1
	s_and_saveexec_b64 s[2:3], s[50:51]
	s_cbranch_execz .LBB87_2
; %bb.1:
	global_load_ushort v4, v[2:3], off
.LBB87_2:
	s_or_b64 exec, exec, s[2:3]
	v_or_b32_e32 v5, 0x100, v0
	v_cmp_gt_u32_e64 s[2:3], s33, v5
	v_mov_b32_e32 v5, v1
	s_and_saveexec_b64 s[4:5], s[2:3]
	s_cbranch_execz .LBB87_4
; %bb.3:
	global_load_ushort v5, v[2:3], off offset:512
.LBB87_4:
	s_or_b64 exec, exec, s[4:5]
	v_or_b32_e32 v6, 0x200, v0
	v_cmp_gt_u32_e64 s[4:5], s33, v6
	v_mov_b32_e32 v6, v1
	s_and_saveexec_b64 s[6:7], s[4:5]
	s_cbranch_execz .LBB87_6
; %bb.5:
	global_load_ushort v6, v[2:3], off offset:1024
.LBB87_6:
	;; [unrolled: 9-line block ×7, first 2 shown]
	s_or_b64 exec, exec, s[6:7]
	v_or_b32_e32 v12, 0x800, v0
	v_cmp_gt_u32_e64 s[6:7], s33, v12
	v_mov_b32_e32 v12, v1
	s_and_saveexec_b64 s[14:15], s[6:7]
	s_cbranch_execz .LBB87_18
; %bb.17:
	v_add_co_u32_e32 v12, vcc, 0x1000, v2
	s_nop 1
	v_addc_co_u32_e32 v13, vcc, 0, v3, vcc
	global_load_ushort v12, v[12:13], off
.LBB87_18:
	s_or_b64 exec, exec, s[14:15]
	v_or_b32_e32 v13, 0x900, v0
	v_cmp_gt_u32_e64 s[14:15], s33, v13
	v_mov_b32_e32 v13, v1
	s_and_saveexec_b64 s[20:21], s[14:15]
	s_cbranch_execz .LBB87_20
; %bb.19:
	v_add_co_u32_e32 v16, vcc, 0x1000, v2
	s_nop 1
	v_addc_co_u32_e32 v17, vcc, 0, v3, vcc
	global_load_ushort v13, v[16:17], off offset:512
.LBB87_20:
	s_or_b64 exec, exec, s[20:21]
	v_or_b32_e32 v15, 0xa00, v0
	v_cmp_gt_u32_e64 s[20:21], s33, v15
	v_mov_b32_e32 v15, v1
	s_and_saveexec_b64 s[22:23], s[20:21]
	s_cbranch_execz .LBB87_22
; %bb.21:
	v_add_co_u32_e32 v16, vcc, 0x1000, v2
	s_nop 1
	v_addc_co_u32_e32 v17, vcc, 0, v3, vcc
	global_load_ushort v15, v[16:17], off offset:1024
.LBB87_22:
	;; [unrolled: 12-line block ×7, first 2 shown]
	s_or_b64 exec, exec, s[34:35]
	v_or_b32_e32 v21, 0x1000, v0
	v_cmp_gt_u32_e64 s[34:35], s33, v21
	v_mov_b32_e32 v21, v1
	s_and_saveexec_b64 s[36:37], s[34:35]
	s_cbranch_execz .LBB87_34
; %bb.33:
	v_add_co_u32_e32 v22, vcc, 0x2000, v2
	s_nop 1
	v_addc_co_u32_e32 v23, vcc, 0, v3, vcc
	global_load_ushort v21, v[22:23], off
.LBB87_34:
	s_or_b64 exec, exec, s[36:37]
	v_or_b32_e32 v22, 0x1100, v0
	v_cmp_gt_u32_e64 s[36:37], s33, v22
	v_mov_b32_e32 v22, v1
	s_and_saveexec_b64 s[38:39], s[36:37]
	s_cbranch_execz .LBB87_36
; %bb.35:
	v_add_co_u32_e32 v22, vcc, 0x2000, v2
	s_nop 1
	v_addc_co_u32_e32 v23, vcc, 0, v3, vcc
	global_load_ushort v22, v[22:23], off offset:512
.LBB87_36:
	s_or_b64 exec, exec, s[38:39]
	v_or_b32_e32 v23, 0x1200, v0
	v_cmp_gt_u32_e64 s[38:39], s33, v23
	v_mov_b32_e32 v23, v1
	s_and_saveexec_b64 s[40:41], s[38:39]
	s_cbranch_execz .LBB87_38
; %bb.37:
	v_add_co_u32_e32 v24, vcc, 0x2000, v2
	s_nop 1
	v_addc_co_u32_e32 v25, vcc, 0, v3, vcc
	global_load_ushort v23, v[24:25], off offset:1024
.LBB87_38:
	s_or_b64 exec, exec, s[40:41]
	v_or_b32_e32 v24, 0x1300, v0
	v_cmp_gt_u32_e64 s[40:41], s33, v24
	v_mov_b32_e32 v24, v1
	s_and_saveexec_b64 s[42:43], s[40:41]
	s_cbranch_execz .LBB87_40
; %bb.39:
	v_add_co_u32_e32 v24, vcc, 0x2000, v2
	s_nop 1
	v_addc_co_u32_e32 v25, vcc, 0, v3, vcc
	global_load_ushort v24, v[24:25], off offset:1536
.LBB87_40:
	s_or_b64 exec, exec, s[42:43]
	v_or_b32_e32 v25, 0x1400, v0
	v_cmp_gt_u32_e64 s[42:43], s33, v25
	v_mov_b32_e32 v25, v1
	s_and_saveexec_b64 s[44:45], s[42:43]
	s_cbranch_execz .LBB87_42
; %bb.41:
	v_add_co_u32_e32 v26, vcc, 0x2000, v2
	s_nop 1
	v_addc_co_u32_e32 v27, vcc, 0, v3, vcc
	global_load_ushort v25, v[26:27], off offset:2048
.LBB87_42:
	s_or_b64 exec, exec, s[44:45]
	v_or_b32_e32 v26, 0x1500, v0
	v_cmp_gt_u32_e64 s[44:45], s33, v26
	v_mov_b32_e32 v26, v1
	s_and_saveexec_b64 s[46:47], s[44:45]
	s_cbranch_execz .LBB87_44
; %bb.43:
	v_add_co_u32_e32 v26, vcc, 0x2000, v2
	s_nop 1
	v_addc_co_u32_e32 v27, vcc, 0, v3, vcc
	global_load_ushort v26, v[26:27], off offset:2560
.LBB87_44:
	s_or_b64 exec, exec, s[46:47]
	v_or_b32_e32 v27, 0x1600, v0
	v_cmp_gt_u32_e64 s[46:47], s33, v27
	v_mov_b32_e32 v27, v1
	s_and_saveexec_b64 s[48:49], s[46:47]
	s_cbranch_execz .LBB87_46
; %bb.45:
	v_add_co_u32_e32 v28, vcc, 0x2000, v2
	s_nop 1
	v_addc_co_u32_e32 v29, vcc, 0, v3, vcc
	global_load_ushort v27, v[28:29], off offset:3072
.LBB87_46:
	s_or_b64 exec, exec, s[48:49]
	v_or_b32_e32 v28, 0x1700, v0
	v_cmp_gt_u32_e64 s[48:49], s33, v28
	s_and_saveexec_b64 s[52:53], s[48:49]
	s_cbranch_execz .LBB87_48
; %bb.47:
	v_add_co_u32_e32 v2, vcc, 0x2000, v2
	s_nop 1
	v_addc_co_u32_e32 v3, vcc, 0, v3, vcc
	global_load_ushort v1, v[2:3], off offset:3584
.LBB87_48:
	s_or_b64 exec, exec, s[52:53]
	s_waitcnt vmcnt(0)
	ds_write_b16 v14, v4
	ds_write_b16 v14, v5 offset:512
	ds_write_b16 v14, v6 offset:1024
	;; [unrolled: 1-line block ×23, first 2 shown]
	v_mad_u32_u24 v1, v0, 46, v14
	s_waitcnt lgkmcnt(0)
	s_barrier
	ds_read_b128 v[10:13], v1
	ds_read_b128 v[6:9], v1 offset:16
	ds_read_b128 v[2:5], v1 offset:32
	s_waitcnt lgkmcnt(0)
	s_barrier
	v_lshrrev_b32_e32 v24, 16, v11
	v_max_i16_sdwa v26, v10, v10 dst_sel:DWORD dst_unused:UNUSED_PAD src0_sel:DWORD src1_sel:WORD_1
	v_lshrrev_b32_e32 v23, 16, v12
	v_max3_i16 v26, v26, v11, v24
	v_lshrrev_b32_e32 v22, 16, v13
	v_max3_i16 v26, v26, v12, v23
	;; [unrolled: 2-line block ×10, first 2 shown]
	v_max3_i16 v26, v26, v5, v25
	v_mbcnt_lo_u32_b32 v25, -1, 0
	v_mbcnt_hi_u32_b32 v25, -1, v25
	v_and_b32_e32 v28, 0xffff, v26
	v_and_b32_e32 v27, 15, v25
	v_cmp_eq_u32_e32 vcc, 0, v27
	v_mov_b32_dpp v28, v28 row_shr:1 row_mask:0xf bank_mask:0xf
	v_max_i16_e32 v28, v28, v26
	v_cndmask_b32_e32 v26, v28, v26, vcc
	v_and_b32_e32 v28, 0xffff, v26
	v_cmp_lt_u32_e32 vcc, 1, v27
	s_nop 0
	v_mov_b32_dpp v28, v28 row_shr:2 row_mask:0xf bank_mask:0xf
	v_max_i16_e32 v28, v28, v26
	v_cndmask_b32_e32 v26, v26, v28, vcc
	v_and_b32_e32 v28, 0xffff, v26
	v_cmp_lt_u32_e32 vcc, 3, v27
	s_nop 0
	;; [unrolled: 6-line block ×3, first 2 shown]
	v_mov_b32_dpp v28, v28 row_shr:8 row_mask:0xf bank_mask:0xf
	v_max_i16_e32 v28, v28, v26
	v_cndmask_b32_e32 v26, v26, v28, vcc
	v_and_b32_e32 v27, 0xffff, v26
	v_and_b32_e32 v28, 16, v25
	v_cmp_eq_u32_e32 vcc, 0, v28
	v_mov_b32_dpp v27, v27 row_bcast:15 row_mask:0xf bank_mask:0xf
	v_max_i16_e32 v27, v27, v26
	v_cndmask_b32_e32 v26, v27, v26, vcc
	v_and_b32_e32 v27, 0xffff, v26
	v_cmp_lt_u32_e32 vcc, 31, v25
	v_or_b32_e32 v28, 63, v0
	v_mov_b32_dpp v27, v27 row_bcast:31 row_mask:0xf bank_mask:0xf
	v_max_i16_e32 v27, v27, v26
	v_cndmask_b32_e32 v26, v26, v27, vcc
	v_lshrrev_b32_e32 v27, 6, v0
	v_cmp_eq_u32_e32 vcc, v28, v0
	s_and_saveexec_b64 s[52:53], vcc
	s_cbranch_execz .LBB87_50
; %bb.49:
	v_lshlrev_b32_e32 v28, 1, v27
	ds_write_b16 v28, v26
.LBB87_50:
	s_or_b64 exec, exec, s[52:53]
	v_cmp_gt_u32_e32 vcc, 4, v0
	s_waitcnt lgkmcnt(0)
	s_barrier
	s_and_saveexec_b64 s[52:53], vcc
	s_cbranch_execz .LBB87_52
; %bb.51:
	ds_read_u16 v28, v14
	v_and_b32_e32 v29, 3, v25
	v_cmp_eq_u32_e32 vcc, 0, v29
	s_waitcnt lgkmcnt(0)
	v_and_b32_e32 v30, 0xffff, v28
	s_nop 1
	v_mov_b32_dpp v30, v30 row_shr:1 row_mask:0xf bank_mask:0xf
	v_max_i16_e32 v30, v30, v28
	v_cndmask_b32_e32 v28, v30, v28, vcc
	v_and_b32_e32 v30, 0xffff, v28
	v_cmp_lt_u32_e32 vcc, 1, v29
	s_nop 0
	v_mov_b32_dpp v30, v30 row_shr:2 row_mask:0xf bank_mask:0xf
	v_max_i16_e32 v30, v30, v28
	v_cndmask_b32_e32 v28, v28, v30, vcc
	ds_write_b16 v14, v28
.LBB87_52:
	s_or_b64 exec, exec, s[52:53]
	s_load_dword s33, s[0:1], 0x18
	v_cmp_lt_u32_e32 vcc, 63, v0
	s_waitcnt lgkmcnt(0)
	s_barrier
	v_mov_b32_e32 v28, s33
	s_and_saveexec_b64 s[52:53], vcc
	s_cbranch_execz .LBB87_54
; %bb.53:
	v_lshl_add_u32 v27, v27, 1, -2
	ds_read_u16 v27, v27
	s_waitcnt lgkmcnt(0)
	v_max_i16_e32 v28, s33, v27
.LBB87_54:
	s_or_b64 exec, exec, s[52:53]
	v_add_u32_e32 v27, -1, v25
	v_and_b32_e32 v29, 64, v25
	v_cmp_lt_i32_e32 vcc, v27, v29
	v_max_i16_e32 v26, v28, v26
	s_nop 0
	v_cndmask_b32_e32 v27, v27, v25, vcc
	v_lshlrev_b32_e32 v27, 2, v27
	ds_bpermute_b32 v26, v27, v26
	v_cmp_eq_u32_e32 vcc, 0, v25
	s_barrier
	s_waitcnt lgkmcnt(0)
	s_load_dwordx2 s[0:1], s[0:1], 0x20
	v_cndmask_b32_e32 v25, v26, v28, vcc
	v_mov_b32_e32 v26, s33
	v_cmp_eq_u32_e32 vcc, 0, v0
	s_mov_b32 s33, 0x5040100
	s_nop 0
	v_cndmask_b32_e32 v25, v25, v26, vcc
	v_max_i16_e32 v26, v25, v10
	v_max_i16_sdwa v10, v26, v10 dst_sel:DWORD dst_unused:UNUSED_PAD src0_sel:DWORD src1_sel:WORD_1
	v_max_i16_e32 v11, v10, v11
	v_max_i16_e32 v24, v11, v24
	;; [unrolled: 1-line block ×21, first 2 shown]
	v_perm_b32 v2, v26, v25, s33
	v_perm_b32 v3, v11, v10, s33
	;; [unrolled: 1-line block ×4, first 2 shown]
	ds_write_b128 v1, v[2:5]
	v_perm_b32 v2, v6, v22, s33
	v_perm_b32 v3, v7, v21, s33
	;; [unrolled: 1-line block ×4, first 2 shown]
	ds_write_b128 v1, v[2:5] offset:16
	v_perm_b32 v2, v27, v18, s33
	v_perm_b32 v3, v28, v17, s33
	;; [unrolled: 1-line block ×4, first 2 shown]
	s_movk_i32 s33, 0xffd2
	ds_write_b128 v1, v[2:5] offset:32
	v_mad_i32_i24 v1, v0, s33, v1
	s_waitcnt lgkmcnt(0)
	s_barrier
	ds_read_u16 v24, v1 offset:512
	ds_read_u16 v23, v1 offset:1024
	;; [unrolled: 1-line block ×23, first 2 shown]
	v_lshlrev_b32_e32 v0, 2, v0
	v_mov_b32_e32 v1, 0
	v_lshl_add_u64 v[0:1], s[0:1], 0, v[0:1]
	s_and_saveexec_b64 s[0:1], s[50:51]
	s_cbranch_execnz .LBB87_79
; %bb.55:
	s_or_b64 exec, exec, s[0:1]
	s_and_saveexec_b64 s[0:1], s[2:3]
	s_cbranch_execnz .LBB87_80
.LBB87_56:
	s_or_b64 exec, exec, s[0:1]
	s_and_saveexec_b64 s[0:1], s[4:5]
	s_cbranch_execnz .LBB87_81
.LBB87_57:
	s_or_b64 exec, exec, s[0:1]
	s_and_saveexec_b64 s[0:1], s[10:11]
	s_cbranch_execnz .LBB87_82
.LBB87_58:
	s_or_b64 exec, exec, s[0:1]
	s_and_saveexec_b64 s[0:1], s[18:19]
	s_cbranch_execnz .LBB87_83
.LBB87_59:
	s_or_b64 exec, exec, s[0:1]
	s_and_saveexec_b64 s[0:1], s[16:17]
	s_cbranch_execnz .LBB87_84
.LBB87_60:
	s_or_b64 exec, exec, s[0:1]
	s_and_saveexec_b64 s[0:1], s[12:13]
	s_cbranch_execnz .LBB87_85
.LBB87_61:
	s_or_b64 exec, exec, s[0:1]
	s_and_saveexec_b64 s[0:1], s[8:9]
	s_cbranch_execnz .LBB87_86
.LBB87_62:
	s_or_b64 exec, exec, s[0:1]
	s_and_saveexec_b64 s[0:1], s[6:7]
	s_cbranch_execnz .LBB87_87
.LBB87_63:
	s_or_b64 exec, exec, s[0:1]
	s_and_saveexec_b64 s[0:1], s[14:15]
	s_cbranch_execnz .LBB87_88
.LBB87_64:
	s_or_b64 exec, exec, s[0:1]
	s_and_saveexec_b64 s[0:1], s[20:21]
	s_cbranch_execnz .LBB87_89
.LBB87_65:
	s_or_b64 exec, exec, s[0:1]
	s_and_saveexec_b64 s[0:1], s[22:23]
	s_cbranch_execnz .LBB87_90
.LBB87_66:
	s_or_b64 exec, exec, s[0:1]
	s_and_saveexec_b64 s[0:1], s[24:25]
	s_cbranch_execnz .LBB87_91
.LBB87_67:
	s_or_b64 exec, exec, s[0:1]
	s_and_saveexec_b64 s[0:1], s[26:27]
	s_cbranch_execnz .LBB87_92
.LBB87_68:
	s_or_b64 exec, exec, s[0:1]
	s_and_saveexec_b64 s[0:1], s[28:29]
	s_cbranch_execnz .LBB87_93
.LBB87_69:
	s_or_b64 exec, exec, s[0:1]
	s_and_saveexec_b64 s[0:1], s[30:31]
	s_cbranch_execnz .LBB87_94
.LBB87_70:
	s_or_b64 exec, exec, s[0:1]
	s_and_saveexec_b64 s[0:1], s[34:35]
	s_cbranch_execnz .LBB87_95
.LBB87_71:
	s_or_b64 exec, exec, s[0:1]
	s_and_saveexec_b64 s[0:1], s[36:37]
	s_cbranch_execnz .LBB87_96
.LBB87_72:
	s_or_b64 exec, exec, s[0:1]
	s_and_saveexec_b64 s[0:1], s[38:39]
	s_cbranch_execnz .LBB87_97
.LBB87_73:
	s_or_b64 exec, exec, s[0:1]
	s_and_saveexec_b64 s[0:1], s[40:41]
	s_cbranch_execnz .LBB87_98
.LBB87_74:
	s_or_b64 exec, exec, s[0:1]
	s_and_saveexec_b64 s[0:1], s[42:43]
	s_cbranch_execnz .LBB87_99
.LBB87_75:
	s_or_b64 exec, exec, s[0:1]
	s_and_saveexec_b64 s[0:1], s[44:45]
	s_cbranch_execnz .LBB87_100
.LBB87_76:
	s_or_b64 exec, exec, s[0:1]
	s_and_saveexec_b64 s[0:1], s[46:47]
	s_cbranch_execnz .LBB87_101
.LBB87_77:
	s_or_b64 exec, exec, s[0:1]
	s_and_saveexec_b64 s[0:1], s[48:49]
	s_cbranch_execnz .LBB87_102
.LBB87_78:
	s_endpgm
.LBB87_79:
	ds_read_i16 v14, v14
	s_waitcnt lgkmcnt(0)
	v_cvt_f32_i32_e32 v14, v14
	global_store_dword v[0:1], v14, off
	s_or_b64 exec, exec, s[0:1]
	s_and_saveexec_b64 s[0:1], s[2:3]
	s_cbranch_execz .LBB87_56
.LBB87_80:
	s_waitcnt lgkmcnt(14)
	v_cvt_f32_i32_sdwa v14, sext(v24) dst_sel:DWORD dst_unused:UNUSED_PAD src0_sel:WORD_0
	global_store_dword v[0:1], v14, off offset:1024
	s_or_b64 exec, exec, s[0:1]
	s_and_saveexec_b64 s[0:1], s[4:5]
	s_cbranch_execz .LBB87_57
.LBB87_81:
	s_waitcnt lgkmcnt(14)
	v_cvt_f32_i32_sdwa v14, sext(v23) dst_sel:DWORD dst_unused:UNUSED_PAD src0_sel:WORD_0
	global_store_dword v[0:1], v14, off offset:2048
	s_or_b64 exec, exec, s[0:1]
	s_and_saveexec_b64 s[0:1], s[10:11]
	s_cbranch_execz .LBB87_58
.LBB87_82:
	s_waitcnt lgkmcnt(14)
	v_cvt_f32_i32_sdwa v14, sext(v22) dst_sel:DWORD dst_unused:UNUSED_PAD src0_sel:WORD_0
	global_store_dword v[0:1], v14, off offset:3072
	s_or_b64 exec, exec, s[0:1]
	s_and_saveexec_b64 s[0:1], s[18:19]
	s_cbranch_execz .LBB87_59
.LBB87_83:
	s_waitcnt lgkmcnt(1)
	v_cvt_f32_i32_sdwa v14, sext(v25) dst_sel:DWORD dst_unused:UNUSED_PAD src0_sel:WORD_0
	v_add_co_u32_e32 v22, vcc, 0x1000, v0
	s_nop 1
	v_addc_co_u32_e32 v23, vcc, 0, v1, vcc
	global_store_dword v[22:23], v14, off
	s_or_b64 exec, exec, s[0:1]
	s_and_saveexec_b64 s[0:1], s[16:17]
	s_cbranch_execz .LBB87_60
.LBB87_84:
	s_waitcnt lgkmcnt(14)
	v_cvt_f32_i32_sdwa v14, sext(v21) dst_sel:DWORD dst_unused:UNUSED_PAD src0_sel:WORD_0
	v_add_co_u32_e32 v22, vcc, 0x1000, v0
	s_nop 1
	v_addc_co_u32_e32 v23, vcc, 0, v1, vcc
	global_store_dword v[22:23], v14, off offset:1024
	s_or_b64 exec, exec, s[0:1]
	s_and_saveexec_b64 s[0:1], s[12:13]
	s_cbranch_execz .LBB87_61
.LBB87_85:
	s_waitcnt lgkmcnt(14)
	v_cvt_f32_i32_sdwa v14, sext(v20) dst_sel:DWORD dst_unused:UNUSED_PAD src0_sel:WORD_0
	v_add_co_u32_e32 v20, vcc, 0x1000, v0
	s_nop 1
	v_addc_co_u32_e32 v21, vcc, 0, v1, vcc
	global_store_dword v[20:21], v14, off offset:2048
	s_or_b64 exec, exec, s[0:1]
	s_and_saveexec_b64 s[0:1], s[8:9]
	s_cbranch_execz .LBB87_62
.LBB87_86:
	s_waitcnt lgkmcnt(14)
	v_cvt_f32_i32_sdwa v14, sext(v19) dst_sel:DWORD dst_unused:UNUSED_PAD src0_sel:WORD_0
	v_add_co_u32_e32 v20, vcc, 0x1000, v0
	s_nop 1
	v_addc_co_u32_e32 v21, vcc, 0, v1, vcc
	global_store_dword v[20:21], v14, off offset:3072
	s_or_b64 exec, exec, s[0:1]
	s_and_saveexec_b64 s[0:1], s[6:7]
	s_cbranch_execz .LBB87_63
.LBB87_87:
	s_waitcnt lgkmcnt(14)
	v_cvt_f32_i32_sdwa v14, sext(v18) dst_sel:DWORD dst_unused:UNUSED_PAD src0_sel:WORD_0
	v_add_co_u32_e32 v18, vcc, 0x2000, v0
	s_nop 1
	v_addc_co_u32_e32 v19, vcc, 0, v1, vcc
	global_store_dword v[18:19], v14, off
	s_or_b64 exec, exec, s[0:1]
	s_and_saveexec_b64 s[0:1], s[14:15]
	s_cbranch_execz .LBB87_64
.LBB87_88:
	s_waitcnt lgkmcnt(14)
	v_cvt_f32_i32_sdwa v14, sext(v17) dst_sel:DWORD dst_unused:UNUSED_PAD src0_sel:WORD_0
	v_add_co_u32_e32 v18, vcc, 0x2000, v0
	s_nop 1
	v_addc_co_u32_e32 v19, vcc, 0, v1, vcc
	global_store_dword v[18:19], v14, off offset:1024
	s_or_b64 exec, exec, s[0:1]
	s_and_saveexec_b64 s[0:1], s[20:21]
	s_cbranch_execz .LBB87_65
.LBB87_89:
	s_waitcnt lgkmcnt(14)
	v_cvt_f32_i32_sdwa v14, sext(v16) dst_sel:DWORD dst_unused:UNUSED_PAD src0_sel:WORD_0
	v_add_co_u32_e32 v16, vcc, 0x2000, v0
	s_nop 1
	v_addc_co_u32_e32 v17, vcc, 0, v1, vcc
	global_store_dword v[16:17], v14, off offset:2048
	s_or_b64 exec, exec, s[0:1]
	s_and_saveexec_b64 s[0:1], s[22:23]
	s_cbranch_execz .LBB87_66
.LBB87_90:
	s_waitcnt lgkmcnt(10)
	v_cvt_f32_i32_sdwa v16, sext(v15) dst_sel:DWORD dst_unused:UNUSED_PAD src0_sel:WORD_0
	v_add_co_u32_e32 v14, vcc, 0x2000, v0
	s_nop 1
	v_addc_co_u32_e32 v15, vcc, 0, v1, vcc
	global_store_dword v[14:15], v16, off offset:3072
	s_or_b64 exec, exec, s[0:1]
	s_and_saveexec_b64 s[0:1], s[24:25]
	s_cbranch_execz .LBB87_67
.LBB87_91:
	s_waitcnt lgkmcnt(13)
	v_cvt_f32_i32_sdwa v13, sext(v13) dst_sel:DWORD dst_unused:UNUSED_PAD src0_sel:WORD_0
	v_add_co_u32_e32 v14, vcc, 0x3000, v0
	s_waitcnt lgkmcnt(10)
	s_nop 0
	v_addc_co_u32_e32 v15, vcc, 0, v1, vcc
	global_store_dword v[14:15], v13, off
	s_or_b64 exec, exec, s[0:1]
	s_and_saveexec_b64 s[0:1], s[26:27]
	s_cbranch_execz .LBB87_68
.LBB87_92:
	s_waitcnt lgkmcnt(9)
	v_cvt_f32_i32_sdwa v14, sext(v12) dst_sel:DWORD dst_unused:UNUSED_PAD src0_sel:WORD_0
	v_add_co_u32_e32 v12, vcc, 0x3000, v0
	s_nop 1
	v_addc_co_u32_e32 v13, vcc, 0, v1, vcc
	global_store_dword v[12:13], v14, off offset:1024
	s_or_b64 exec, exec, s[0:1]
	s_and_saveexec_b64 s[0:1], s[28:29]
	s_cbranch_execz .LBB87_69
.LBB87_93:
	s_waitcnt lgkmcnt(8)
	v_cvt_f32_i32_sdwa v11, sext(v11) dst_sel:DWORD dst_unused:UNUSED_PAD src0_sel:WORD_0
	v_add_co_u32_e32 v12, vcc, 0x3000, v0
	s_nop 1
	v_addc_co_u32_e32 v13, vcc, 0, v1, vcc
	global_store_dword v[12:13], v11, off offset:2048
	s_or_b64 exec, exec, s[0:1]
	s_and_saveexec_b64 s[0:1], s[30:31]
	s_cbranch_execz .LBB87_70
.LBB87_94:
	s_waitcnt lgkmcnt(7)
	v_cvt_f32_i32_sdwa v12, sext(v10) dst_sel:DWORD dst_unused:UNUSED_PAD src0_sel:WORD_0
	v_add_co_u32_e32 v10, vcc, 0x3000, v0
	s_nop 1
	v_addc_co_u32_e32 v11, vcc, 0, v1, vcc
	global_store_dword v[10:11], v12, off offset:3072
	s_or_b64 exec, exec, s[0:1]
	s_and_saveexec_b64 s[0:1], s[34:35]
	s_cbranch_execz .LBB87_71
.LBB87_95:
	s_waitcnt lgkmcnt(12)
	v_cvt_f32_i32_sdwa v9, sext(v9) dst_sel:DWORD dst_unused:UNUSED_PAD src0_sel:WORD_0
	s_waitcnt lgkmcnt(7)
	v_add_co_u32_e32 v10, vcc, 0x4000, v0
	s_nop 1
	v_addc_co_u32_e32 v11, vcc, 0, v1, vcc
	global_store_dword v[10:11], v9, off
	s_or_b64 exec, exec, s[0:1]
	s_and_saveexec_b64 s[0:1], s[36:37]
	s_cbranch_execz .LBB87_72
.LBB87_96:
	s_waitcnt lgkmcnt(6)
	v_cvt_f32_i32_sdwa v10, sext(v8) dst_sel:DWORD dst_unused:UNUSED_PAD src0_sel:WORD_0
	v_add_co_u32_e32 v8, vcc, 0x4000, v0
	s_nop 1
	v_addc_co_u32_e32 v9, vcc, 0, v1, vcc
	global_store_dword v[8:9], v10, off offset:1024
	s_or_b64 exec, exec, s[0:1]
	s_and_saveexec_b64 s[0:1], s[38:39]
	s_cbranch_execz .LBB87_73
.LBB87_97:
	s_waitcnt lgkmcnt(5)
	v_cvt_f32_i32_sdwa v7, sext(v7) dst_sel:DWORD dst_unused:UNUSED_PAD src0_sel:WORD_0
	v_add_co_u32_e32 v8, vcc, 0x4000, v0
	s_nop 1
	v_addc_co_u32_e32 v9, vcc, 0, v1, vcc
	global_store_dword v[8:9], v7, off offset:2048
	s_or_b64 exec, exec, s[0:1]
	s_and_saveexec_b64 s[0:1], s[40:41]
	s_cbranch_execz .LBB87_74
.LBB87_98:
	s_waitcnt lgkmcnt(4)
	v_cvt_f32_i32_sdwa v8, sext(v6) dst_sel:DWORD dst_unused:UNUSED_PAD src0_sel:WORD_0
	v_add_co_u32_e32 v6, vcc, 0x4000, v0
	s_nop 1
	v_addc_co_u32_e32 v7, vcc, 0, v1, vcc
	global_store_dword v[6:7], v8, off offset:3072
	s_or_b64 exec, exec, s[0:1]
	s_and_saveexec_b64 s[0:1], s[42:43]
	s_cbranch_execz .LBB87_75
.LBB87_99:
	s_waitcnt lgkmcnt(11)
	v_cvt_f32_i32_sdwa v5, sext(v5) dst_sel:DWORD dst_unused:UNUSED_PAD src0_sel:WORD_0
	s_waitcnt lgkmcnt(4)
	v_add_co_u32_e32 v6, vcc, 0x5000, v0
	s_nop 1
	v_addc_co_u32_e32 v7, vcc, 0, v1, vcc
	global_store_dword v[6:7], v5, off
	s_or_b64 exec, exec, s[0:1]
	s_and_saveexec_b64 s[0:1], s[44:45]
	s_cbranch_execz .LBB87_76
.LBB87_100:
	s_waitcnt lgkmcnt(3)
	v_cvt_f32_i32_sdwa v6, sext(v4) dst_sel:DWORD dst_unused:UNUSED_PAD src0_sel:WORD_0
	v_add_co_u32_e32 v4, vcc, 0x5000, v0
	s_nop 1
	v_addc_co_u32_e32 v5, vcc, 0, v1, vcc
	global_store_dword v[4:5], v6, off offset:1024
	s_or_b64 exec, exec, s[0:1]
	s_and_saveexec_b64 s[0:1], s[46:47]
	s_cbranch_execz .LBB87_77
.LBB87_101:
	s_waitcnt lgkmcnt(2)
	v_cvt_f32_i32_sdwa v3, sext(v3) dst_sel:DWORD dst_unused:UNUSED_PAD src0_sel:WORD_0
	v_add_co_u32_e32 v4, vcc, 0x5000, v0
	s_nop 1
	v_addc_co_u32_e32 v5, vcc, 0, v1, vcc
	global_store_dword v[4:5], v3, off offset:2048
	s_or_b64 exec, exec, s[0:1]
	s_and_saveexec_b64 s[0:1], s[48:49]
	s_cbranch_execz .LBB87_78
.LBB87_102:
	s_waitcnt lgkmcnt(0)
	v_cvt_f32_i32_sdwa v2, sext(v2) dst_sel:DWORD dst_unused:UNUSED_PAD src0_sel:WORD_0
	v_add_co_u32_e32 v0, vcc, 0x5000, v0
	s_nop 1
	v_addc_co_u32_e32 v1, vcc, 0, v1, vcc
	global_store_dword v[0:1], v2, off offset:3072
	s_endpgm
	.section	.rodata,"a",@progbits
	.p2align	6, 0x0
	.amdhsa_kernel _ZN7rocprim6detail18single_scan_kernelILb1ENS0_19wrapped_scan_configINS_14default_configEsEEN6hipcub22TransformInputIteratorIsNS5_6CastOpIsEEPslEEPfNS5_3MaxEssEEvT1_mT4_T2_T3_
		.amdhsa_group_segment_fixed_size 12288
		.amdhsa_private_segment_fixed_size 0
		.amdhsa_kernarg_size 44
		.amdhsa_user_sgpr_count 2
		.amdhsa_user_sgpr_dispatch_ptr 0
		.amdhsa_user_sgpr_queue_ptr 0
		.amdhsa_user_sgpr_kernarg_segment_ptr 1
		.amdhsa_user_sgpr_dispatch_id 0
		.amdhsa_user_sgpr_kernarg_preload_length 0
		.amdhsa_user_sgpr_kernarg_preload_offset 0
		.amdhsa_user_sgpr_private_segment_size 0
		.amdhsa_uses_dynamic_stack 0
		.amdhsa_enable_private_segment 0
		.amdhsa_system_sgpr_workgroup_id_x 1
		.amdhsa_system_sgpr_workgroup_id_y 0
		.amdhsa_system_sgpr_workgroup_id_z 0
		.amdhsa_system_sgpr_workgroup_info 0
		.amdhsa_system_vgpr_workitem_id 0
		.amdhsa_next_free_vgpr 31
		.amdhsa_next_free_sgpr 54
		.amdhsa_accum_offset 32
		.amdhsa_reserve_vcc 1
		.amdhsa_float_round_mode_32 0
		.amdhsa_float_round_mode_16_64 0
		.amdhsa_float_denorm_mode_32 3
		.amdhsa_float_denorm_mode_16_64 3
		.amdhsa_dx10_clamp 1
		.amdhsa_ieee_mode 1
		.amdhsa_fp16_overflow 0
		.amdhsa_tg_split 0
		.amdhsa_exception_fp_ieee_invalid_op 0
		.amdhsa_exception_fp_denorm_src 0
		.amdhsa_exception_fp_ieee_div_zero 0
		.amdhsa_exception_fp_ieee_overflow 0
		.amdhsa_exception_fp_ieee_underflow 0
		.amdhsa_exception_fp_ieee_inexact 0
		.amdhsa_exception_int_div_zero 0
	.end_amdhsa_kernel
	.section	.text._ZN7rocprim6detail18single_scan_kernelILb1ENS0_19wrapped_scan_configINS_14default_configEsEEN6hipcub22TransformInputIteratorIsNS5_6CastOpIsEEPslEEPfNS5_3MaxEssEEvT1_mT4_T2_T3_,"axG",@progbits,_ZN7rocprim6detail18single_scan_kernelILb1ENS0_19wrapped_scan_configINS_14default_configEsEEN6hipcub22TransformInputIteratorIsNS5_6CastOpIsEEPslEEPfNS5_3MaxEssEEvT1_mT4_T2_T3_,comdat
.Lfunc_end87:
	.size	_ZN7rocprim6detail18single_scan_kernelILb1ENS0_19wrapped_scan_configINS_14default_configEsEEN6hipcub22TransformInputIteratorIsNS5_6CastOpIsEEPslEEPfNS5_3MaxEssEEvT1_mT4_T2_T3_, .Lfunc_end87-_ZN7rocprim6detail18single_scan_kernelILb1ENS0_19wrapped_scan_configINS_14default_configEsEEN6hipcub22TransformInputIteratorIsNS5_6CastOpIsEEPslEEPfNS5_3MaxEssEEvT1_mT4_T2_T3_
                                        ; -- End function
	.section	.AMDGPU.csdata,"",@progbits
; Kernel info:
; codeLenInByte = 3952
; NumSgprs: 60
; NumVgprs: 31
; NumAgprs: 0
; TotalNumVgprs: 31
; ScratchSize: 0
; MemoryBound: 0
; FloatMode: 240
; IeeeMode: 1
; LDSByteSize: 12288 bytes/workgroup (compile time only)
; SGPRBlocks: 7
; VGPRBlocks: 3
; NumSGPRsForWavesPerEU: 60
; NumVGPRsForWavesPerEU: 31
; AccumOffset: 32
; Occupancy: 5
; WaveLimiterHint : 0
; COMPUTE_PGM_RSRC2:SCRATCH_EN: 0
; COMPUTE_PGM_RSRC2:USER_SGPR: 2
; COMPUTE_PGM_RSRC2:TRAP_HANDLER: 0
; COMPUTE_PGM_RSRC2:TGID_X_EN: 1
; COMPUTE_PGM_RSRC2:TGID_Y_EN: 0
; COMPUTE_PGM_RSRC2:TGID_Z_EN: 0
; COMPUTE_PGM_RSRC2:TIDIG_COMP_CNT: 0
; COMPUTE_PGM_RSRC3_GFX90A:ACCUM_OFFSET: 7
; COMPUTE_PGM_RSRC3_GFX90A:TG_SPLIT: 0
	.section	.text._ZN7rocprim6detail20lookback_scan_kernelILNS0_25lookback_scan_determinismE0ELb1ENS0_19wrapped_scan_configINS_14default_configEmEEPmS6_N6hipcub3SumEmmNS0_19lookback_scan_stateImLb1ELb1EEEEEvT2_T3_mT5_T4_T7_jPT6_SH_bb,"axG",@progbits,_ZN7rocprim6detail20lookback_scan_kernelILNS0_25lookback_scan_determinismE0ELb1ENS0_19wrapped_scan_configINS_14default_configEmEEPmS6_N6hipcub3SumEmmNS0_19lookback_scan_stateImLb1ELb1EEEEEvT2_T3_mT5_T4_T7_jPT6_SH_bb,comdat
	.protected	_ZN7rocprim6detail20lookback_scan_kernelILNS0_25lookback_scan_determinismE0ELb1ENS0_19wrapped_scan_configINS_14default_configEmEEPmS6_N6hipcub3SumEmmNS0_19lookback_scan_stateImLb1ELb1EEEEEvT2_T3_mT5_T4_T7_jPT6_SH_bb ; -- Begin function _ZN7rocprim6detail20lookback_scan_kernelILNS0_25lookback_scan_determinismE0ELb1ENS0_19wrapped_scan_configINS_14default_configEmEEPmS6_N6hipcub3SumEmmNS0_19lookback_scan_stateImLb1ELb1EEEEEvT2_T3_mT5_T4_T7_jPT6_SH_bb
	.globl	_ZN7rocprim6detail20lookback_scan_kernelILNS0_25lookback_scan_determinismE0ELb1ENS0_19wrapped_scan_configINS_14default_configEmEEPmS6_N6hipcub3SumEmmNS0_19lookback_scan_stateImLb1ELb1EEEEEvT2_T3_mT5_T4_T7_jPT6_SH_bb
	.p2align	8
	.type	_ZN7rocprim6detail20lookback_scan_kernelILNS0_25lookback_scan_determinismE0ELb1ENS0_19wrapped_scan_configINS_14default_configEmEEPmS6_N6hipcub3SumEmmNS0_19lookback_scan_stateImLb1ELb1EEEEEvT2_T3_mT5_T4_T7_jPT6_SH_bb,@function
_ZN7rocprim6detail20lookback_scan_kernelILNS0_25lookback_scan_determinismE0ELb1ENS0_19wrapped_scan_configINS_14default_configEmEEPmS6_N6hipcub3SumEmmNS0_19lookback_scan_stateImLb1ELb1EEEEEvT2_T3_mT5_T4_T7_jPT6_SH_bb: ; @_ZN7rocprim6detail20lookback_scan_kernelILNS0_25lookback_scan_determinismE0ELb1ENS0_19wrapped_scan_configINS_14default_configEmEEPmS6_N6hipcub3SumEmmNS0_19lookback_scan_stateImLb1ELb1EEEEEvT2_T3_mT5_T4_T7_jPT6_SH_bb
; %bb.0:
	s_endpgm
	.section	.rodata,"a",@progbits
	.p2align	6, 0x0
	.amdhsa_kernel _ZN7rocprim6detail20lookback_scan_kernelILNS0_25lookback_scan_determinismE0ELb1ENS0_19wrapped_scan_configINS_14default_configEmEEPmS6_N6hipcub3SumEmmNS0_19lookback_scan_stateImLb1ELb1EEEEEvT2_T3_mT5_T4_T7_jPT6_SH_bb
		.amdhsa_group_segment_fixed_size 0
		.amdhsa_private_segment_fixed_size 0
		.amdhsa_kernarg_size 76
		.amdhsa_user_sgpr_count 2
		.amdhsa_user_sgpr_dispatch_ptr 0
		.amdhsa_user_sgpr_queue_ptr 0
		.amdhsa_user_sgpr_kernarg_segment_ptr 1
		.amdhsa_user_sgpr_dispatch_id 0
		.amdhsa_user_sgpr_kernarg_preload_length 0
		.amdhsa_user_sgpr_kernarg_preload_offset 0
		.amdhsa_user_sgpr_private_segment_size 0
		.amdhsa_uses_dynamic_stack 0
		.amdhsa_enable_private_segment 0
		.amdhsa_system_sgpr_workgroup_id_x 1
		.amdhsa_system_sgpr_workgroup_id_y 0
		.amdhsa_system_sgpr_workgroup_id_z 0
		.amdhsa_system_sgpr_workgroup_info 0
		.amdhsa_system_vgpr_workitem_id 0
		.amdhsa_next_free_vgpr 1
		.amdhsa_next_free_sgpr 0
		.amdhsa_accum_offset 4
		.amdhsa_reserve_vcc 0
		.amdhsa_float_round_mode_32 0
		.amdhsa_float_round_mode_16_64 0
		.amdhsa_float_denorm_mode_32 3
		.amdhsa_float_denorm_mode_16_64 3
		.amdhsa_dx10_clamp 1
		.amdhsa_ieee_mode 1
		.amdhsa_fp16_overflow 0
		.amdhsa_tg_split 0
		.amdhsa_exception_fp_ieee_invalid_op 0
		.amdhsa_exception_fp_denorm_src 0
		.amdhsa_exception_fp_ieee_div_zero 0
		.amdhsa_exception_fp_ieee_overflow 0
		.amdhsa_exception_fp_ieee_underflow 0
		.amdhsa_exception_fp_ieee_inexact 0
		.amdhsa_exception_int_div_zero 0
	.end_amdhsa_kernel
	.section	.text._ZN7rocprim6detail20lookback_scan_kernelILNS0_25lookback_scan_determinismE0ELb1ENS0_19wrapped_scan_configINS_14default_configEmEEPmS6_N6hipcub3SumEmmNS0_19lookback_scan_stateImLb1ELb1EEEEEvT2_T3_mT5_T4_T7_jPT6_SH_bb,"axG",@progbits,_ZN7rocprim6detail20lookback_scan_kernelILNS0_25lookback_scan_determinismE0ELb1ENS0_19wrapped_scan_configINS_14default_configEmEEPmS6_N6hipcub3SumEmmNS0_19lookback_scan_stateImLb1ELb1EEEEEvT2_T3_mT5_T4_T7_jPT6_SH_bb,comdat
.Lfunc_end88:
	.size	_ZN7rocprim6detail20lookback_scan_kernelILNS0_25lookback_scan_determinismE0ELb1ENS0_19wrapped_scan_configINS_14default_configEmEEPmS6_N6hipcub3SumEmmNS0_19lookback_scan_stateImLb1ELb1EEEEEvT2_T3_mT5_T4_T7_jPT6_SH_bb, .Lfunc_end88-_ZN7rocprim6detail20lookback_scan_kernelILNS0_25lookback_scan_determinismE0ELb1ENS0_19wrapped_scan_configINS_14default_configEmEEPmS6_N6hipcub3SumEmmNS0_19lookback_scan_stateImLb1ELb1EEEEEvT2_T3_mT5_T4_T7_jPT6_SH_bb
                                        ; -- End function
	.section	.AMDGPU.csdata,"",@progbits
; Kernel info:
; codeLenInByte = 4
; NumSgprs: 6
; NumVgprs: 0
; NumAgprs: 0
; TotalNumVgprs: 0
; ScratchSize: 0
; MemoryBound: 0
; FloatMode: 240
; IeeeMode: 1
; LDSByteSize: 0 bytes/workgroup (compile time only)
; SGPRBlocks: 0
; VGPRBlocks: 0
; NumSGPRsForWavesPerEU: 6
; NumVGPRsForWavesPerEU: 1
; AccumOffset: 4
; Occupancy: 8
; WaveLimiterHint : 0
; COMPUTE_PGM_RSRC2:SCRATCH_EN: 0
; COMPUTE_PGM_RSRC2:USER_SGPR: 2
; COMPUTE_PGM_RSRC2:TRAP_HANDLER: 0
; COMPUTE_PGM_RSRC2:TGID_X_EN: 1
; COMPUTE_PGM_RSRC2:TGID_Y_EN: 0
; COMPUTE_PGM_RSRC2:TGID_Z_EN: 0
; COMPUTE_PGM_RSRC2:TIDIG_COMP_CNT: 0
; COMPUTE_PGM_RSRC3_GFX90A:ACCUM_OFFSET: 0
; COMPUTE_PGM_RSRC3_GFX90A:TG_SPLIT: 0
	.section	.text._ZN7rocprim6detail20lookback_scan_kernelILNS0_25lookback_scan_determinismE0ELb1ENS0_19wrapped_scan_configINS_14default_configEmEEPmS6_N6hipcub3SumEmmNS0_19lookback_scan_stateImLb0ELb1EEEEEvT2_T3_mT5_T4_T7_jPT6_SH_bb,"axG",@progbits,_ZN7rocprim6detail20lookback_scan_kernelILNS0_25lookback_scan_determinismE0ELb1ENS0_19wrapped_scan_configINS_14default_configEmEEPmS6_N6hipcub3SumEmmNS0_19lookback_scan_stateImLb0ELb1EEEEEvT2_T3_mT5_T4_T7_jPT6_SH_bb,comdat
	.protected	_ZN7rocprim6detail20lookback_scan_kernelILNS0_25lookback_scan_determinismE0ELb1ENS0_19wrapped_scan_configINS_14default_configEmEEPmS6_N6hipcub3SumEmmNS0_19lookback_scan_stateImLb0ELb1EEEEEvT2_T3_mT5_T4_T7_jPT6_SH_bb ; -- Begin function _ZN7rocprim6detail20lookback_scan_kernelILNS0_25lookback_scan_determinismE0ELb1ENS0_19wrapped_scan_configINS_14default_configEmEEPmS6_N6hipcub3SumEmmNS0_19lookback_scan_stateImLb0ELb1EEEEEvT2_T3_mT5_T4_T7_jPT6_SH_bb
	.globl	_ZN7rocprim6detail20lookback_scan_kernelILNS0_25lookback_scan_determinismE0ELb1ENS0_19wrapped_scan_configINS_14default_configEmEEPmS6_N6hipcub3SumEmmNS0_19lookback_scan_stateImLb0ELb1EEEEEvT2_T3_mT5_T4_T7_jPT6_SH_bb
	.p2align	8
	.type	_ZN7rocprim6detail20lookback_scan_kernelILNS0_25lookback_scan_determinismE0ELb1ENS0_19wrapped_scan_configINS_14default_configEmEEPmS6_N6hipcub3SumEmmNS0_19lookback_scan_stateImLb0ELb1EEEEEvT2_T3_mT5_T4_T7_jPT6_SH_bb,@function
_ZN7rocprim6detail20lookback_scan_kernelILNS0_25lookback_scan_determinismE0ELb1ENS0_19wrapped_scan_configINS_14default_configEmEEPmS6_N6hipcub3SumEmmNS0_19lookback_scan_stateImLb0ELb1EEEEEvT2_T3_mT5_T4_T7_jPT6_SH_bb: ; @_ZN7rocprim6detail20lookback_scan_kernelILNS0_25lookback_scan_determinismE0ELb1ENS0_19wrapped_scan_configINS_14default_configEmEEPmS6_N6hipcub3SumEmmNS0_19lookback_scan_stateImLb0ELb1EEEEEvT2_T3_mT5_T4_T7_jPT6_SH_bb
; %bb.0:
	s_load_dword s3, s[0:1], 0x30
	s_load_dwordx8 s[16:23], s[0:1], 0x0
	s_mul_i32 s4, s2, 0xf00
	s_mov_b32 s5, 0
	v_lshlrev_b32_e32 v62, 3, v0
	s_waitcnt lgkmcnt(0)
	s_add_i32 s3, s3, -1
	s_mul_i32 s6, s3, 0xf00
	s_sub_u32 s28, s20, s6
	s_subb_u32 s29, s21, 0
	s_cmp_lg_u32 s2, s3
	s_cselect_b64 s[14:15], -1, 0
	s_lshl_b64 s[20:21], s[4:5], 3
	s_add_u32 s6, s16, s20
	s_addc_u32 s7, s17, s21
	s_mov_b64 s[4:5], -1
	s_and_b64 vcc, exec, s[14:15]
	s_cbranch_vccz .LBB89_2
; %bb.1:
	v_mov_b32_e32 v63, 0
	v_lshl_add_u64 v[2:3], s[6:7], 0, v[62:63]
	v_add_co_u32_e32 v8, vcc, 0x1000, v2
	global_load_dwordx2 v[4:5], v62, s[6:7]
	global_load_dwordx2 v[6:7], v62, s[6:7] offset:2048
	v_addc_co_u32_e32 v9, vcc, 0, v3, vcc
	v_add_co_u32_e32 v10, vcc, 0x2000, v2
	s_mov_b64 s[4:5], 0
	s_nop 0
	v_addc_co_u32_e32 v11, vcc, 0, v3, vcc
	global_load_dwordx2 v[12:13], v[8:9], off
	global_load_dwordx2 v[14:15], v[8:9], off offset:2048
	global_load_dwordx2 v[16:17], v[10:11], off
	global_load_dwordx2 v[18:19], v[10:11], off offset:2048
	v_add_co_u32_e32 v8, vcc, 0x3000, v2
	s_nop 1
	v_addc_co_u32_e32 v9, vcc, 0, v3, vcc
	v_add_co_u32_e32 v10, vcc, 0x4000, v2
	s_nop 1
	v_addc_co_u32_e32 v11, vcc, 0, v3, vcc
	global_load_dwordx2 v[20:21], v[8:9], off
	global_load_dwordx2 v[22:23], v[8:9], off offset:2048
	global_load_dwordx2 v[24:25], v[10:11], off
	global_load_dwordx2 v[26:27], v[10:11], off offset:2048
	v_add_co_u32_e32 v8, vcc, 0x5000, v2
	s_nop 1
	v_addc_co_u32_e32 v9, vcc, 0, v3, vcc
	v_add_co_u32_e32 v10, vcc, 0x6000, v2
	s_nop 1
	v_addc_co_u32_e32 v11, vcc, 0, v3, vcc
	global_load_dwordx2 v[28:29], v[8:9], off
	global_load_dwordx2 v[30:31], v[8:9], off offset:2048
	global_load_dwordx2 v[32:33], v[10:11], off
	global_load_dwordx2 v[34:35], v[10:11], off offset:2048
	v_add_co_u32_e32 v2, vcc, 0x7000, v2
	s_nop 1
	v_addc_co_u32_e32 v3, vcc, 0, v3, vcc
	global_load_dwordx2 v[2:3], v[2:3], off
	s_waitcnt vmcnt(13)
	ds_write2st64_b64 v62, v[4:5], v[6:7] offset1:4
	s_waitcnt vmcnt(11)
	ds_write2st64_b64 v62, v[12:13], v[14:15] offset0:8 offset1:12
	s_waitcnt vmcnt(9)
	ds_write2st64_b64 v62, v[16:17], v[18:19] offset0:16 offset1:20
	;; [unrolled: 2-line block ×6, first 2 shown]
	s_waitcnt vmcnt(0)
	ds_write_b64 v62, v[2:3] offset:28672
	s_waitcnt lgkmcnt(0)
	s_barrier
.LBB89_2:
	s_andn2_b64 vcc, exec, s[4:5]
	v_cmp_gt_u32_e64 s[4:5], s28, v0
	s_cbranch_vccnz .LBB89_34
; %bb.3:
	s_load_dwordx2 s[36:37], s[6:7], 0x0
	v_mov_b32_e32 v63, 0
	v_lshl_add_u64 v[34:35], s[6:7], 0, v[62:63]
	s_waitcnt lgkmcnt(0)
	s_mov_b32 s38, s36
	s_mov_b32 s39, s37
	;; [unrolled: 1-line block ×28, first 2 shown]
	v_mov_b64_e32 v[2:3], s[36:37]
	v_mov_b64_e32 v[4:5], s[38:39]
	;; [unrolled: 1-line block ×16, first 2 shown]
	s_and_saveexec_b64 s[6:7], s[4:5]
	s_cbranch_execz .LBB89_5
; %bb.4:
	global_load_dwordx2 v[2:3], v[34:35], off
	v_mov_b32_e32 v4, s36
	v_mov_b32_e32 v5, s37
	;; [unrolled: 1-line block ×28, first 2 shown]
.LBB89_5:
	s_or_b64 exec, exec, s[6:7]
	v_or_b32_e32 v1, 0x100, v0
	v_cmp_gt_u32_e32 vcc, s28, v1
	s_and_saveexec_b64 s[4:5], vcc
	s_cbranch_execz .LBB89_7
; %bb.6:
	global_load_dwordx2 v[4:5], v[34:35], off offset:2048
.LBB89_7:
	s_or_b64 exec, exec, s[4:5]
	v_or_b32_e32 v1, 0x200, v0
	v_cmp_gt_u32_e32 vcc, s28, v1
	s_and_saveexec_b64 s[4:5], vcc
	s_cbranch_execz .LBB89_9
; %bb.8:
	v_add_co_u32_e32 v6, vcc, 0x1000, v34
	s_nop 1
	v_addc_co_u32_e32 v7, vcc, 0, v35, vcc
	global_load_dwordx2 v[6:7], v[6:7], off
.LBB89_9:
	s_or_b64 exec, exec, s[4:5]
	v_or_b32_e32 v1, 0x300, v0
	v_cmp_gt_u32_e32 vcc, s28, v1
	s_and_saveexec_b64 s[4:5], vcc
	s_cbranch_execz .LBB89_11
; %bb.10:
	v_add_co_u32_e32 v8, vcc, 0x1000, v34
	s_nop 1
	v_addc_co_u32_e32 v9, vcc, 0, v35, vcc
	global_load_dwordx2 v[8:9], v[8:9], off offset:2048
.LBB89_11:
	s_or_b64 exec, exec, s[4:5]
	v_or_b32_e32 v1, 0x400, v0
	v_cmp_gt_u32_e32 vcc, s28, v1
	s_and_saveexec_b64 s[4:5], vcc
	s_cbranch_execz .LBB89_13
; %bb.12:
	v_add_co_u32_e32 v10, vcc, 0x2000, v34
	s_nop 1
	v_addc_co_u32_e32 v11, vcc, 0, v35, vcc
	global_load_dwordx2 v[10:11], v[10:11], off
.LBB89_13:
	s_or_b64 exec, exec, s[4:5]
	v_or_b32_e32 v1, 0x500, v0
	v_cmp_gt_u32_e32 vcc, s28, v1
	s_and_saveexec_b64 s[4:5], vcc
	s_cbranch_execz .LBB89_15
; %bb.14:
	v_add_co_u32_e32 v12, vcc, 0x2000, v34
	s_nop 1
	v_addc_co_u32_e32 v13, vcc, 0, v35, vcc
	global_load_dwordx2 v[12:13], v[12:13], off offset:2048
.LBB89_15:
	;; [unrolled: 22-line block ×6, first 2 shown]
	s_or_b64 exec, exec, s[4:5]
	v_or_b32_e32 v1, 0xe00, v0
	v_cmp_gt_u32_e32 vcc, s28, v1
	s_and_saveexec_b64 s[4:5], vcc
	s_cbranch_execz .LBB89_33
; %bb.32:
	v_add_co_u32_e32 v30, vcc, 0x7000, v34
	s_nop 1
	v_addc_co_u32_e32 v31, vcc, 0, v35, vcc
	global_load_dwordx2 v[30:31], v[30:31], off
.LBB89_33:
	s_or_b64 exec, exec, s[4:5]
	s_waitcnt vmcnt(0)
	ds_write2st64_b64 v62, v[2:3], v[4:5] offset1:4
	ds_write2st64_b64 v62, v[6:7], v[8:9] offset0:8 offset1:12
	ds_write2st64_b64 v62, v[10:11], v[12:13] offset0:16 offset1:20
	;; [unrolled: 1-line block ×6, first 2 shown]
	ds_write_b64 v62, v[30:31] offset:28672
	s_waitcnt lgkmcnt(0)
	s_barrier
.LBB89_34:
	s_load_dwordx2 s[24:25], s[0:1], 0x28
	v_mul_u32_u24_e32 v68, 15, v0
	v_lshlrev_b32_e32 v1, 3, v68
	s_waitcnt lgkmcnt(0)
	ds_read2_b64 v[34:37], v1 offset1:1
	ds_read2_b64 v[38:41], v1 offset0:2 offset1:3
	ds_read2_b64 v[42:45], v1 offset0:4 offset1:5
	;; [unrolled: 1-line block ×6, first 2 shown]
	ds_read_b64 v[64:65], v1 offset:112
	s_waitcnt lgkmcnt(7)
	v_lshl_add_u64 v[2:3], v[36:37], 0, v[34:35]
	s_cmp_lg_u32 s2, 0
	s_waitcnt lgkmcnt(6)
	v_lshl_add_u64 v[66:67], v[2:3], 0, v[38:39]
	v_lshrrev_b32_e32 v1, 5, v0
	v_cmp_gt_u32_e32 vcc, 64, v0
	s_waitcnt lgkmcnt(0)
	s_barrier
	s_cbranch_scc0 .LBB89_59
; %bb.35:
	v_lshl_add_u64 v[2:3], v[66:67], 0, v[40:41]
	v_lshl_add_u64 v[2:3], v[2:3], 0, v[42:43]
	;; [unrolled: 1-line block ×12, first 2 shown]
	v_add_lshl_u32 v4, v1, v0, 3
	ds_write_b64 v4, v[2:3]
	s_waitcnt lgkmcnt(0)
	s_barrier
	s_and_saveexec_b64 s[6:7], vcc
	s_cbranch_execz .LBB89_37
; %bb.36:
	v_lshlrev_b32_e32 v4, 2, v0
	v_lshrrev_b32_e32 v5, 3, v0
	v_add_lshl_u32 v20, v5, v4, 3
	ds_read2_b64 v[4:7], v20 offset1:1
	ds_read2_b64 v[8:11], v20 offset0:2 offset1:3
	v_mbcnt_lo_u32_b32 v13, -1, 0
	v_mov_b32_e32 v12, 0
	v_mbcnt_hi_u32_b32 v21, -1, v13
	s_waitcnt lgkmcnt(1)
	v_lshl_add_u64 v[14:15], v[6:7], 0, v[4:5]
	s_waitcnt lgkmcnt(0)
	v_lshl_add_u64 v[14:15], v[14:15], 0, v[8:9]
	v_lshl_add_u64 v[14:15], v[14:15], 0, v[10:11]
	v_and_b32_e32 v22, 15, v21
	v_mov_b32_e32 v17, v12
	v_mov_b32_dpp v16, v14 row_shr:1 row_mask:0xf bank_mask:0xf
	v_mov_b32_dpp v13, v15 row_shr:1 row_mask:0xf bank_mask:0xf
	v_lshl_add_u64 v[16:17], v[14:15], 0, v[16:17]
	v_cmp_eq_u32_e64 s[4:5], 0, v22
	v_lshl_add_u64 v[18:19], v[12:13], 0, v[16:17]
	v_mov_b32_e32 v17, v12
	v_cndmask_b32_e64 v23, v16, v14, s[4:5]
	v_cndmask_b32_e64 v15, v19, v15, s[4:5]
	v_cndmask_b32_e64 v14, v18, v14, s[4:5]
	v_mov_b32_dpp v16, v23 row_shr:2 row_mask:0xf bank_mask:0xf
	v_mov_b32_dpp v13, v15 row_shr:2 row_mask:0xf bank_mask:0xf
	v_lshl_add_u64 v[16:17], v[14:15], 0, v[16:17]
	v_cmp_lt_u32_e64 s[4:5], 1, v22
	v_lshl_add_u64 v[18:19], v[16:17], 0, v[12:13]
	v_mov_b32_e32 v17, v12
	v_cndmask_b32_e64 v23, v23, v16, s[4:5]
	v_cndmask_b32_e64 v15, v15, v19, s[4:5]
	v_cndmask_b32_e64 v14, v14, v18, s[4:5]
	v_mov_b32_dpp v16, v23 row_shr:4 row_mask:0xf bank_mask:0xf
	v_mov_b32_dpp v13, v15 row_shr:4 row_mask:0xf bank_mask:0xf
	v_lshl_add_u64 v[16:17], v[14:15], 0, v[16:17]
	v_cmp_lt_u32_e64 s[4:5], 3, v22
	;; [unrolled: 9-line block ×3, first 2 shown]
	v_lshl_add_u64 v[18:19], v[16:17], 0, v[12:13]
	v_mov_b32_e32 v17, v12
	v_cndmask_b32_e64 v22, v23, v16, s[4:5]
	v_cndmask_b32_e64 v15, v15, v19, s[4:5]
	;; [unrolled: 1-line block ×3, first 2 shown]
	v_mov_b32_dpp v16, v22 row_bcast:15 row_mask:0xf bank_mask:0xf
	v_and_b32_e32 v23, 16, v21
	v_mov_b32_dpp v13, v15 row_bcast:15 row_mask:0xf bank_mask:0xf
	v_lshl_add_u64 v[16:17], v[14:15], 0, v[16:17]
	v_cmp_eq_u32_e64 s[4:5], 0, v23
	v_lshl_add_u64 v[18:19], v[16:17], 0, v[12:13]
	v_mov_b32_e32 v17, v12
	v_cndmask_b32_e64 v13, v16, v22, s[4:5]
	v_cndmask_b32_e64 v15, v19, v15, s[4:5]
	;; [unrolled: 1-line block ×3, first 2 shown]
	v_mov_b32_dpp v16, v13 row_bcast:31 row_mask:0xf bank_mask:0xf
	v_mov_b32_dpp v18, v15 row_bcast:31 row_mask:0xf bank_mask:0xf
	v_lshl_add_u64 v[16:17], v[14:15], 0, v[16:17]
	v_add_u32_e32 v14, v18, v17
	v_cmp_lt_u32_e64 s[4:5], 31, v21
	s_nop 1
	v_cndmask_b32_e64 v13, v13, v16, s[4:5]
	v_cndmask_b32_e64 v15, v15, v14, s[4:5]
	v_add_u32_e32 v14, -1, v21
	v_and_b32_e32 v16, 64, v21
	v_cmp_lt_i32_e64 s[4:5], v14, v16
	s_nop 1
	v_cndmask_b32_e64 v14, v14, v21, s[4:5]
	v_lshlrev_b32_e32 v16, 2, v14
	ds_bpermute_b32 v14, v16, v13
	ds_bpermute_b32 v13, v16, v15
	v_mov_b32_e32 v15, v12
	v_cmp_eq_u32_e64 s[4:5], 0, v0
	s_waitcnt lgkmcnt(1)
	v_lshl_add_u64 v[4:5], v[4:5], 0, v[14:15]
	s_waitcnt lgkmcnt(0)
	v_lshl_add_u64 v[4:5], v[4:5], 0, v[12:13]
	v_cndmask_b32_e64 v3, v5, v3, s[4:5]
	v_cndmask_b32_e64 v2, v4, v2, s[4:5]
	v_lshl_add_u64 v[4:5], v[2:3], 0, v[6:7]
	ds_write2_b64 v20, v[2:3], v[4:5] offset1:1
	v_lshl_add_u64 v[2:3], v[4:5], 0, v[8:9]
	v_lshl_add_u64 v[4:5], v[2:3], 0, v[10:11]
	ds_write2_b64 v20, v[2:3], v[4:5] offset0:2 offset1:3
.LBB89_37:
	s_or_b64 exec, exec, s[6:7]
	v_cmp_eq_u32_e64 s[6:7], 0, v0
	v_cmp_ne_u32_e64 s[4:5], 0, v0
	v_mov_b64_e32 v[10:11], 0
	s_waitcnt lgkmcnt(0)
	s_barrier
	s_and_saveexec_b64 s[8:9], s[4:5]
	s_cbranch_execz .LBB89_39
; %bb.38:
	v_add_u32_e32 v2, -1, v0
	v_lshrrev_b32_e32 v3, 5, v2
	v_add_lshl_u32 v2, v3, v2, 3
	ds_read_b64 v[10:11], v2
.LBB89_39:
	s_or_b64 exec, exec, s[8:9]
	s_and_saveexec_b64 s[26:27], vcc
	s_cbranch_execz .LBB89_58
; %bb.40:
	v_mov_b32_e32 v5, 0
	ds_read_b64 v[2:3], v5 offset:2096
	v_mbcnt_lo_u32_b32 v4, -1, 0
	v_mbcnt_hi_u32_b32 v16, -1, v4
	s_mov_b32 s11, 0
	v_cmp_eq_u32_e64 s[4:5], 0, v16
	s_and_saveexec_b64 s[8:9], s[4:5]
	s_cbranch_execz .LBB89_42
; %bb.41:
	s_add_i32 s10, s2, 64
	s_lshl_b64 s[10:11], s[10:11], 4
	s_add_u32 s10, s24, s10
	s_addc_u32 s11, s25, s11
	v_mov_b32_e32 v4, 1
	v_mov_b64_e32 v[6:7], s[10:11]
	s_waitcnt lgkmcnt(0)
	;;#ASMSTART
	global_store_dwordx4 v[6:7], v[2:5] off sc1	
s_waitcnt vmcnt(0)
	;;#ASMEND
.LBB89_42:
	s_or_b64 exec, exec, s[8:9]
	v_xad_u32 v12, v16, -1, s2
	v_add_u32_e32 v4, 64, v12
	v_lshl_add_u64 v[14:15], v[4:5], 4, s[24:25]
	;;#ASMSTART
	global_load_dwordx4 v[6:9], v[14:15] off sc1	
s_waitcnt vmcnt(0)
	;;#ASMEND
	s_nop 0
	v_cmp_eq_u16_sdwa s[10:11], v8, v5 src0_sel:BYTE_0 src1_sel:DWORD
	s_and_saveexec_b64 s[8:9], s[10:11]
	s_cbranch_execz .LBB89_46
; %bb.43:
	s_mov_b64 s[10:11], 0
	v_mov_b32_e32 v4, 0
.LBB89_44:                              ; =>This Inner Loop Header: Depth=1
	;;#ASMSTART
	global_load_dwordx4 v[6:9], v[14:15] off sc1	
s_waitcnt vmcnt(0)
	;;#ASMEND
	s_nop 0
	v_cmp_ne_u16_sdwa s[12:13], v8, v4 src0_sel:BYTE_0 src1_sel:DWORD
	s_or_b64 s[10:11], s[12:13], s[10:11]
	s_andn2_b64 exec, exec, s[10:11]
	s_cbranch_execnz .LBB89_44
; %bb.45:
	s_or_b64 exec, exec, s[10:11]
.LBB89_46:
	s_or_b64 exec, exec, s[8:9]
	v_and_b32_e32 v17, 63, v16
	v_mov_b32_e32 v18, 2
	v_cmp_ne_u32_e32 vcc, 63, v17
	v_cmp_eq_u16_sdwa s[8:9], v8, v18 src0_sel:BYTE_0 src1_sel:DWORD
	v_lshlrev_b64 v[4:5], v16, -1
	v_addc_co_u32_e32 v14, vcc, 0, v16, vcc
	v_and_b32_e32 v9, s9, v5
	v_lshlrev_b32_e32 v19, 2, v14
	v_or_b32_e32 v9, 0x80000000, v9
	ds_bpermute_b32 v14, v19, v6
	v_and_b32_e32 v13, s8, v4
	v_ffbl_b32_e32 v9, v9
	ds_bpermute_b32 v23, v19, v7
	v_add_u32_e32 v9, 32, v9
	v_ffbl_b32_e32 v13, v13
	v_min_u32_e32 v9, v13, v9
	v_mov_b32_e32 v13, 0
	v_add_u32_e32 v20, 1, v16
	v_mov_b32_e32 v15, v13
	v_mov_b32_e32 v22, v13
	s_waitcnt lgkmcnt(1)
	v_lshl_add_u64 v[14:15], v[6:7], 0, v[14:15]
	v_cmp_le_u32_e32 vcc, v20, v9
	v_cmp_gt_u32_e64 s[8:9], 62, v17
	s_waitcnt lgkmcnt(0)
	v_lshl_add_u64 v[22:23], v[22:23], 0, v[14:15]
	v_cndmask_b32_e32 v26, v6, v14, vcc
	v_cndmask_b32_e64 v14, 0, 1, s[8:9]
	v_lshlrev_b32_e32 v14, 1, v14
	v_cndmask_b32_e32 v15, v7, v23, vcc
	v_add_lshl_u32 v21, v14, v16, 2
	ds_bpermute_b32 v24, v21, v26
	ds_bpermute_b32 v25, v21, v15
	v_cmp_gt_u32_e64 s[10:11], 60, v17
	v_cndmask_b32_e32 v14, v6, v22, vcc
	v_add_u32_e32 v22, 2, v16
	v_cndmask_b32_e64 v23, 0, 1, s[10:11]
	s_waitcnt lgkmcnt(0)
	v_lshl_add_u64 v[24:25], v[24:25], 0, v[14:15]
	v_cmp_le_u32_e64 s[8:9], v22, v9
	v_lshlrev_b32_e32 v23, 2, v23
	v_add_lshl_u32 v23, v23, v16, 2
	v_cndmask_b32_e64 v28, v26, v24, s[8:9]
	v_cndmask_b32_e64 v15, v15, v25, s[8:9]
	ds_bpermute_b32 v26, v23, v28
	ds_bpermute_b32 v27, v23, v15
	v_cmp_gt_u32_e64 s[12:13], 56, v17
	v_cndmask_b32_e64 v14, v14, v24, s[8:9]
	v_add_u32_e32 v24, 4, v16
	v_cndmask_b32_e64 v25, 0, 1, s[12:13]
	s_waitcnt lgkmcnt(0)
	v_lshl_add_u64 v[26:27], v[26:27], 0, v[14:15]
	v_cmp_le_u32_e64 s[10:11], v24, v9
	v_lshlrev_b32_e32 v25, 3, v25
	v_add_lshl_u32 v25, v25, v16, 2
	v_cndmask_b32_e64 v30, v28, v26, s[10:11]
	v_cndmask_b32_e64 v15, v15, v27, s[10:11]
	ds_bpermute_b32 v28, v25, v30
	ds_bpermute_b32 v29, v25, v15
	s_or_b64 s[12:13], vcc, s[8:9]
	v_cmp_gt_u32_e64 s[8:9], 48, v17
	v_cndmask_b32_e64 v14, v14, v26, s[10:11]
	v_add_u32_e32 v26, 8, v16
	v_cndmask_b32_e64 v27, 0, 1, s[8:9]
	s_waitcnt lgkmcnt(0)
	v_lshl_add_u64 v[28:29], v[28:29], 0, v[14:15]
	v_cmp_le_u32_e32 vcc, v26, v9
	v_lshlrev_b32_e32 v27, 4, v27
	v_add_lshl_u32 v27, v27, v16, 2
	v_cndmask_b32_e32 v63, v30, v28, vcc
	v_cndmask_b32_e32 v15, v15, v29, vcc
	ds_bpermute_b32 v30, v27, v63
	ds_bpermute_b32 v31, v27, v15
	s_or_b64 s[8:9], s[10:11], s[12:13]
	v_cndmask_b32_e32 v14, v14, v28, vcc
	v_add_u32_e32 v28, 16, v16
	s_or_b64 s[8:9], vcc, s[8:9]
	v_cmp_le_u32_e32 vcc, v28, v9
	s_or_b64 s[10:11], vcc, s[8:9]
	v_cmp_gt_u32_e64 s[8:9], 32, v17
	s_waitcnt lgkmcnt(0)
	v_lshl_add_u64 v[32:33], v[30:31], 0, v[14:15]
	v_cndmask_b32_e32 v30, v63, v32, vcc
	v_cndmask_b32_e64 v17, 0, 1, s[8:9]
	v_lshlrev_b32_e32 v17, 5, v17
	v_add_lshl_u32 v29, v17, v16, 2
	v_cndmask_b32_e32 v15, v15, v33, vcc
	ds_bpermute_b32 v17, v29, v15
	ds_bpermute_b32 v31, v29, v30
	v_add_u32_e32 v30, 32, v16
	v_cndmask_b32_e32 v14, v14, v32, vcc
	v_cmp_le_u32_e32 vcc, v30, v9
	s_waitcnt lgkmcnt(1)
	s_nop 0
	v_cndmask_b32_e32 v17, 0, v17, vcc
	s_waitcnt lgkmcnt(0)
	v_cndmask_b32_e32 v16, 0, v31, vcc
	v_lshl_add_u64 v[14:15], v[16:17], 0, v[14:15]
	s_or_b64 vcc, vcc, s[10:11]
	v_cndmask_b32_e32 v7, v7, v15, vcc
	v_cndmask_b32_e32 v6, v6, v14, vcc
	s_branch .LBB89_48
.LBB89_47:                              ;   in Loop: Header=BB89_48 Depth=1
	s_or_b64 exec, exec, s[8:9]
	v_cmp_eq_u16_sdwa s[8:9], v8, v18 src0_sel:BYTE_0 src1_sel:DWORD
	v_subrev_u32_e32 v9, 64, v12
	ds_bpermute_b32 v17, v19, v7
	v_and_b32_e32 v12, s9, v5
	v_or_b32_e32 v12, 0x80000000, v12
	v_ffbl_b32_e32 v12, v12
	v_add_u32_e32 v31, 32, v12
	ds_bpermute_b32 v12, v19, v6
	v_and_b32_e32 v16, s8, v4
	v_ffbl_b32_e32 v16, v16
	v_min_u32_e32 v31, v16, v31
	v_mov_b32_e32 v16, v13
	s_waitcnt lgkmcnt(0)
	v_lshl_add_u64 v[32:33], v[6:7], 0, v[12:13]
	v_lshl_add_u64 v[16:17], v[16:17], 0, v[32:33]
	v_cmp_le_u32_e32 vcc, v20, v31
	v_cmp_le_u32_e64 s[8:9], v22, v31
	v_cmp_le_u32_e64 s[10:11], v24, v31
	v_cndmask_b32_e32 v12, v6, v32, vcc
	v_cndmask_b32_e32 v17, v7, v17, vcc
	ds_bpermute_b32 v32, v21, v12
	ds_bpermute_b32 v33, v21, v17
	v_cndmask_b32_e32 v16, v6, v16, vcc
	v_cmp_le_u32_e64 s[12:13], v26, v31
	s_waitcnt lgkmcnt(0)
	v_lshl_add_u64 v[32:33], v[32:33], 0, v[16:17]
	v_cndmask_b32_e64 v12, v12, v32, s[8:9]
	v_cndmask_b32_e64 v17, v17, v33, s[8:9]
	ds_bpermute_b32 v70, v23, v12
	ds_bpermute_b32 v71, v23, v17
	v_cndmask_b32_e64 v16, v16, v32, s[8:9]
	s_or_b64 s[8:9], vcc, s[8:9]
	v_cmp_le_u32_e32 vcc, v28, v31
	s_or_b64 s[8:9], s[10:11], s[8:9]
	s_waitcnt lgkmcnt(0)
	v_lshl_add_u64 v[32:33], v[70:71], 0, v[16:17]
	v_cndmask_b32_e64 v12, v12, v32, s[10:11]
	v_cndmask_b32_e64 v17, v17, v33, s[10:11]
	ds_bpermute_b32 v70, v25, v12
	ds_bpermute_b32 v71, v25, v17
	v_cndmask_b32_e64 v16, v16, v32, s[10:11]
	s_or_b64 s[8:9], s[12:13], s[8:9]
	s_or_b64 s[8:9], vcc, s[8:9]
	s_waitcnt lgkmcnt(0)
	v_lshl_add_u64 v[32:33], v[70:71], 0, v[16:17]
	v_cndmask_b32_e64 v12, v12, v32, s[12:13]
	v_cndmask_b32_e64 v17, v17, v33, s[12:13]
	ds_bpermute_b32 v70, v27, v12
	ds_bpermute_b32 v71, v27, v17
	v_cndmask_b32_e64 v16, v16, v32, s[12:13]
	s_waitcnt lgkmcnt(0)
	v_lshl_add_u64 v[32:33], v[70:71], 0, v[16:17]
	v_cndmask_b32_e32 v12, v12, v32, vcc
	v_cndmask_b32_e32 v17, v17, v33, vcc
	ds_bpermute_b32 v33, v29, v17
	ds_bpermute_b32 v12, v29, v12
	v_cndmask_b32_e32 v16, v16, v32, vcc
	v_cmp_le_u32_e32 vcc, v30, v31
	s_waitcnt lgkmcnt(1)
	s_nop 0
	v_cndmask_b32_e32 v33, 0, v33, vcc
	s_waitcnt lgkmcnt(0)
	v_cndmask_b32_e32 v32, 0, v12, vcc
	v_lshl_add_u64 v[16:17], v[32:33], 0, v[16:17]
	s_or_b64 vcc, vcc, s[8:9]
	v_cndmask_b32_e32 v7, v7, v17, vcc
	v_cndmask_b32_e32 v6, v6, v16, vcc
	v_lshl_add_u64 v[6:7], v[6:7], 0, v[14:15]
	v_mov_b32_e32 v12, v9
.LBB89_48:                              ; =>This Loop Header: Depth=1
                                        ;     Child Loop BB89_51 Depth 2
	v_cmp_ne_u16_sdwa s[8:9], v8, v18 src0_sel:BYTE_0 src1_sel:DWORD
	v_mov_b64_e32 v[14:15], v[6:7]
	s_nop 0
	v_cndmask_b32_e64 v8, 0, 1, s[8:9]
	;;#ASMSTART
	;;#ASMEND
	s_nop 0
	v_cmp_ne_u32_e32 vcc, 0, v8
	s_cmp_lg_u64 vcc, exec
	s_cbranch_scc1 .LBB89_53
; %bb.49:                               ;   in Loop: Header=BB89_48 Depth=1
	v_lshl_add_u64 v[16:17], v[12:13], 4, s[24:25]
	;;#ASMSTART
	global_load_dwordx4 v[6:9], v[16:17] off sc1	
s_waitcnt vmcnt(0)
	;;#ASMEND
	s_nop 0
	v_cmp_eq_u16_sdwa s[10:11], v8, v13 src0_sel:BYTE_0 src1_sel:DWORD
	s_and_saveexec_b64 s[8:9], s[10:11]
	s_cbranch_execz .LBB89_47
; %bb.50:                               ;   in Loop: Header=BB89_48 Depth=1
	s_mov_b64 s[10:11], 0
.LBB89_51:                              ;   Parent Loop BB89_48 Depth=1
                                        ; =>  This Inner Loop Header: Depth=2
	;;#ASMSTART
	global_load_dwordx4 v[6:9], v[16:17] off sc1	
s_waitcnt vmcnt(0)
	;;#ASMEND
	s_nop 0
	v_cmp_ne_u16_sdwa s[12:13], v8, v13 src0_sel:BYTE_0 src1_sel:DWORD
	s_or_b64 s[10:11], s[12:13], s[10:11]
	s_andn2_b64 exec, exec, s[10:11]
	s_cbranch_execnz .LBB89_51
; %bb.52:                               ;   in Loop: Header=BB89_48 Depth=1
	s_or_b64 exec, exec, s[10:11]
	s_branch .LBB89_47
.LBB89_53:                              ;   in Loop: Header=BB89_48 Depth=1
                                        ; implicit-def: $vgpr6_vgpr7
                                        ; implicit-def: $vgpr8
	s_cbranch_execz .LBB89_48
; %bb.54:
	s_and_saveexec_b64 s[8:9], s[4:5]
	s_cbranch_execz .LBB89_56
; %bb.55:
	s_add_i32 s2, s2, 64
	s_mov_b32 s3, 0
	s_lshl_b64 s[2:3], s[2:3], 4
	s_add_u32 s2, s24, s2
	s_addc_u32 s3, s25, s3
	v_lshl_add_u64 v[2:3], v[14:15], 0, v[2:3]
	v_mov_b32_e32 v4, 2
	v_mov_b32_e32 v5, 0
	v_mov_b64_e32 v[6:7], s[2:3]
	;;#ASMSTART
	global_store_dwordx4 v[6:7], v[2:5] off sc1	
s_waitcnt vmcnt(0)
	;;#ASMEND
.LBB89_56:
	s_or_b64 exec, exec, s[8:9]
	s_and_b64 exec, exec, s[6:7]
	s_cbranch_execz .LBB89_58
; %bb.57:
	v_mov_b32_e32 v2, 0
	ds_write_b64 v2, v[14:15]
.LBB89_58:
	s_or_b64 exec, exec, s[26:27]
	v_mov_b32_e32 v2, 0
	s_waitcnt lgkmcnt(0)
	s_barrier
	ds_read_b64 v[2:3], v2
	s_waitcnt lgkmcnt(0)
	v_lshl_add_u64 v[2:3], v[2:3], 0, v[10:11]
	v_lshl_add_u64 v[4:5], v[2:3], 0, v[34:35]
	;; [unrolled: 1-line block ×15, first 2 shown]
	s_load_dwordx4 s[4:7], s[0:1], 0x38
	s_branch .LBB89_69
.LBB89_59:
                                        ; implicit-def: $vgpr2_vgpr3_vgpr4_vgpr5_vgpr6_vgpr7_vgpr8_vgpr9_vgpr10_vgpr11_vgpr12_vgpr13_vgpr14_vgpr15_vgpr16_vgpr17_vgpr18_vgpr19_vgpr20_vgpr21_vgpr22_vgpr23_vgpr24_vgpr25_vgpr26_vgpr27_vgpr28_vgpr29_vgpr30_vgpr31_vgpr32_vgpr33
	s_load_dwordx4 s[4:7], s[0:1], 0x38
	s_cbranch_execz .LBB89_69
; %bb.60:
	s_load_dword s2, s[0:1], 0x48
	s_waitcnt lgkmcnt(0)
	s_bitcmp0_b32 s2, 0
	s_cbranch_scc1 .LBB89_62
; %bb.61:
	s_add_u32 s2, s16, -8
	s_addc_u32 s3, s17, -1
	s_load_dwordx2 s[8:9], s[2:3], 0x0
	s_load_dwordx2 s[10:11], s[4:5], 0x0
	s_waitcnt lgkmcnt(0)
	s_add_u32 s22, s10, s8
	s_addc_u32 s23, s11, s9
.LBB89_62:
	v_lshl_add_u64 v[2:3], v[66:67], 0, v[40:41]
	v_lshl_add_u64 v[2:3], v[2:3], 0, v[42:43]
	;; [unrolled: 1-line block ×12, first 2 shown]
	v_add_lshl_u32 v1, v1, v0, 3
	v_cmp_gt_u32_e32 vcc, 64, v0
	ds_write_b64 v1, v[2:3]
	s_waitcnt lgkmcnt(0)
	s_barrier
	s_and_saveexec_b64 s[2:3], vcc
	s_cbranch_execz .LBB89_64
; %bb.63:
	v_lshlrev_b32_e32 v1, 2, v0
	v_lshrrev_b32_e32 v4, 3, v0
	v_add_lshl_u32 v1, v4, v1, 3
	ds_read2_b64 v[4:7], v1 offset1:1
	ds_read2_b64 v[8:11], v1 offset0:2 offset1:3
	v_mbcnt_lo_u32_b32 v13, -1, 0
	v_mov_b32_e32 v12, 0
	v_mbcnt_hi_u32_b32 v20, -1, v13
	s_waitcnt lgkmcnt(1)
	v_lshl_add_u64 v[14:15], v[6:7], 0, v[4:5]
	s_waitcnt lgkmcnt(0)
	v_lshl_add_u64 v[14:15], v[14:15], 0, v[8:9]
	v_lshl_add_u64 v[14:15], v[14:15], 0, v[10:11]
	v_and_b32_e32 v21, 15, v20
	v_mov_b32_e32 v17, v12
	v_mov_b32_dpp v16, v14 row_shr:1 row_mask:0xf bank_mask:0xf
	v_mov_b32_dpp v13, v15 row_shr:1 row_mask:0xf bank_mask:0xf
	v_lshl_add_u64 v[16:17], v[14:15], 0, v[16:17]
	v_cmp_eq_u32_e32 vcc, 0, v21
	v_lshl_add_u64 v[18:19], v[12:13], 0, v[16:17]
	v_mov_b32_e32 v17, v12
	v_cndmask_b32_e32 v22, v16, v14, vcc
	v_cndmask_b32_e32 v15, v19, v15, vcc
	v_cndmask_b32_e32 v14, v18, v14, vcc
	v_mov_b32_dpp v16, v22 row_shr:2 row_mask:0xf bank_mask:0xf
	v_mov_b32_dpp v13, v15 row_shr:2 row_mask:0xf bank_mask:0xf
	v_lshl_add_u64 v[16:17], v[14:15], 0, v[16:17]
	v_cmp_lt_u32_e32 vcc, 1, v21
	v_lshl_add_u64 v[18:19], v[16:17], 0, v[12:13]
	v_mov_b32_e32 v17, v12
	v_cndmask_b32_e32 v22, v22, v16, vcc
	v_cndmask_b32_e32 v15, v15, v19, vcc
	v_cndmask_b32_e32 v14, v14, v18, vcc
	v_mov_b32_dpp v16, v22 row_shr:4 row_mask:0xf bank_mask:0xf
	v_mov_b32_dpp v13, v15 row_shr:4 row_mask:0xf bank_mask:0xf
	v_lshl_add_u64 v[16:17], v[14:15], 0, v[16:17]
	v_cmp_lt_u32_e32 vcc, 3, v21
	v_lshl_add_u64 v[18:19], v[16:17], 0, v[12:13]
	v_mov_b32_e32 v17, v12
	v_cndmask_b32_e32 v22, v22, v16, vcc
	v_cndmask_b32_e32 v15, v15, v19, vcc
	v_cndmask_b32_e32 v14, v14, v18, vcc
	v_mov_b32_dpp v16, v22 row_shr:8 row_mask:0xf bank_mask:0xf
	v_mov_b32_dpp v13, v15 row_shr:8 row_mask:0xf bank_mask:0xf
	v_lshl_add_u64 v[16:17], v[14:15], 0, v[16:17]
	v_cmp_lt_u32_e32 vcc, 7, v21
	v_lshl_add_u64 v[18:19], v[16:17], 0, v[12:13]
	v_mov_b32_e32 v17, v12
	v_cndmask_b32_e32 v21, v22, v16, vcc
	v_cndmask_b32_e32 v15, v15, v19, vcc
	;; [unrolled: 1-line block ×3, first 2 shown]
	v_mov_b32_dpp v16, v21 row_bcast:15 row_mask:0xf bank_mask:0xf
	v_and_b32_e32 v22, 16, v20
	v_mov_b32_dpp v13, v15 row_bcast:15 row_mask:0xf bank_mask:0xf
	v_lshl_add_u64 v[16:17], v[14:15], 0, v[16:17]
	v_cmp_eq_u32_e32 vcc, 0, v22
	v_lshl_add_u64 v[18:19], v[16:17], 0, v[12:13]
	v_mov_b32_e32 v17, v12
	v_cndmask_b32_e32 v13, v16, v21, vcc
	v_cndmask_b32_e32 v15, v19, v15, vcc
	;; [unrolled: 1-line block ×3, first 2 shown]
	v_mov_b32_dpp v16, v13 row_bcast:31 row_mask:0xf bank_mask:0xf
	v_mov_b32_dpp v18, v15 row_bcast:31 row_mask:0xf bank_mask:0xf
	v_lshl_add_u64 v[16:17], v[14:15], 0, v[16:17]
	v_add_u32_e32 v14, v18, v17
	v_cmp_lt_u32_e32 vcc, 31, v20
	s_nop 1
	v_cndmask_b32_e32 v13, v13, v16, vcc
	v_cndmask_b32_e32 v15, v15, v14, vcc
	v_add_u32_e32 v14, -1, v20
	v_and_b32_e32 v16, 64, v20
	v_cmp_lt_i32_e32 vcc, v14, v16
	s_nop 1
	v_cndmask_b32_e32 v14, v14, v20, vcc
	v_lshlrev_b32_e32 v16, 2, v14
	ds_bpermute_b32 v14, v16, v13
	ds_bpermute_b32 v13, v16, v15
	v_mov_b32_e32 v15, v12
	v_cmp_eq_u32_e32 vcc, 0, v0
	s_waitcnt lgkmcnt(1)
	v_lshl_add_u64 v[4:5], v[4:5], 0, v[14:15]
	s_waitcnt lgkmcnt(0)
	v_lshl_add_u64 v[4:5], v[4:5], 0, v[12:13]
	v_cndmask_b32_e32 v3, v5, v3, vcc
	v_cndmask_b32_e32 v2, v4, v2, vcc
	v_lshl_add_u64 v[4:5], v[2:3], 0, v[6:7]
	ds_write2_b64 v1, v[2:3], v[4:5] offset1:1
	v_lshl_add_u64 v[2:3], v[4:5], 0, v[8:9]
	v_lshl_add_u64 v[4:5], v[2:3], 0, v[10:11]
	ds_write2_b64 v1, v[2:3], v[4:5] offset0:2 offset1:3
.LBB89_64:
	s_or_b64 exec, exec, s[2:3]
	v_cmp_eq_u32_e32 vcc, 0, v0
	v_cmp_ne_u32_e64 s[2:3], 0, v0
	v_mov_b64_e32 v[2:3], s[22:23]
	s_waitcnt lgkmcnt(0)
	s_barrier
	s_and_saveexec_b64 s[4:5], s[2:3]
	s_cbranch_execz .LBB89_66
; %bb.65:
	v_add_u32_e32 v1, -1, v0
	v_lshrrev_b32_e32 v2, 5, v1
	v_add_lshl_u32 v1, v2, v1, 3
	ds_read_b64 v[2:3], v1
	s_waitcnt lgkmcnt(0)
	v_lshl_add_u64 v[2:3], v[2:3], 0, s[22:23]
.LBB89_66:
	s_or_b64 exec, exec, s[4:5]
	v_lshl_add_u64 v[4:5], v[2:3], 0, v[34:35]
	v_lshl_add_u64 v[6:7], v[4:5], 0, v[36:37]
	;; [unrolled: 1-line block ×14, first 2 shown]
	s_and_saveexec_b64 s[2:3], vcc
	s_cbranch_execz .LBB89_68
; %bb.67:
	v_mov_b32_e32 v35, 0
	ds_read_b64 v[32:33], v35 offset:2096
	s_add_u32 s4, s24, 0x400
	s_addc_u32 s5, s25, 0
	v_mov_b32_e32 v34, 2
	v_mov_b64_e32 v[36:37], s[4:5]
	s_waitcnt lgkmcnt(0)
	v_lshl_add_u64 v[32:33], v[32:33], 0, s[22:23]
	;;#ASMSTART
	global_store_dwordx4 v[36:37], v[32:35] off sc1	
s_waitcnt vmcnt(0)
	;;#ASMEND
.LBB89_68:
	s_or_b64 exec, exec, s[2:3]
.LBB89_69:
	s_add_u32 s2, s18, s20
	s_addc_u32 s3, s19, s21
	s_waitcnt lgkmcnt(0)
	s_mov_b64 s[4:5], -1
	s_and_b64 vcc, exec, s[14:15]
	s_barrier
	s_cbranch_vccz .LBB89_71
; %bb.70:
	v_mul_u32_u24_e32 v1, 0x78, v0
	s_movk_i32 s4, 0x78
	ds_write2_b64 v1, v[2:3], v[4:5] offset1:1
	ds_write2_b64 v1, v[6:7], v[8:9] offset0:2 offset1:3
	ds_write2_b64 v1, v[10:11], v[12:13] offset0:4 offset1:5
	;; [unrolled: 1-line block ×6, first 2 shown]
	ds_write_b64 v1, v[30:31] offset:112
	v_mul_i32_i24_e32 v1, 0xffffff90, v0
	v_mad_u32_u24 v1, v0, s4, v1
	v_mov_b32_e32 v63, 0
	s_waitcnt lgkmcnt(0)
	s_barrier
	ds_read2st64_b64 v[32:35], v1 offset1:4
	ds_read2st64_b64 v[36:39], v1 offset0:8 offset1:12
	ds_read2st64_b64 v[40:43], v1 offset0:16 offset1:20
	;; [unrolled: 1-line block ×6, first 2 shown]
	ds_read_b64 v[60:61], v1 offset:28672
	v_lshl_add_u64 v[64:65], s[2:3], 0, v[62:63]
	s_movk_i32 s4, 0x1000
	s_waitcnt lgkmcnt(7)
	global_store_dwordx2 v62, v[32:33], s[2:3]
	global_store_dwordx2 v62, v[34:35], s[2:3] offset:2048
	v_add_co_u32_e32 v32, vcc, s4, v64
	s_movk_i32 s4, 0x2000
	s_nop 0
	v_addc_co_u32_e32 v33, vcc, 0, v65, vcc
	v_add_co_u32_e32 v34, vcc, s4, v64
	s_movk_i32 s4, 0x3000
	s_nop 0
	v_addc_co_u32_e32 v35, vcc, 0, v65, vcc
	s_waitcnt lgkmcnt(6)
	global_store_dwordx2 v[34:35], v[36:37], off offset:-4096
	global_store_dwordx2 v[32:33], v[38:39], off offset:2048
	s_waitcnt lgkmcnt(5)
	global_store_dwordx2 v[34:35], v[40:41], off
	global_store_dwordx2 v[34:35], v[42:43], off offset:2048
	v_add_co_u32_e32 v32, vcc, s4, v64
	s_movk_i32 s4, 0x4000
	s_nop 0
	v_addc_co_u32_e32 v33, vcc, 0, v65, vcc
	v_add_co_u32_e32 v34, vcc, s4, v64
	s_movk_i32 s4, 0x5000
	s_nop 0
	v_addc_co_u32_e32 v35, vcc, 0, v65, vcc
	s_waitcnt lgkmcnt(4)
	global_store_dwordx2 v[34:35], v[44:45], off offset:-4096
	global_store_dwordx2 v[32:33], v[46:47], off offset:2048
	s_waitcnt lgkmcnt(3)
	global_store_dwordx2 v[34:35], v[48:49], off
	global_store_dwordx2 v[34:35], v[50:51], off offset:2048
	v_add_co_u32_e32 v32, vcc, s4, v64
	s_mov_b64 s[4:5], 0
	s_nop 0
	v_addc_co_u32_e32 v33, vcc, 0, v65, vcc
	s_waitcnt lgkmcnt(2)
	global_store_dwordx2 v[32:33], v[52:53], off
	global_store_dwordx2 v[32:33], v[54:55], off offset:2048
	v_add_co_u32_e32 v32, vcc, 0x6000, v64
	s_nop 1
	v_addc_co_u32_e32 v33, vcc, 0, v65, vcc
	s_waitcnt lgkmcnt(1)
	global_store_dwordx2 v[32:33], v[56:57], off
	global_store_dwordx2 v[32:33], v[58:59], off offset:2048
	v_add_co_u32_e32 v32, vcc, 0x7000, v64
	s_nop 1
	v_addc_co_u32_e32 v33, vcc, 0, v65, vcc
	s_waitcnt lgkmcnt(0)
	global_store_dwordx2 v[32:33], v[60:61], off
.LBB89_71:
	s_andn2_b64 vcc, exec, s[4:5]
	s_cbranch_vccnz .LBB89_157
; %bb.72:
	v_mul_u32_u24_e32 v1, 0x78, v0
	s_movk_i32 s4, 0x78
	ds_write2_b64 v1, v[2:3], v[4:5] offset1:1
	ds_write2_b64 v1, v[6:7], v[8:9] offset0:2 offset1:3
	ds_write2_b64 v1, v[10:11], v[12:13] offset0:4 offset1:5
	;; [unrolled: 1-line block ×6, first 2 shown]
	ds_write_b64 v1, v[30:31] offset:112
	v_mul_i32_i24_e32 v1, 0xffffff90, v0
	v_mad_u32_u24 v1, v0, s4, v1
	s_waitcnt lgkmcnt(0)
	s_barrier
	ds_read2st64_b64 v[6:9], v1 offset1:4
	ds_read2st64_b64 v[14:17], v1 offset0:8 offset1:12
	ds_read2st64_b64 v[10:13], v1 offset0:16 offset1:20
	ds_read2st64_b64 v[26:29], v1 offset0:24 offset1:28
	ds_read2st64_b64 v[18:21], v1 offset0:32 offset1:36
	ds_read2st64_b64 v[2:5], v1 offset0:40 offset1:44
	ds_read2st64_b64 v[22:25], v1 offset0:48 offset1:52
	ds_read_b64 v[30:31], v1 offset:28672
	v_mov_b32_e32 v63, 0
	v_lshl_add_u64 v[32:33], s[2:3], 0, v[62:63]
	v_cmp_gt_u32_e32 vcc, s28, v0
	s_and_saveexec_b64 s[2:3], vcc
	s_cbranch_execz .LBB89_74
; %bb.73:
	s_waitcnt lgkmcnt(7)
	global_store_dwordx2 v[32:33], v[6:7], off
.LBB89_74:
	s_or_b64 exec, exec, s[2:3]
	v_or_b32_e32 v1, 0x100, v0
	v_cmp_gt_u32_e32 vcc, s28, v1
	s_and_saveexec_b64 s[2:3], vcc
	s_cbranch_execz .LBB89_76
; %bb.75:
	s_waitcnt lgkmcnt(7)
	global_store_dwordx2 v[32:33], v[8:9], off offset:2048
.LBB89_76:
	s_or_b64 exec, exec, s[2:3]
	v_or_b32_e32 v1, 0x200, v0
	v_cmp_gt_u32_e32 vcc, s28, v1
	s_and_saveexec_b64 s[2:3], vcc
	s_cbranch_execz .LBB89_78
; %bb.77:
	v_add_co_u32_e32 v34, vcc, 0x1000, v32
	s_nop 1
	v_addc_co_u32_e32 v35, vcc, 0, v33, vcc
	s_waitcnt lgkmcnt(6)
	global_store_dwordx2 v[34:35], v[14:15], off
.LBB89_78:
	s_or_b64 exec, exec, s[2:3]
	v_or_b32_e32 v1, 0x300, v0
	v_cmp_gt_u32_e32 vcc, s28, v1
	s_and_saveexec_b64 s[2:3], vcc
	s_cbranch_execz .LBB89_80
; %bb.79:
	v_add_co_u32_e32 v34, vcc, 0x1000, v32
	s_nop 1
	v_addc_co_u32_e32 v35, vcc, 0, v33, vcc
	s_waitcnt lgkmcnt(6)
	global_store_dwordx2 v[34:35], v[16:17], off offset:2048
.LBB89_80:
	s_or_b64 exec, exec, s[2:3]
	v_or_b32_e32 v1, 0x400, v0
	v_cmp_gt_u32_e32 vcc, s28, v1
	s_and_saveexec_b64 s[2:3], vcc
	s_cbranch_execz .LBB89_82
; %bb.81:
	v_add_co_u32_e32 v34, vcc, 0x2000, v32
	s_nop 1
	v_addc_co_u32_e32 v35, vcc, 0, v33, vcc
	s_waitcnt lgkmcnt(5)
	global_store_dwordx2 v[34:35], v[10:11], off
.LBB89_82:
	s_or_b64 exec, exec, s[2:3]
	v_or_b32_e32 v1, 0x500, v0
	v_cmp_gt_u32_e32 vcc, s28, v1
	s_and_saveexec_b64 s[2:3], vcc
	s_cbranch_execz .LBB89_84
; %bb.83:
	v_add_co_u32_e32 v34, vcc, 0x2000, v32
	s_nop 1
	v_addc_co_u32_e32 v35, vcc, 0, v33, vcc
	s_waitcnt lgkmcnt(5)
	global_store_dwordx2 v[34:35], v[12:13], off offset:2048
.LBB89_84:
	s_or_b64 exec, exec, s[2:3]
	v_or_b32_e32 v1, 0x600, v0
	v_cmp_gt_u32_e32 vcc, s28, v1
	s_and_saveexec_b64 s[2:3], vcc
	s_cbranch_execz .LBB89_86
; %bb.85:
	v_add_co_u32_e32 v34, vcc, 0x3000, v32
	s_nop 1
	v_addc_co_u32_e32 v35, vcc, 0, v33, vcc
	s_waitcnt lgkmcnt(4)
	global_store_dwordx2 v[34:35], v[26:27], off
.LBB89_86:
	s_or_b64 exec, exec, s[2:3]
	v_or_b32_e32 v1, 0x700, v0
	v_cmp_gt_u32_e32 vcc, s28, v1
	s_and_saveexec_b64 s[2:3], vcc
	s_cbranch_execz .LBB89_88
; %bb.87:
	v_add_co_u32_e32 v34, vcc, 0x3000, v32
	s_nop 1
	v_addc_co_u32_e32 v35, vcc, 0, v33, vcc
	s_waitcnt lgkmcnt(4)
	global_store_dwordx2 v[34:35], v[28:29], off offset:2048
.LBB89_88:
	s_or_b64 exec, exec, s[2:3]
	v_or_b32_e32 v1, 0x800, v0
	v_cmp_gt_u32_e32 vcc, s28, v1
	s_and_saveexec_b64 s[2:3], vcc
	s_cbranch_execz .LBB89_90
; %bb.89:
	v_add_co_u32_e32 v34, vcc, 0x4000, v32
	s_nop 1
	v_addc_co_u32_e32 v35, vcc, 0, v33, vcc
	s_waitcnt lgkmcnt(3)
	global_store_dwordx2 v[34:35], v[18:19], off
.LBB89_90:
	s_or_b64 exec, exec, s[2:3]
	v_or_b32_e32 v1, 0x900, v0
	v_cmp_gt_u32_e32 vcc, s28, v1
	s_and_saveexec_b64 s[2:3], vcc
	s_cbranch_execz .LBB89_92
; %bb.91:
	v_add_co_u32_e32 v34, vcc, 0x4000, v32
	s_nop 1
	v_addc_co_u32_e32 v35, vcc, 0, v33, vcc
	s_waitcnt lgkmcnt(3)
	global_store_dwordx2 v[34:35], v[20:21], off offset:2048
.LBB89_92:
	s_or_b64 exec, exec, s[2:3]
	v_or_b32_e32 v1, 0xa00, v0
	v_cmp_gt_u32_e32 vcc, s28, v1
	s_and_saveexec_b64 s[2:3], vcc
	s_cbranch_execz .LBB89_94
; %bb.93:
	v_add_co_u32_e32 v34, vcc, 0x5000, v32
	s_nop 1
	v_addc_co_u32_e32 v35, vcc, 0, v33, vcc
	s_waitcnt lgkmcnt(2)
	global_store_dwordx2 v[34:35], v[2:3], off
.LBB89_94:
	s_or_b64 exec, exec, s[2:3]
	v_or_b32_e32 v1, 0xb00, v0
	v_cmp_gt_u32_e32 vcc, s28, v1
	s_and_saveexec_b64 s[2:3], vcc
	s_cbranch_execz .LBB89_96
; %bb.95:
	v_add_co_u32_e32 v34, vcc, 0x5000, v32
	s_nop 1
	v_addc_co_u32_e32 v35, vcc, 0, v33, vcc
	s_waitcnt lgkmcnt(2)
	global_store_dwordx2 v[34:35], v[4:5], off offset:2048
.LBB89_96:
	s_or_b64 exec, exec, s[2:3]
	v_or_b32_e32 v1, 0xc00, v0
	v_cmp_gt_u32_e32 vcc, s28, v1
	s_and_saveexec_b64 s[2:3], vcc
	s_cbranch_execz .LBB89_98
; %bb.97:
	v_add_co_u32_e32 v34, vcc, 0x6000, v32
	s_nop 1
	v_addc_co_u32_e32 v35, vcc, 0, v33, vcc
	s_waitcnt lgkmcnt(1)
	global_store_dwordx2 v[34:35], v[22:23], off
.LBB89_98:
	s_or_b64 exec, exec, s[2:3]
	v_or_b32_e32 v1, 0xd00, v0
	v_cmp_gt_u32_e32 vcc, s28, v1
	s_and_saveexec_b64 s[2:3], vcc
	s_cbranch_execz .LBB89_100
; %bb.99:
	v_add_co_u32_e32 v34, vcc, 0x6000, v32
	s_nop 1
	v_addc_co_u32_e32 v35, vcc, 0, v33, vcc
	s_waitcnt lgkmcnt(1)
	global_store_dwordx2 v[34:35], v[24:25], off offset:2048
.LBB89_100:
	s_or_b64 exec, exec, s[2:3]
	v_or_b32_e32 v1, 0xe00, v0
	v_cmp_gt_u32_e32 vcc, s28, v1
	s_and_saveexec_b64 s[2:3], vcc
	s_cbranch_execz .LBB89_102
; %bb.101:
	v_add_co_u32_e32 v32, vcc, 0x7000, v32
	s_nop 1
	v_addc_co_u32_e32 v33, vcc, 0, v33, vcc
	s_waitcnt lgkmcnt(0)
	global_store_dwordx2 v[32:33], v[30:31], off
.LBB89_102:
	s_or_b64 exec, exec, s[2:3]
	s_load_dword s0, s[0:1], 0x48
	s_waitcnt lgkmcnt(0)
	s_bfe_u32 s0, s0, 0x10008
	s_cmp_eq_u32 s0, 0
	s_cbranch_scc1 .LBB89_157
; %bb.103:
	s_add_u32 s0, s28, -1
	s_addc_u32 s1, s29, -1
	s_add_u32 s2, 0, 0x11108400
	s_addc_u32 s3, 0, 49
	s_add_i32 s3, s3, 0x111110e0
	s_mul_hi_u32 s9, s2, -15
	s_sub_i32 s9, s9, s2
	s_mul_i32 s10, s3, -15
	s_mul_i32 s4, s2, -15
	s_add_i32 s9, s9, s10
	s_mul_hi_u32 s5, s3, s4
	s_mul_i32 s8, s3, s4
	s_mul_i32 s11, s2, s9
	s_mul_hi_u32 s4, s2, s4
	s_mul_hi_u32 s10, s2, s9
	s_add_u32 s4, s4, s11
	s_addc_u32 s10, 0, s10
	s_add_u32 s4, s4, s8
	s_mul_hi_u32 s11, s3, s9
	s_addc_u32 s4, s10, s5
	s_addc_u32 s5, s11, 0
	s_mul_i32 s8, s3, s9
	s_add_u32 s4, s4, s8
	v_mov_b32_e32 v32, s4
	s_addc_u32 s5, 0, s5
	v_add_co_u32_e32 v32, vcc, s2, v32
	s_cmp_lg_u64 vcc, 0
	s_addc_u32 s2, s3, s5
	v_readfirstlane_b32 s5, v32
	s_mul_i32 s4, s0, s2
	s_mul_hi_u32 s8, s0, s5
	s_mul_hi_u32 s3, s0, s2
	s_add_u32 s4, s8, s4
	s_addc_u32 s3, 0, s3
	s_mul_hi_u32 s9, s1, s5
	s_mul_i32 s5, s1, s5
	s_add_u32 s4, s4, s5
	s_mul_hi_u32 s8, s1, s2
	s_addc_u32 s3, s3, s9
	s_addc_u32 s4, s8, 0
	s_mul_i32 s2, s1, s2
	s_add_u32 s2, s3, s2
	s_addc_u32 s3, 0, s4
	s_add_u32 s4, s2, 1
	s_addc_u32 s5, s3, 0
	s_add_u32 s8, s2, 2
	s_mul_i32 s10, s3, 15
	s_mul_hi_u32 s11, s2, 15
	s_addc_u32 s9, s3, 0
	s_add_i32 s11, s11, s10
	s_mul_i32 s10, s2, 15
	v_mov_b32_e32 v32, s10
	v_sub_co_u32_e32 v32, vcc, s0, v32
	s_cmp_lg_u64 vcc, 0
	s_subb_u32 s10, s1, s11
	v_subrev_co_u32_e32 v33, vcc, 15, v32
	s_cmp_lg_u64 vcc, 0
	s_subb_u32 s11, s10, 0
	v_readfirstlane_b32 s12, v33
	s_cmp_gt_u32 s12, 14
	s_cselect_b32 s12, -1, 0
	s_cmp_eq_u32 s11, 0
	s_cselect_b32 s11, s12, -1
	s_cmp_lg_u32 s11, 0
	s_cselect_b32 s4, s8, s4
	v_readfirstlane_b32 s8, v32
	s_cselect_b32 s5, s9, s5
	s_cmp_gt_u32 s8, 14
	s_cselect_b32 s8, -1, 0
	s_cmp_eq_u32 s10, 0
	s_cselect_b32 s8, s8, -1
	s_cmp_lg_u32 s8, 0
	v_mov_b32_e32 v1, v63
	s_cselect_b32 s3, s5, s3
	s_cselect_b32 s2, s4, s2
	v_cmp_eq_u64_e32 vcc, s[2:3], v[0:1]
	s_and_saveexec_b64 s[2:3], vcc
	s_cbranch_execz .LBB89_157
; %bb.104:
	v_mul_hi_u32_u24_e32 v1, 15, v0
	v_mov_b32_e32 v32, s1
	v_sub_co_u32_e32 v0, vcc, s0, v68
	s_nop 1
	v_subb_co_u32_e32 v1, vcc, v32, v1, vcc
	v_cmp_lt_i64_e32 vcc, 7, v[0:1]
	s_and_saveexec_b64 s[0:1], vcc
	s_xor_b64 s[0:1], exec, s[0:1]
	s_cbranch_execz .LBB89_130
; %bb.105:
	v_cmp_lt_i64_e32 vcc, 10, v[0:1]
	s_and_saveexec_b64 s[2:3], vcc
	s_xor_b64 s[2:3], exec, s[2:3]
	s_cbranch_execz .LBB89_119
; %bb.106:
	;; [unrolled: 5-line block ×4, first 2 shown]
	v_mov_b32_e32 v0, 0
	global_store_dwordx2 v0, v[30:31], s[6:7]
                                        ; implicit-def: $vgpr22_vgpr23_vgpr24_vgpr25
.LBB89_109:
	s_andn2_saveexec_b64 s[8:9], s[8:9]
	s_cbranch_execz .LBB89_111
; %bb.110:
	v_mov_b32_e32 v0, 0
	global_store_dwordx2 v0, v[24:25], s[6:7]
.LBB89_111:
	s_or_b64 exec, exec, s[8:9]
                                        ; implicit-def: $vgpr2_vgpr3_vgpr4_vgpr5
                                        ; implicit-def: $vgpr0_vgpr1
                                        ; implicit-def: $vgpr22_vgpr23_vgpr24_vgpr25
.LBB89_112:
	s_andn2_saveexec_b64 s[4:5], s[4:5]
	s_cbranch_execz .LBB89_118
; %bb.113:
	v_cmp_lt_i64_e32 vcc, 11, v[0:1]
	s_and_saveexec_b64 s[8:9], vcc
	s_xor_b64 s[8:9], exec, s[8:9]
	s_cbranch_execz .LBB89_115
; %bb.114:
	v_mov_b32_e32 v0, 0
	global_store_dwordx2 v0, v[22:23], s[6:7]
                                        ; implicit-def: $vgpr2_vgpr3_vgpr4_vgpr5
.LBB89_115:
	s_andn2_saveexec_b64 s[8:9], s[8:9]
	s_cbranch_execz .LBB89_117
; %bb.116:
	v_mov_b32_e32 v0, 0
	global_store_dwordx2 v0, v[4:5], s[6:7]
.LBB89_117:
	s_or_b64 exec, exec, s[8:9]
.LBB89_118:
	s_or_b64 exec, exec, s[4:5]
                                        ; implicit-def: $vgpr18_vgpr19_vgpr20_vgpr21
                                        ; implicit-def: $vgpr0_vgpr1
                                        ; implicit-def: $vgpr2_vgpr3_vgpr4_vgpr5
.LBB89_119:
	s_andn2_saveexec_b64 s[2:3], s[2:3]
	s_cbranch_execz .LBB89_129
; %bb.120:
	v_cmp_lt_i64_e32 vcc, 8, v[0:1]
	s_and_saveexec_b64 s[4:5], vcc
	s_xor_b64 s[4:5], exec, s[4:5]
	s_cbranch_execz .LBB89_126
; %bb.121:
	v_cmp_lt_i64_e32 vcc, 9, v[0:1]
	s_and_saveexec_b64 s[8:9], vcc
	s_xor_b64 s[8:9], exec, s[8:9]
	s_cbranch_execz .LBB89_123
; %bb.122:
	v_mov_b32_e32 v0, 0
	global_store_dwordx2 v0, v[2:3], s[6:7]
                                        ; implicit-def: $vgpr18_vgpr19_vgpr20_vgpr21
.LBB89_123:
	s_andn2_saveexec_b64 s[8:9], s[8:9]
	s_cbranch_execz .LBB89_125
; %bb.124:
	v_mov_b32_e32 v0, 0
	global_store_dwordx2 v0, v[20:21], s[6:7]
.LBB89_125:
	s_or_b64 exec, exec, s[8:9]
                                        ; implicit-def: $vgpr18_vgpr19_vgpr20_vgpr21
.LBB89_126:
	s_andn2_saveexec_b64 s[4:5], s[4:5]
	s_cbranch_execz .LBB89_128
; %bb.127:
	v_mov_b32_e32 v0, 0
	global_store_dwordx2 v0, v[18:19], s[6:7]
.LBB89_128:
	s_or_b64 exec, exec, s[4:5]
.LBB89_129:
	s_or_b64 exec, exec, s[2:3]
                                        ; implicit-def: $vgpr0_vgpr1
                                        ; implicit-def: $vgpr6_vgpr7_vgpr8_vgpr9
                                        ; implicit-def: $vgpr10_vgpr11_vgpr12_vgpr13
                                        ; implicit-def: $vgpr14_vgpr15_vgpr16_vgpr17
                                        ; implicit-def: $vgpr26_vgpr27_vgpr28_vgpr29
.LBB89_130:
	s_andn2_saveexec_b64 s[0:1], s[0:1]
	s_cbranch_execz .LBB89_157
; %bb.131:
	v_cmp_lt_i64_e32 vcc, 3, v[0:1]
	s_and_saveexec_b64 s[0:1], vcc
	s_xor_b64 s[0:1], exec, s[0:1]
	s_cbranch_execz .LBB89_145
; %bb.132:
	v_cmp_lt_i64_e32 vcc, 5, v[0:1]
	s_and_saveexec_b64 s[2:3], vcc
	s_xor_b64 s[2:3], exec, s[2:3]
	;; [unrolled: 5-line block ×3, first 2 shown]
	s_cbranch_execz .LBB89_135
; %bb.134:
	v_mov_b32_e32 v0, 0
	global_store_dwordx2 v0, v[28:29], s[6:7]
                                        ; implicit-def: $vgpr26_vgpr27_vgpr28_vgpr29
.LBB89_135:
	s_andn2_saveexec_b64 s[4:5], s[4:5]
	s_cbranch_execz .LBB89_137
; %bb.136:
	v_mov_b32_e32 v0, 0
	global_store_dwordx2 v0, v[26:27], s[6:7]
.LBB89_137:
	s_or_b64 exec, exec, s[4:5]
                                        ; implicit-def: $vgpr10_vgpr11_vgpr12_vgpr13
                                        ; implicit-def: $vgpr0_vgpr1
.LBB89_138:
	s_andn2_saveexec_b64 s[2:3], s[2:3]
	s_cbranch_execz .LBB89_144
; %bb.139:
	v_cmp_lt_i64_e32 vcc, 4, v[0:1]
	s_and_saveexec_b64 s[4:5], vcc
	s_xor_b64 s[4:5], exec, s[4:5]
	s_cbranch_execz .LBB89_141
; %bb.140:
	v_mov_b32_e32 v0, 0
	global_store_dwordx2 v0, v[12:13], s[6:7]
                                        ; implicit-def: $vgpr10_vgpr11_vgpr12_vgpr13
.LBB89_141:
	s_andn2_saveexec_b64 s[4:5], s[4:5]
	s_cbranch_execz .LBB89_143
; %bb.142:
	v_mov_b32_e32 v0, 0
	global_store_dwordx2 v0, v[10:11], s[6:7]
.LBB89_143:
	s_or_b64 exec, exec, s[4:5]
.LBB89_144:
	s_or_b64 exec, exec, s[2:3]
                                        ; implicit-def: $vgpr0_vgpr1
                                        ; implicit-def: $vgpr6_vgpr7_vgpr8_vgpr9
                                        ; implicit-def: $vgpr14_vgpr15_vgpr16_vgpr17
.LBB89_145:
	s_andn2_saveexec_b64 s[0:1], s[0:1]
	s_cbranch_execz .LBB89_157
; %bb.146:
	v_cmp_lt_i64_e32 vcc, 1, v[0:1]
	s_and_saveexec_b64 s[0:1], vcc
	s_xor_b64 s[0:1], exec, s[0:1]
	s_cbranch_execz .LBB89_152
; %bb.147:
	v_cmp_lt_i64_e32 vcc, 2, v[0:1]
	s_and_saveexec_b64 s[2:3], vcc
	s_xor_b64 s[2:3], exec, s[2:3]
	s_cbranch_execz .LBB89_149
; %bb.148:
	v_mov_b32_e32 v0, 0
	global_store_dwordx2 v0, v[16:17], s[6:7]
                                        ; implicit-def: $vgpr14_vgpr15_vgpr16_vgpr17
.LBB89_149:
	s_andn2_saveexec_b64 s[2:3], s[2:3]
	s_cbranch_execz .LBB89_151
; %bb.150:
	v_mov_b32_e32 v0, 0
	global_store_dwordx2 v0, v[14:15], s[6:7]
.LBB89_151:
	s_or_b64 exec, exec, s[2:3]
                                        ; implicit-def: $vgpr6_vgpr7_vgpr8_vgpr9
                                        ; implicit-def: $vgpr0_vgpr1
.LBB89_152:
	s_andn2_saveexec_b64 s[0:1], s[0:1]
	s_cbranch_execz .LBB89_157
; %bb.153:
	v_cmp_ne_u64_e32 vcc, 1, v[0:1]
	s_and_saveexec_b64 s[0:1], vcc
	s_xor_b64 s[0:1], exec, s[0:1]
	s_cbranch_execz .LBB89_155
; %bb.154:
	v_mov_b32_e32 v0, 0
	global_store_dwordx2 v0, v[6:7], s[6:7]
                                        ; implicit-def: $vgpr6_vgpr7_vgpr8_vgpr9
.LBB89_155:
	s_andn2_saveexec_b64 s[0:1], s[0:1]
	s_cbranch_execz .LBB89_157
; %bb.156:
	v_mov_b32_e32 v0, 0
	global_store_dwordx2 v0, v[8:9], s[6:7]
.LBB89_157:
	s_endpgm
	.section	.rodata,"a",@progbits
	.p2align	6, 0x0
	.amdhsa_kernel _ZN7rocprim6detail20lookback_scan_kernelILNS0_25lookback_scan_determinismE0ELb1ENS0_19wrapped_scan_configINS_14default_configEmEEPmS6_N6hipcub3SumEmmNS0_19lookback_scan_stateImLb0ELb1EEEEEvT2_T3_mT5_T4_T7_jPT6_SH_bb
		.amdhsa_group_segment_fixed_size 30720
		.amdhsa_private_segment_fixed_size 0
		.amdhsa_kernarg_size 76
		.amdhsa_user_sgpr_count 2
		.amdhsa_user_sgpr_dispatch_ptr 0
		.amdhsa_user_sgpr_queue_ptr 0
		.amdhsa_user_sgpr_kernarg_segment_ptr 1
		.amdhsa_user_sgpr_dispatch_id 0
		.amdhsa_user_sgpr_kernarg_preload_length 0
		.amdhsa_user_sgpr_kernarg_preload_offset 0
		.amdhsa_user_sgpr_private_segment_size 0
		.amdhsa_uses_dynamic_stack 0
		.amdhsa_enable_private_segment 0
		.amdhsa_system_sgpr_workgroup_id_x 1
		.amdhsa_system_sgpr_workgroup_id_y 0
		.amdhsa_system_sgpr_workgroup_id_z 0
		.amdhsa_system_sgpr_workgroup_info 0
		.amdhsa_system_vgpr_workitem_id 0
		.amdhsa_next_free_vgpr 72
		.amdhsa_next_free_sgpr 68
		.amdhsa_accum_offset 72
		.amdhsa_reserve_vcc 1
		.amdhsa_float_round_mode_32 0
		.amdhsa_float_round_mode_16_64 0
		.amdhsa_float_denorm_mode_32 3
		.amdhsa_float_denorm_mode_16_64 3
		.amdhsa_dx10_clamp 1
		.amdhsa_ieee_mode 1
		.amdhsa_fp16_overflow 0
		.amdhsa_tg_split 0
		.amdhsa_exception_fp_ieee_invalid_op 0
		.amdhsa_exception_fp_denorm_src 0
		.amdhsa_exception_fp_ieee_div_zero 0
		.amdhsa_exception_fp_ieee_overflow 0
		.amdhsa_exception_fp_ieee_underflow 0
		.amdhsa_exception_fp_ieee_inexact 0
		.amdhsa_exception_int_div_zero 0
	.end_amdhsa_kernel
	.section	.text._ZN7rocprim6detail20lookback_scan_kernelILNS0_25lookback_scan_determinismE0ELb1ENS0_19wrapped_scan_configINS_14default_configEmEEPmS6_N6hipcub3SumEmmNS0_19lookback_scan_stateImLb0ELb1EEEEEvT2_T3_mT5_T4_T7_jPT6_SH_bb,"axG",@progbits,_ZN7rocprim6detail20lookback_scan_kernelILNS0_25lookback_scan_determinismE0ELb1ENS0_19wrapped_scan_configINS_14default_configEmEEPmS6_N6hipcub3SumEmmNS0_19lookback_scan_stateImLb0ELb1EEEEEvT2_T3_mT5_T4_T7_jPT6_SH_bb,comdat
.Lfunc_end89:
	.size	_ZN7rocprim6detail20lookback_scan_kernelILNS0_25lookback_scan_determinismE0ELb1ENS0_19wrapped_scan_configINS_14default_configEmEEPmS6_N6hipcub3SumEmmNS0_19lookback_scan_stateImLb0ELb1EEEEEvT2_T3_mT5_T4_T7_jPT6_SH_bb, .Lfunc_end89-_ZN7rocprim6detail20lookback_scan_kernelILNS0_25lookback_scan_determinismE0ELb1ENS0_19wrapped_scan_configINS_14default_configEmEEPmS6_N6hipcub3SumEmmNS0_19lookback_scan_stateImLb0ELb1EEEEEvT2_T3_mT5_T4_T7_jPT6_SH_bb
                                        ; -- End function
	.section	.AMDGPU.csdata,"",@progbits
; Kernel info:
; codeLenInByte = 7388
; NumSgprs: 74
; NumVgprs: 72
; NumAgprs: 0
; TotalNumVgprs: 72
; ScratchSize: 0
; MemoryBound: 1
; FloatMode: 240
; IeeeMode: 1
; LDSByteSize: 30720 bytes/workgroup (compile time only)
; SGPRBlocks: 9
; VGPRBlocks: 8
; NumSGPRsForWavesPerEU: 74
; NumVGPRsForWavesPerEU: 72
; AccumOffset: 72
; Occupancy: 2
; WaveLimiterHint : 1
; COMPUTE_PGM_RSRC2:SCRATCH_EN: 0
; COMPUTE_PGM_RSRC2:USER_SGPR: 2
; COMPUTE_PGM_RSRC2:TRAP_HANDLER: 0
; COMPUTE_PGM_RSRC2:TGID_X_EN: 1
; COMPUTE_PGM_RSRC2:TGID_Y_EN: 0
; COMPUTE_PGM_RSRC2:TGID_Z_EN: 0
; COMPUTE_PGM_RSRC2:TIDIG_COMP_CNT: 0
; COMPUTE_PGM_RSRC3_GFX90A:ACCUM_OFFSET: 17
; COMPUTE_PGM_RSRC3_GFX90A:TG_SPLIT: 0
	.section	.text._ZN7rocprim6detail18single_scan_kernelILb1ENS0_19wrapped_scan_configINS_14default_configEmEEPmS5_N6hipcub3SumEmmEEvT1_mT4_T2_T3_,"axG",@progbits,_ZN7rocprim6detail18single_scan_kernelILb1ENS0_19wrapped_scan_configINS_14default_configEmEEPmS5_N6hipcub3SumEmmEEvT1_mT4_T2_T3_,comdat
	.protected	_ZN7rocprim6detail18single_scan_kernelILb1ENS0_19wrapped_scan_configINS_14default_configEmEEPmS5_N6hipcub3SumEmmEEvT1_mT4_T2_T3_ ; -- Begin function _ZN7rocprim6detail18single_scan_kernelILb1ENS0_19wrapped_scan_configINS_14default_configEmEEPmS5_N6hipcub3SumEmmEEvT1_mT4_T2_T3_
	.globl	_ZN7rocprim6detail18single_scan_kernelILb1ENS0_19wrapped_scan_configINS_14default_configEmEEPmS5_N6hipcub3SumEmmEEvT1_mT4_T2_T3_
	.p2align	8
	.type	_ZN7rocprim6detail18single_scan_kernelILb1ENS0_19wrapped_scan_configINS_14default_configEmEEPmS5_N6hipcub3SumEmmEEvT1_mT4_T2_T3_,@function
_ZN7rocprim6detail18single_scan_kernelILb1ENS0_19wrapped_scan_configINS_14default_configEmEEPmS5_N6hipcub3SumEmmEEvT1_mT4_T2_T3_: ; @_ZN7rocprim6detail18single_scan_kernelILb1ENS0_19wrapped_scan_configINS_14default_configEmEEPmS5_N6hipcub3SumEmmEEvT1_mT4_T2_T3_
; %bb.0:
	s_load_dwordx8 s[68:75], s[0:1], 0x0
	v_mov_b32_e32 v35, 0
	v_lshlrev_b32_e32 v34, 3, v0
	s_waitcnt lgkmcnt(0)
	s_load_dwordx2 s[36:37], s[68:69], 0x0
	v_lshl_add_u64 v[36:37], s[68:69], 0, v[34:35]
	v_cmp_gt_u32_e64 s[0:1], s70, v0
	s_waitcnt lgkmcnt(0)
	s_mov_b32 s38, s36
	s_mov_b32 s39, s37
	s_mov_b32 s40, s36
	s_mov_b32 s41, s37
	s_mov_b32 s42, s36
	s_mov_b32 s43, s37
	s_mov_b32 s44, s36
	s_mov_b32 s45, s37
	s_mov_b32 s46, s36
	s_mov_b32 s47, s37
	s_mov_b32 s48, s36
	s_mov_b32 s49, s37
	s_mov_b32 s50, s36
	s_mov_b32 s51, s37
	s_mov_b32 s52, s36
	s_mov_b32 s53, s37
	s_mov_b32 s54, s36
	s_mov_b32 s55, s37
	s_mov_b32 s56, s36
	s_mov_b32 s57, s37
	s_mov_b32 s58, s36
	s_mov_b32 s59, s37
	s_mov_b32 s60, s36
	s_mov_b32 s61, s37
	s_mov_b32 s62, s36
	s_mov_b32 s63, s37
	s_mov_b32 s64, s36
	s_mov_b32 s65, s37
	v_mov_b64_e32 v[2:3], s[36:37]
	v_mov_b64_e32 v[4:5], s[38:39]
	;; [unrolled: 1-line block ×16, first 2 shown]
	s_and_saveexec_b64 s[2:3], s[0:1]
	s_cbranch_execz .LBB90_2
; %bb.1:
	global_load_dwordx2 v[2:3], v[36:37], off
	v_mov_b32_e32 v4, s36
	v_mov_b32_e32 v5, s37
	;; [unrolled: 1-line block ×28, first 2 shown]
.LBB90_2:
	s_or_b64 exec, exec, s[2:3]
	v_or_b32_e32 v1, 0x100, v0
	v_cmp_gt_u32_e64 s[2:3], s70, v1
	s_and_saveexec_b64 s[4:5], s[2:3]
	s_cbranch_execz .LBB90_4
; %bb.3:
	global_load_dwordx2 v[4:5], v[36:37], off offset:2048
.LBB90_4:
	s_or_b64 exec, exec, s[4:5]
	v_or_b32_e32 v1, 0x200, v0
	v_cmp_gt_u32_e64 s[4:5], s70, v1
	s_and_saveexec_b64 s[6:7], s[4:5]
	s_cbranch_execz .LBB90_6
; %bb.5:
	v_add_co_u32_e32 v6, vcc, 0x1000, v36
	s_nop 1
	v_addc_co_u32_e32 v7, vcc, 0, v37, vcc
	global_load_dwordx2 v[6:7], v[6:7], off
.LBB90_6:
	s_or_b64 exec, exec, s[6:7]
	v_or_b32_e32 v1, 0x300, v0
	v_cmp_gt_u32_e64 s[6:7], s70, v1
	s_and_saveexec_b64 s[8:9], s[6:7]
	s_cbranch_execz .LBB90_8
; %bb.7:
	v_add_co_u32_e32 v8, vcc, 0x1000, v36
	s_nop 1
	v_addc_co_u32_e32 v9, vcc, 0, v37, vcc
	global_load_dwordx2 v[8:9], v[8:9], off offset:2048
.LBB90_8:
	s_or_b64 exec, exec, s[8:9]
	v_or_b32_e32 v1, 0x400, v0
	v_cmp_gt_u32_e64 s[8:9], s70, v1
	s_and_saveexec_b64 s[10:11], s[8:9]
	s_cbranch_execz .LBB90_10
; %bb.9:
	v_add_co_u32_e32 v10, vcc, 0x2000, v36
	s_nop 1
	v_addc_co_u32_e32 v11, vcc, 0, v37, vcc
	global_load_dwordx2 v[10:11], v[10:11], off
.LBB90_10:
	s_or_b64 exec, exec, s[10:11]
	v_or_b32_e32 v1, 0x500, v0
	v_cmp_gt_u32_e64 s[10:11], s70, v1
	s_and_saveexec_b64 s[12:13], s[10:11]
	s_cbranch_execz .LBB90_12
; %bb.11:
	v_add_co_u32_e32 v12, vcc, 0x2000, v36
	s_nop 1
	v_addc_co_u32_e32 v13, vcc, 0, v37, vcc
	global_load_dwordx2 v[12:13], v[12:13], off offset:2048
.LBB90_12:
	;; [unrolled: 22-line block ×6, first 2 shown]
	s_or_b64 exec, exec, s[28:29]
	v_or_b32_e32 v1, 0xe00, v0
	v_cmp_gt_u32_e64 s[28:29], s70, v1
	s_and_saveexec_b64 s[30:31], s[28:29]
	s_cbranch_execz .LBB90_30
; %bb.29:
	v_add_co_u32_e32 v30, vcc, 0x7000, v36
	s_nop 1
	v_addc_co_u32_e32 v31, vcc, 0, v37, vcc
	global_load_dwordx2 v[30:31], v[30:31], off
.LBB90_30:
	s_or_b64 exec, exec, s[30:31]
	s_movk_i32 s30, 0x70
	v_mad_u32_u24 v1, v0, s30, v34
	s_waitcnt vmcnt(0)
	ds_write2st64_b64 v34, v[2:3], v[4:5] offset1:4
	ds_write2st64_b64 v34, v[6:7], v[8:9] offset0:8 offset1:12
	ds_write2st64_b64 v34, v[10:11], v[12:13] offset0:16 offset1:20
	;; [unrolled: 1-line block ×6, first 2 shown]
	ds_write_b64 v34, v[30:31] offset:28672
	s_waitcnt lgkmcnt(0)
	s_barrier
	ds_read2_b64 v[2:5], v1 offset1:1
	ds_read2_b64 v[6:9], v1 offset0:2 offset1:3
	ds_read2_b64 v[10:13], v1 offset0:4 offset1:5
	;; [unrolled: 1-line block ×6, first 2 shown]
	ds_read_b64 v[30:31], v1 offset:112
	s_waitcnt lgkmcnt(7)
	v_lshl_add_u64 v[32:33], v[4:5], 0, v[2:3]
	s_waitcnt lgkmcnt(6)
	v_lshl_add_u64 v[32:33], v[32:33], 0, v[6:7]
	v_lshl_add_u64 v[32:33], v[32:33], 0, v[8:9]
	s_waitcnt lgkmcnt(5)
	v_lshl_add_u64 v[32:33], v[32:33], 0, v[10:11]
	;; [unrolled: 3-line block ×6, first 2 shown]
	v_lshrrev_b32_e32 v1, 2, v0
	v_lshl_add_u64 v[32:33], v[32:33], 0, v[28:29]
	v_and_b32_e32 v1, 56, v1
	s_waitcnt lgkmcnt(0)
	v_lshl_add_u64 v[30:31], v[32:33], 0, v[30:31]
	v_add_u32_e32 v1, v34, v1
	v_cmp_gt_u32_e32 vcc, 64, v0
	s_barrier
	ds_write_b64 v1, v[30:31]
	s_waitcnt lgkmcnt(0)
	s_barrier
	s_and_saveexec_b64 s[30:31], vcc
	s_cbranch_execz .LBB90_32
; %bb.31:
	v_lshlrev_b32_e32 v1, 2, v0
	v_lshrrev_b32_e32 v32, 3, v0
	v_add_lshl_u32 v1, v32, v1, 3
	ds_read2_b64 v[36:39], v1 offset1:1
	ds_read2_b64 v[40:43], v1 offset0:2 offset1:3
	v_mbcnt_lo_u32_b32 v33, -1, 0
	v_mov_b32_e32 v32, 0
	v_mbcnt_hi_u32_b32 v35, -1, v33
	s_waitcnt lgkmcnt(1)
	v_lshl_add_u64 v[44:45], v[38:39], 0, v[36:37]
	s_waitcnt lgkmcnt(0)
	v_lshl_add_u64 v[44:45], v[44:45], 0, v[40:41]
	v_lshl_add_u64 v[44:45], v[44:45], 0, v[42:43]
	v_and_b32_e32 v50, 15, v35
	v_mov_b32_e32 v47, v32
	v_mov_b32_dpp v46, v44 row_shr:1 row_mask:0xf bank_mask:0xf
	v_mov_b32_dpp v33, v45 row_shr:1 row_mask:0xf bank_mask:0xf
	v_lshl_add_u64 v[46:47], v[44:45], 0, v[46:47]
	v_cmp_eq_u32_e32 vcc, 0, v50
	v_lshl_add_u64 v[48:49], v[32:33], 0, v[46:47]
	v_mov_b32_e32 v47, v32
	v_cndmask_b32_e32 v51, v46, v44, vcc
	v_cndmask_b32_e32 v45, v49, v45, vcc
	v_cndmask_b32_e32 v44, v48, v44, vcc
	v_mov_b32_dpp v46, v51 row_shr:2 row_mask:0xf bank_mask:0xf
	v_mov_b32_dpp v33, v45 row_shr:2 row_mask:0xf bank_mask:0xf
	v_lshl_add_u64 v[46:47], v[44:45], 0, v[46:47]
	v_cmp_lt_u32_e32 vcc, 1, v50
	v_lshl_add_u64 v[48:49], v[46:47], 0, v[32:33]
	v_mov_b32_e32 v47, v32
	v_cndmask_b32_e32 v51, v51, v46, vcc
	v_cndmask_b32_e32 v45, v45, v49, vcc
	v_cndmask_b32_e32 v44, v44, v48, vcc
	v_mov_b32_dpp v46, v51 row_shr:4 row_mask:0xf bank_mask:0xf
	v_mov_b32_dpp v33, v45 row_shr:4 row_mask:0xf bank_mask:0xf
	v_lshl_add_u64 v[46:47], v[44:45], 0, v[46:47]
	v_cmp_lt_u32_e32 vcc, 3, v50
	;; [unrolled: 9-line block ×3, first 2 shown]
	v_lshl_add_u64 v[48:49], v[46:47], 0, v[32:33]
	v_mov_b32_e32 v47, v32
	v_cndmask_b32_e32 v50, v51, v46, vcc
	v_cndmask_b32_e32 v45, v45, v49, vcc
	v_cndmask_b32_e32 v44, v44, v48, vcc
	v_mov_b32_dpp v46, v50 row_bcast:15 row_mask:0xf bank_mask:0xf
	v_and_b32_e32 v51, 16, v35
	v_mov_b32_dpp v33, v45 row_bcast:15 row_mask:0xf bank_mask:0xf
	v_lshl_add_u64 v[46:47], v[44:45], 0, v[46:47]
	v_cmp_eq_u32_e32 vcc, 0, v51
	v_lshl_add_u64 v[48:49], v[46:47], 0, v[32:33]
	v_mov_b32_e32 v47, v32
	v_cndmask_b32_e32 v33, v46, v50, vcc
	v_cndmask_b32_e32 v45, v49, v45, vcc
	;; [unrolled: 1-line block ×3, first 2 shown]
	v_mov_b32_dpp v46, v33 row_bcast:31 row_mask:0xf bank_mask:0xf
	v_mov_b32_dpp v48, v45 row_bcast:31 row_mask:0xf bank_mask:0xf
	v_lshl_add_u64 v[46:47], v[44:45], 0, v[46:47]
	v_add_u32_e32 v44, v48, v47
	v_cmp_lt_u32_e32 vcc, 31, v35
	s_nop 1
	v_cndmask_b32_e32 v33, v33, v46, vcc
	v_cndmask_b32_e32 v45, v45, v44, vcc
	v_add_u32_e32 v44, -1, v35
	v_and_b32_e32 v46, 64, v35
	v_cmp_lt_i32_e32 vcc, v44, v46
	s_nop 1
	v_cndmask_b32_e32 v35, v44, v35, vcc
	v_lshlrev_b32_e32 v35, 2, v35
	ds_bpermute_b32 v44, v35, v33
	ds_bpermute_b32 v33, v35, v45
	v_mov_b32_e32 v45, v32
	v_cmp_eq_u32_e32 vcc, 0, v0
	s_waitcnt lgkmcnt(1)
	v_lshl_add_u64 v[36:37], v[36:37], 0, v[44:45]
	s_waitcnt lgkmcnt(0)
	v_lshl_add_u64 v[32:33], v[36:37], 0, v[32:33]
	v_cndmask_b32_e32 v31, v33, v31, vcc
	v_cndmask_b32_e32 v30, v32, v30, vcc
	v_lshl_add_u64 v[32:33], v[30:31], 0, v[38:39]
	ds_write2_b64 v1, v[30:31], v[32:33] offset1:1
	v_lshl_add_u64 v[30:31], v[32:33], 0, v[40:41]
	v_lshl_add_u64 v[32:33], v[30:31], 0, v[42:43]
	ds_write2_b64 v1, v[30:31], v[32:33] offset0:2 offset1:3
.LBB90_32:
	s_or_b64 exec, exec, s[30:31]
	v_mul_u32_u24_e32 v1, 0x70, v0
	v_cmp_ne_u32_e32 vcc, 0, v0
	v_mov_b64_e32 v[30:31], s[72:73]
	s_waitcnt lgkmcnt(0)
	s_barrier
	s_and_saveexec_b64 s[30:31], vcc
	s_cbranch_execz .LBB90_34
; %bb.33:
	v_add_u32_e32 v0, -1, v0
	v_lshrrev_b32_e32 v30, 5, v0
	v_add_lshl_u32 v0, v30, v0, 3
	ds_read_b64 v[30:31], v0
	s_waitcnt lgkmcnt(0)
	v_lshl_add_u64 v[30:31], v[30:31], 0, s[72:73]
.LBB90_34:
	s_or_b64 exec, exec, s[30:31]
	v_lshl_add_u64 v[2:3], v[30:31], 0, v[2:3]
	v_lshl_add_u64 v[4:5], v[2:3], 0, v[4:5]
	;; [unrolled: 1-line block ×13, first 2 shown]
	v_add_u32_e32 v0, v34, v1
	v_lshl_add_u64 v[28:29], v[26:27], 0, v[28:29]
	s_barrier
	ds_write2_b64 v0, v[30:31], v[2:3] offset1:1
	ds_write2_b64 v0, v[4:5], v[6:7] offset0:2 offset1:3
	ds_write2_b64 v0, v[8:9], v[10:11] offset0:4 offset1:5
	;; [unrolled: 1-line block ×6, first 2 shown]
	ds_write_b64 v0, v[28:29] offset:112
	s_waitcnt lgkmcnt(0)
	s_barrier
	ds_read2st64_b64 v[24:27], v34 offset0:4 offset1:8
	ds_read2st64_b64 v[20:23], v34 offset0:12 offset1:16
	;; [unrolled: 1-line block ×7, first 2 shown]
	v_mov_b32_e32 v35, 0
	v_lshl_add_u64 v[28:29], s[74:75], 0, v[34:35]
	s_and_saveexec_b64 s[30:31], s[0:1]
	s_cbranch_execnz .LBB90_50
; %bb.35:
	s_or_b64 exec, exec, s[30:31]
	s_and_saveexec_b64 s[0:1], s[2:3]
	s_cbranch_execnz .LBB90_51
.LBB90_36:
	s_or_b64 exec, exec, s[0:1]
	s_and_saveexec_b64 s[0:1], s[4:5]
	s_cbranch_execnz .LBB90_52
.LBB90_37:
	s_or_b64 exec, exec, s[0:1]
	s_and_saveexec_b64 s[0:1], s[6:7]
	s_cbranch_execnz .LBB90_53
.LBB90_38:
	s_or_b64 exec, exec, s[0:1]
	s_and_saveexec_b64 s[0:1], s[8:9]
	s_cbranch_execnz .LBB90_54
.LBB90_39:
	s_or_b64 exec, exec, s[0:1]
	s_and_saveexec_b64 s[0:1], s[10:11]
	s_cbranch_execnz .LBB90_55
.LBB90_40:
	s_or_b64 exec, exec, s[0:1]
	s_and_saveexec_b64 s[0:1], s[12:13]
	s_cbranch_execnz .LBB90_56
.LBB90_41:
	s_or_b64 exec, exec, s[0:1]
	s_and_saveexec_b64 s[0:1], s[14:15]
	s_cbranch_execnz .LBB90_57
.LBB90_42:
	s_or_b64 exec, exec, s[0:1]
	s_and_saveexec_b64 s[0:1], s[16:17]
	s_cbranch_execnz .LBB90_58
.LBB90_43:
	s_or_b64 exec, exec, s[0:1]
	s_and_saveexec_b64 s[0:1], s[18:19]
	s_cbranch_execnz .LBB90_59
.LBB90_44:
	s_or_b64 exec, exec, s[0:1]
	s_and_saveexec_b64 s[0:1], s[20:21]
	s_cbranch_execnz .LBB90_60
.LBB90_45:
	s_or_b64 exec, exec, s[0:1]
	s_and_saveexec_b64 s[0:1], s[22:23]
	s_cbranch_execnz .LBB90_61
.LBB90_46:
	s_or_b64 exec, exec, s[0:1]
	s_and_saveexec_b64 s[0:1], s[24:25]
	s_cbranch_execnz .LBB90_62
.LBB90_47:
	s_or_b64 exec, exec, s[0:1]
	s_and_saveexec_b64 s[0:1], s[26:27]
	s_cbranch_execnz .LBB90_63
.LBB90_48:
	s_or_b64 exec, exec, s[0:1]
	s_and_saveexec_b64 s[0:1], s[28:29]
	s_cbranch_execnz .LBB90_64
.LBB90_49:
	s_endpgm
.LBB90_50:
	ds_read_b64 v[30:31], v34
	s_waitcnt lgkmcnt(0)
	global_store_dwordx2 v[28:29], v[30:31], off
	s_or_b64 exec, exec, s[30:31]
	s_and_saveexec_b64 s[0:1], s[2:3]
	s_cbranch_execz .LBB90_36
.LBB90_51:
	s_waitcnt lgkmcnt(6)
	global_store_dwordx2 v[28:29], v[24:25], off offset:2048
	s_or_b64 exec, exec, s[0:1]
	s_and_saveexec_b64 s[0:1], s[4:5]
	s_cbranch_execz .LBB90_37
.LBB90_52:
	s_waitcnt lgkmcnt(6)
	v_add_co_u32_e32 v24, vcc, 0x1000, v28
	s_nop 1
	v_addc_co_u32_e32 v25, vcc, 0, v29, vcc
	global_store_dwordx2 v[24:25], v[26:27], off
	s_or_b64 exec, exec, s[0:1]
	s_and_saveexec_b64 s[0:1], s[6:7]
	s_cbranch_execz .LBB90_38
.LBB90_53:
	s_waitcnt lgkmcnt(6)
	v_add_co_u32_e32 v24, vcc, 0x1000, v28
	s_nop 1
	v_addc_co_u32_e32 v25, vcc, 0, v29, vcc
	s_waitcnt lgkmcnt(5)
	global_store_dwordx2 v[24:25], v[20:21], off offset:2048
	s_or_b64 exec, exec, s[0:1]
	s_and_saveexec_b64 s[0:1], s[8:9]
	s_cbranch_execz .LBB90_39
.LBB90_54:
	s_waitcnt lgkmcnt(5)
	v_add_co_u32_e32 v20, vcc, 0x2000, v28
	s_nop 1
	v_addc_co_u32_e32 v21, vcc, 0, v29, vcc
	global_store_dwordx2 v[20:21], v[22:23], off
	s_or_b64 exec, exec, s[0:1]
	s_and_saveexec_b64 s[0:1], s[10:11]
	s_cbranch_execz .LBB90_40
.LBB90_55:
	s_waitcnt lgkmcnt(5)
	v_add_co_u32_e32 v20, vcc, 0x2000, v28
	s_nop 1
	v_addc_co_u32_e32 v21, vcc, 0, v29, vcc
	s_waitcnt lgkmcnt(4)
	global_store_dwordx2 v[20:21], v[16:17], off offset:2048
	s_or_b64 exec, exec, s[0:1]
	s_and_saveexec_b64 s[0:1], s[12:13]
	s_cbranch_execz .LBB90_41
.LBB90_56:
	s_waitcnt lgkmcnt(4)
	v_add_co_u32_e32 v16, vcc, 0x3000, v28
	s_nop 1
	v_addc_co_u32_e32 v17, vcc, 0, v29, vcc
	global_store_dwordx2 v[16:17], v[18:19], off
	s_or_b64 exec, exec, s[0:1]
	s_and_saveexec_b64 s[0:1], s[14:15]
	s_cbranch_execz .LBB90_42
.LBB90_57:
	s_waitcnt lgkmcnt(4)
	v_add_co_u32_e32 v16, vcc, 0x3000, v28
	s_nop 1
	v_addc_co_u32_e32 v17, vcc, 0, v29, vcc
	s_waitcnt lgkmcnt(3)
	global_store_dwordx2 v[16:17], v[12:13], off offset:2048
	s_or_b64 exec, exec, s[0:1]
	s_and_saveexec_b64 s[0:1], s[16:17]
	s_cbranch_execz .LBB90_43
.LBB90_58:
	s_waitcnt lgkmcnt(3)
	v_add_co_u32_e32 v12, vcc, 0x4000, v28
	s_nop 1
	v_addc_co_u32_e32 v13, vcc, 0, v29, vcc
	global_store_dwordx2 v[12:13], v[14:15], off
	s_or_b64 exec, exec, s[0:1]
	s_and_saveexec_b64 s[0:1], s[18:19]
	s_cbranch_execz .LBB90_44
.LBB90_59:
	s_waitcnt lgkmcnt(3)
	v_add_co_u32_e32 v12, vcc, 0x4000, v28
	s_nop 1
	v_addc_co_u32_e32 v13, vcc, 0, v29, vcc
	s_waitcnt lgkmcnt(2)
	global_store_dwordx2 v[12:13], v[8:9], off offset:2048
	s_or_b64 exec, exec, s[0:1]
	s_and_saveexec_b64 s[0:1], s[20:21]
	s_cbranch_execz .LBB90_45
.LBB90_60:
	s_waitcnt lgkmcnt(2)
	v_add_co_u32_e32 v8, vcc, 0x5000, v28
	s_nop 1
	v_addc_co_u32_e32 v9, vcc, 0, v29, vcc
	global_store_dwordx2 v[8:9], v[10:11], off
	s_or_b64 exec, exec, s[0:1]
	s_and_saveexec_b64 s[0:1], s[22:23]
	s_cbranch_execz .LBB90_46
.LBB90_61:
	s_waitcnt lgkmcnt(2)
	v_add_co_u32_e32 v8, vcc, 0x5000, v28
	s_nop 1
	v_addc_co_u32_e32 v9, vcc, 0, v29, vcc
	s_waitcnt lgkmcnt(1)
	global_store_dwordx2 v[8:9], v[4:5], off offset:2048
	s_or_b64 exec, exec, s[0:1]
	s_and_saveexec_b64 s[0:1], s[24:25]
	s_cbranch_execz .LBB90_47
.LBB90_62:
	s_waitcnt lgkmcnt(1)
	v_add_co_u32_e32 v4, vcc, 0x6000, v28
	s_nop 1
	v_addc_co_u32_e32 v5, vcc, 0, v29, vcc
	global_store_dwordx2 v[4:5], v[6:7], off
	s_or_b64 exec, exec, s[0:1]
	s_and_saveexec_b64 s[0:1], s[26:27]
	s_cbranch_execz .LBB90_48
.LBB90_63:
	s_waitcnt lgkmcnt(1)
	v_add_co_u32_e32 v4, vcc, 0x6000, v28
	s_nop 1
	v_addc_co_u32_e32 v5, vcc, 0, v29, vcc
	s_waitcnt lgkmcnt(0)
	global_store_dwordx2 v[4:5], v[0:1], off offset:2048
	s_or_b64 exec, exec, s[0:1]
	s_and_saveexec_b64 s[0:1], s[28:29]
	s_cbranch_execz .LBB90_49
.LBB90_64:
	s_waitcnt lgkmcnt(0)
	v_add_co_u32_e32 v0, vcc, 0x7000, v28
	s_nop 1
	v_addc_co_u32_e32 v1, vcc, 0, v29, vcc
	global_store_dwordx2 v[0:1], v[2:3], off
	s_endpgm
	.section	.rodata,"a",@progbits
	.p2align	6, 0x0
	.amdhsa_kernel _ZN7rocprim6detail18single_scan_kernelILb1ENS0_19wrapped_scan_configINS_14default_configEmEEPmS5_N6hipcub3SumEmmEEvT1_mT4_T2_T3_
		.amdhsa_group_segment_fixed_size 30720
		.amdhsa_private_segment_fixed_size 0
		.amdhsa_kernarg_size 36
		.amdhsa_user_sgpr_count 2
		.amdhsa_user_sgpr_dispatch_ptr 0
		.amdhsa_user_sgpr_queue_ptr 0
		.amdhsa_user_sgpr_kernarg_segment_ptr 1
		.amdhsa_user_sgpr_dispatch_id 0
		.amdhsa_user_sgpr_kernarg_preload_length 0
		.amdhsa_user_sgpr_kernarg_preload_offset 0
		.amdhsa_user_sgpr_private_segment_size 0
		.amdhsa_uses_dynamic_stack 0
		.amdhsa_enable_private_segment 0
		.amdhsa_system_sgpr_workgroup_id_x 1
		.amdhsa_system_sgpr_workgroup_id_y 0
		.amdhsa_system_sgpr_workgroup_id_z 0
		.amdhsa_system_sgpr_workgroup_info 0
		.amdhsa_system_vgpr_workitem_id 0
		.amdhsa_next_free_vgpr 52
		.amdhsa_next_free_sgpr 76
		.amdhsa_accum_offset 52
		.amdhsa_reserve_vcc 1
		.amdhsa_float_round_mode_32 0
		.amdhsa_float_round_mode_16_64 0
		.amdhsa_float_denorm_mode_32 3
		.amdhsa_float_denorm_mode_16_64 3
		.amdhsa_dx10_clamp 1
		.amdhsa_ieee_mode 1
		.amdhsa_fp16_overflow 0
		.amdhsa_tg_split 0
		.amdhsa_exception_fp_ieee_invalid_op 0
		.amdhsa_exception_fp_denorm_src 0
		.amdhsa_exception_fp_ieee_div_zero 0
		.amdhsa_exception_fp_ieee_overflow 0
		.amdhsa_exception_fp_ieee_underflow 0
		.amdhsa_exception_fp_ieee_inexact 0
		.amdhsa_exception_int_div_zero 0
	.end_amdhsa_kernel
	.section	.text._ZN7rocprim6detail18single_scan_kernelILb1ENS0_19wrapped_scan_configINS_14default_configEmEEPmS5_N6hipcub3SumEmmEEvT1_mT4_T2_T3_,"axG",@progbits,_ZN7rocprim6detail18single_scan_kernelILb1ENS0_19wrapped_scan_configINS_14default_configEmEEPmS5_N6hipcub3SumEmmEEvT1_mT4_T2_T3_,comdat
.Lfunc_end90:
	.size	_ZN7rocprim6detail18single_scan_kernelILb1ENS0_19wrapped_scan_configINS_14default_configEmEEPmS5_N6hipcub3SumEmmEEvT1_mT4_T2_T3_, .Lfunc_end90-_ZN7rocprim6detail18single_scan_kernelILb1ENS0_19wrapped_scan_configINS_14default_configEmEEPmS5_N6hipcub3SumEmmEEvT1_mT4_T2_T3_
                                        ; -- End function
	.section	.AMDGPU.csdata,"",@progbits
; Kernel info:
; codeLenInByte = 3036
; NumSgprs: 82
; NumVgprs: 52
; NumAgprs: 0
; TotalNumVgprs: 52
; ScratchSize: 0
; MemoryBound: 1
; FloatMode: 240
; IeeeMode: 1
; LDSByteSize: 30720 bytes/workgroup (compile time only)
; SGPRBlocks: 10
; VGPRBlocks: 6
; NumSGPRsForWavesPerEU: 82
; NumVGPRsForWavesPerEU: 52
; AccumOffset: 52
; Occupancy: 2
; WaveLimiterHint : 0
; COMPUTE_PGM_RSRC2:SCRATCH_EN: 0
; COMPUTE_PGM_RSRC2:USER_SGPR: 2
; COMPUTE_PGM_RSRC2:TRAP_HANDLER: 0
; COMPUTE_PGM_RSRC2:TGID_X_EN: 1
; COMPUTE_PGM_RSRC2:TGID_Y_EN: 0
; COMPUTE_PGM_RSRC2:TGID_Z_EN: 0
; COMPUTE_PGM_RSRC2:TIDIG_COMP_CNT: 0
; COMPUTE_PGM_RSRC3_GFX90A:ACCUM_OFFSET: 12
; COMPUTE_PGM_RSRC3_GFX90A:TG_SPLIT: 0
	.section	.text._ZN7rocprim6detail20lookback_scan_kernelILNS0_25lookback_scan_determinismE0ELb1ENS0_19wrapped_scan_configINS_14default_configEyEEPyS6_N6hipcub3MinEyyNS0_19lookback_scan_stateIyLb1ELb1EEEEEvT2_T3_mT5_T4_T7_jPT6_SH_bb,"axG",@progbits,_ZN7rocprim6detail20lookback_scan_kernelILNS0_25lookback_scan_determinismE0ELb1ENS0_19wrapped_scan_configINS_14default_configEyEEPyS6_N6hipcub3MinEyyNS0_19lookback_scan_stateIyLb1ELb1EEEEEvT2_T3_mT5_T4_T7_jPT6_SH_bb,comdat
	.protected	_ZN7rocprim6detail20lookback_scan_kernelILNS0_25lookback_scan_determinismE0ELb1ENS0_19wrapped_scan_configINS_14default_configEyEEPyS6_N6hipcub3MinEyyNS0_19lookback_scan_stateIyLb1ELb1EEEEEvT2_T3_mT5_T4_T7_jPT6_SH_bb ; -- Begin function _ZN7rocprim6detail20lookback_scan_kernelILNS0_25lookback_scan_determinismE0ELb1ENS0_19wrapped_scan_configINS_14default_configEyEEPyS6_N6hipcub3MinEyyNS0_19lookback_scan_stateIyLb1ELb1EEEEEvT2_T3_mT5_T4_T7_jPT6_SH_bb
	.globl	_ZN7rocprim6detail20lookback_scan_kernelILNS0_25lookback_scan_determinismE0ELb1ENS0_19wrapped_scan_configINS_14default_configEyEEPyS6_N6hipcub3MinEyyNS0_19lookback_scan_stateIyLb1ELb1EEEEEvT2_T3_mT5_T4_T7_jPT6_SH_bb
	.p2align	8
	.type	_ZN7rocprim6detail20lookback_scan_kernelILNS0_25lookback_scan_determinismE0ELb1ENS0_19wrapped_scan_configINS_14default_configEyEEPyS6_N6hipcub3MinEyyNS0_19lookback_scan_stateIyLb1ELb1EEEEEvT2_T3_mT5_T4_T7_jPT6_SH_bb,@function
_ZN7rocprim6detail20lookback_scan_kernelILNS0_25lookback_scan_determinismE0ELb1ENS0_19wrapped_scan_configINS_14default_configEyEEPyS6_N6hipcub3MinEyyNS0_19lookback_scan_stateIyLb1ELb1EEEEEvT2_T3_mT5_T4_T7_jPT6_SH_bb: ; @_ZN7rocprim6detail20lookback_scan_kernelILNS0_25lookback_scan_determinismE0ELb1ENS0_19wrapped_scan_configINS_14default_configEyEEPyS6_N6hipcub3MinEyyNS0_19lookback_scan_stateIyLb1ELb1EEEEEvT2_T3_mT5_T4_T7_jPT6_SH_bb
; %bb.0:
	s_endpgm
	.section	.rodata,"a",@progbits
	.p2align	6, 0x0
	.amdhsa_kernel _ZN7rocprim6detail20lookback_scan_kernelILNS0_25lookback_scan_determinismE0ELb1ENS0_19wrapped_scan_configINS_14default_configEyEEPyS6_N6hipcub3MinEyyNS0_19lookback_scan_stateIyLb1ELb1EEEEEvT2_T3_mT5_T4_T7_jPT6_SH_bb
		.amdhsa_group_segment_fixed_size 0
		.amdhsa_private_segment_fixed_size 0
		.amdhsa_kernarg_size 76
		.amdhsa_user_sgpr_count 2
		.amdhsa_user_sgpr_dispatch_ptr 0
		.amdhsa_user_sgpr_queue_ptr 0
		.amdhsa_user_sgpr_kernarg_segment_ptr 1
		.amdhsa_user_sgpr_dispatch_id 0
		.amdhsa_user_sgpr_kernarg_preload_length 0
		.amdhsa_user_sgpr_kernarg_preload_offset 0
		.amdhsa_user_sgpr_private_segment_size 0
		.amdhsa_uses_dynamic_stack 0
		.amdhsa_enable_private_segment 0
		.amdhsa_system_sgpr_workgroup_id_x 1
		.amdhsa_system_sgpr_workgroup_id_y 0
		.amdhsa_system_sgpr_workgroup_id_z 0
		.amdhsa_system_sgpr_workgroup_info 0
		.amdhsa_system_vgpr_workitem_id 0
		.amdhsa_next_free_vgpr 1
		.amdhsa_next_free_sgpr 0
		.amdhsa_accum_offset 4
		.amdhsa_reserve_vcc 0
		.amdhsa_float_round_mode_32 0
		.amdhsa_float_round_mode_16_64 0
		.amdhsa_float_denorm_mode_32 3
		.amdhsa_float_denorm_mode_16_64 3
		.amdhsa_dx10_clamp 1
		.amdhsa_ieee_mode 1
		.amdhsa_fp16_overflow 0
		.amdhsa_tg_split 0
		.amdhsa_exception_fp_ieee_invalid_op 0
		.amdhsa_exception_fp_denorm_src 0
		.amdhsa_exception_fp_ieee_div_zero 0
		.amdhsa_exception_fp_ieee_overflow 0
		.amdhsa_exception_fp_ieee_underflow 0
		.amdhsa_exception_fp_ieee_inexact 0
		.amdhsa_exception_int_div_zero 0
	.end_amdhsa_kernel
	.section	.text._ZN7rocprim6detail20lookback_scan_kernelILNS0_25lookback_scan_determinismE0ELb1ENS0_19wrapped_scan_configINS_14default_configEyEEPyS6_N6hipcub3MinEyyNS0_19lookback_scan_stateIyLb1ELb1EEEEEvT2_T3_mT5_T4_T7_jPT6_SH_bb,"axG",@progbits,_ZN7rocprim6detail20lookback_scan_kernelILNS0_25lookback_scan_determinismE0ELb1ENS0_19wrapped_scan_configINS_14default_configEyEEPyS6_N6hipcub3MinEyyNS0_19lookback_scan_stateIyLb1ELb1EEEEEvT2_T3_mT5_T4_T7_jPT6_SH_bb,comdat
.Lfunc_end91:
	.size	_ZN7rocprim6detail20lookback_scan_kernelILNS0_25lookback_scan_determinismE0ELb1ENS0_19wrapped_scan_configINS_14default_configEyEEPyS6_N6hipcub3MinEyyNS0_19lookback_scan_stateIyLb1ELb1EEEEEvT2_T3_mT5_T4_T7_jPT6_SH_bb, .Lfunc_end91-_ZN7rocprim6detail20lookback_scan_kernelILNS0_25lookback_scan_determinismE0ELb1ENS0_19wrapped_scan_configINS_14default_configEyEEPyS6_N6hipcub3MinEyyNS0_19lookback_scan_stateIyLb1ELb1EEEEEvT2_T3_mT5_T4_T7_jPT6_SH_bb
                                        ; -- End function
	.section	.AMDGPU.csdata,"",@progbits
; Kernel info:
; codeLenInByte = 4
; NumSgprs: 6
; NumVgprs: 0
; NumAgprs: 0
; TotalNumVgprs: 0
; ScratchSize: 0
; MemoryBound: 0
; FloatMode: 240
; IeeeMode: 1
; LDSByteSize: 0 bytes/workgroup (compile time only)
; SGPRBlocks: 0
; VGPRBlocks: 0
; NumSGPRsForWavesPerEU: 6
; NumVGPRsForWavesPerEU: 1
; AccumOffset: 4
; Occupancy: 8
; WaveLimiterHint : 0
; COMPUTE_PGM_RSRC2:SCRATCH_EN: 0
; COMPUTE_PGM_RSRC2:USER_SGPR: 2
; COMPUTE_PGM_RSRC2:TRAP_HANDLER: 0
; COMPUTE_PGM_RSRC2:TGID_X_EN: 1
; COMPUTE_PGM_RSRC2:TGID_Y_EN: 0
; COMPUTE_PGM_RSRC2:TGID_Z_EN: 0
; COMPUTE_PGM_RSRC2:TIDIG_COMP_CNT: 0
; COMPUTE_PGM_RSRC3_GFX90A:ACCUM_OFFSET: 0
; COMPUTE_PGM_RSRC3_GFX90A:TG_SPLIT: 0
	.section	.text._ZN7rocprim6detail20lookback_scan_kernelILNS0_25lookback_scan_determinismE0ELb1ENS0_19wrapped_scan_configINS_14default_configEyEEPyS6_N6hipcub3MinEyyNS0_19lookback_scan_stateIyLb0ELb1EEEEEvT2_T3_mT5_T4_T7_jPT6_SH_bb,"axG",@progbits,_ZN7rocprim6detail20lookback_scan_kernelILNS0_25lookback_scan_determinismE0ELb1ENS0_19wrapped_scan_configINS_14default_configEyEEPyS6_N6hipcub3MinEyyNS0_19lookback_scan_stateIyLb0ELb1EEEEEvT2_T3_mT5_T4_T7_jPT6_SH_bb,comdat
	.protected	_ZN7rocprim6detail20lookback_scan_kernelILNS0_25lookback_scan_determinismE0ELb1ENS0_19wrapped_scan_configINS_14default_configEyEEPyS6_N6hipcub3MinEyyNS0_19lookback_scan_stateIyLb0ELb1EEEEEvT2_T3_mT5_T4_T7_jPT6_SH_bb ; -- Begin function _ZN7rocprim6detail20lookback_scan_kernelILNS0_25lookback_scan_determinismE0ELb1ENS0_19wrapped_scan_configINS_14default_configEyEEPyS6_N6hipcub3MinEyyNS0_19lookback_scan_stateIyLb0ELb1EEEEEvT2_T3_mT5_T4_T7_jPT6_SH_bb
	.globl	_ZN7rocprim6detail20lookback_scan_kernelILNS0_25lookback_scan_determinismE0ELb1ENS0_19wrapped_scan_configINS_14default_configEyEEPyS6_N6hipcub3MinEyyNS0_19lookback_scan_stateIyLb0ELb1EEEEEvT2_T3_mT5_T4_T7_jPT6_SH_bb
	.p2align	8
	.type	_ZN7rocprim6detail20lookback_scan_kernelILNS0_25lookback_scan_determinismE0ELb1ENS0_19wrapped_scan_configINS_14default_configEyEEPyS6_N6hipcub3MinEyyNS0_19lookback_scan_stateIyLb0ELb1EEEEEvT2_T3_mT5_T4_T7_jPT6_SH_bb,@function
_ZN7rocprim6detail20lookback_scan_kernelILNS0_25lookback_scan_determinismE0ELb1ENS0_19wrapped_scan_configINS_14default_configEyEEPyS6_N6hipcub3MinEyyNS0_19lookback_scan_stateIyLb0ELb1EEEEEvT2_T3_mT5_T4_T7_jPT6_SH_bb: ; @_ZN7rocprim6detail20lookback_scan_kernelILNS0_25lookback_scan_determinismE0ELb1ENS0_19wrapped_scan_configINS_14default_configEyEEPyS6_N6hipcub3MinEyyNS0_19lookback_scan_stateIyLb0ELb1EEEEEvT2_T3_mT5_T4_T7_jPT6_SH_bb
; %bb.0:
	s_load_dword s3, s[0:1], 0x30
	s_load_dwordx8 s[12:19], s[0:1], 0x0
	s_mul_i32 s4, s2, 0xf00
	s_mov_b32 s5, 0
	v_lshlrev_b32_e32 v62, 3, v0
	s_waitcnt lgkmcnt(0)
	s_add_i32 s3, s3, -1
	s_mul_i32 s6, s3, 0xf00
	s_sub_u32 s26, s16, s6
	s_subb_u32 s27, s17, 0
	s_cmp_lg_u32 s2, s3
	s_cselect_b64 s[10:11], -1, 0
	s_lshl_b64 s[16:17], s[4:5], 3
	s_add_u32 s6, s12, s16
	s_addc_u32 s7, s13, s17
	s_mov_b64 s[4:5], -1
	s_and_b64 vcc, exec, s[10:11]
	s_cbranch_vccz .LBB92_2
; %bb.1:
	v_mov_b32_e32 v63, 0
	v_lshl_add_u64 v[2:3], s[6:7], 0, v[62:63]
	v_add_co_u32_e32 v8, vcc, 0x1000, v2
	global_load_dwordx2 v[4:5], v62, s[6:7]
	global_load_dwordx2 v[6:7], v62, s[6:7] offset:2048
	v_addc_co_u32_e32 v9, vcc, 0, v3, vcc
	v_add_co_u32_e32 v10, vcc, 0x2000, v2
	s_mov_b64 s[4:5], 0
	s_nop 0
	v_addc_co_u32_e32 v11, vcc, 0, v3, vcc
	global_load_dwordx2 v[12:13], v[8:9], off
	global_load_dwordx2 v[14:15], v[8:9], off offset:2048
	global_load_dwordx2 v[16:17], v[10:11], off
	global_load_dwordx2 v[18:19], v[10:11], off offset:2048
	v_add_co_u32_e32 v8, vcc, 0x3000, v2
	s_nop 1
	v_addc_co_u32_e32 v9, vcc, 0, v3, vcc
	v_add_co_u32_e32 v10, vcc, 0x4000, v2
	s_nop 1
	v_addc_co_u32_e32 v11, vcc, 0, v3, vcc
	global_load_dwordx2 v[20:21], v[8:9], off
	global_load_dwordx2 v[22:23], v[8:9], off offset:2048
	global_load_dwordx2 v[24:25], v[10:11], off
	global_load_dwordx2 v[26:27], v[10:11], off offset:2048
	v_add_co_u32_e32 v8, vcc, 0x5000, v2
	s_nop 1
	v_addc_co_u32_e32 v9, vcc, 0, v3, vcc
	v_add_co_u32_e32 v10, vcc, 0x6000, v2
	s_nop 1
	v_addc_co_u32_e32 v11, vcc, 0, v3, vcc
	global_load_dwordx2 v[28:29], v[8:9], off
	global_load_dwordx2 v[30:31], v[8:9], off offset:2048
	global_load_dwordx2 v[32:33], v[10:11], off
	global_load_dwordx2 v[34:35], v[10:11], off offset:2048
	v_add_co_u32_e32 v2, vcc, 0x7000, v2
	s_nop 1
	v_addc_co_u32_e32 v3, vcc, 0, v3, vcc
	global_load_dwordx2 v[2:3], v[2:3], off
	s_waitcnt vmcnt(13)
	ds_write2st64_b64 v62, v[4:5], v[6:7] offset1:4
	s_waitcnt vmcnt(11)
	ds_write2st64_b64 v62, v[12:13], v[14:15] offset0:8 offset1:12
	s_waitcnt vmcnt(9)
	ds_write2st64_b64 v62, v[16:17], v[18:19] offset0:16 offset1:20
	;; [unrolled: 2-line block ×6, first 2 shown]
	s_waitcnt vmcnt(0)
	ds_write_b64 v62, v[2:3] offset:28672
	s_waitcnt lgkmcnt(0)
	s_barrier
.LBB92_2:
	s_andn2_b64 vcc, exec, s[4:5]
	v_cmp_gt_u32_e64 s[4:5], s26, v0
	s_cbranch_vccnz .LBB92_34
; %bb.3:
	s_load_dwordx2 s[36:37], s[6:7], 0x0
	v_mov_b32_e32 v63, 0
	v_lshl_add_u64 v[34:35], s[6:7], 0, v[62:63]
	s_waitcnt lgkmcnt(0)
	s_mov_b32 s38, s36
	s_mov_b32 s39, s37
	;; [unrolled: 1-line block ×28, first 2 shown]
	v_mov_b64_e32 v[2:3], s[36:37]
	v_mov_b64_e32 v[4:5], s[38:39]
	;; [unrolled: 1-line block ×16, first 2 shown]
	s_and_saveexec_b64 s[6:7], s[4:5]
	s_cbranch_execz .LBB92_5
; %bb.4:
	global_load_dwordx2 v[2:3], v[34:35], off
	v_mov_b32_e32 v4, s36
	v_mov_b32_e32 v5, s37
	;; [unrolled: 1-line block ×28, first 2 shown]
.LBB92_5:
	s_or_b64 exec, exec, s[6:7]
	v_or_b32_e32 v1, 0x100, v0
	v_cmp_gt_u32_e32 vcc, s26, v1
	s_and_saveexec_b64 s[4:5], vcc
	s_cbranch_execz .LBB92_7
; %bb.6:
	global_load_dwordx2 v[4:5], v[34:35], off offset:2048
.LBB92_7:
	s_or_b64 exec, exec, s[4:5]
	v_or_b32_e32 v1, 0x200, v0
	v_cmp_gt_u32_e32 vcc, s26, v1
	s_and_saveexec_b64 s[4:5], vcc
	s_cbranch_execz .LBB92_9
; %bb.8:
	v_add_co_u32_e32 v6, vcc, 0x1000, v34
	s_nop 1
	v_addc_co_u32_e32 v7, vcc, 0, v35, vcc
	global_load_dwordx2 v[6:7], v[6:7], off
.LBB92_9:
	s_or_b64 exec, exec, s[4:5]
	v_or_b32_e32 v1, 0x300, v0
	v_cmp_gt_u32_e32 vcc, s26, v1
	s_and_saveexec_b64 s[4:5], vcc
	s_cbranch_execz .LBB92_11
; %bb.10:
	v_add_co_u32_e32 v8, vcc, 0x1000, v34
	s_nop 1
	v_addc_co_u32_e32 v9, vcc, 0, v35, vcc
	global_load_dwordx2 v[8:9], v[8:9], off offset:2048
.LBB92_11:
	s_or_b64 exec, exec, s[4:5]
	v_or_b32_e32 v1, 0x400, v0
	v_cmp_gt_u32_e32 vcc, s26, v1
	s_and_saveexec_b64 s[4:5], vcc
	s_cbranch_execz .LBB92_13
; %bb.12:
	v_add_co_u32_e32 v10, vcc, 0x2000, v34
	s_nop 1
	v_addc_co_u32_e32 v11, vcc, 0, v35, vcc
	global_load_dwordx2 v[10:11], v[10:11], off
.LBB92_13:
	s_or_b64 exec, exec, s[4:5]
	v_or_b32_e32 v1, 0x500, v0
	v_cmp_gt_u32_e32 vcc, s26, v1
	s_and_saveexec_b64 s[4:5], vcc
	s_cbranch_execz .LBB92_15
; %bb.14:
	v_add_co_u32_e32 v12, vcc, 0x2000, v34
	s_nop 1
	v_addc_co_u32_e32 v13, vcc, 0, v35, vcc
	global_load_dwordx2 v[12:13], v[12:13], off offset:2048
.LBB92_15:
	;; [unrolled: 22-line block ×6, first 2 shown]
	s_or_b64 exec, exec, s[4:5]
	v_or_b32_e32 v1, 0xe00, v0
	v_cmp_gt_u32_e32 vcc, s26, v1
	s_and_saveexec_b64 s[4:5], vcc
	s_cbranch_execz .LBB92_33
; %bb.32:
	v_add_co_u32_e32 v30, vcc, 0x7000, v34
	s_nop 1
	v_addc_co_u32_e32 v31, vcc, 0, v35, vcc
	global_load_dwordx2 v[30:31], v[30:31], off
.LBB92_33:
	s_or_b64 exec, exec, s[4:5]
	s_waitcnt vmcnt(0)
	ds_write2st64_b64 v62, v[2:3], v[4:5] offset1:4
	ds_write2st64_b64 v62, v[6:7], v[8:9] offset0:8 offset1:12
	ds_write2st64_b64 v62, v[10:11], v[12:13] offset0:16 offset1:20
	;; [unrolled: 1-line block ×6, first 2 shown]
	ds_write_b64 v62, v[30:31] offset:28672
	s_waitcnt lgkmcnt(0)
	s_barrier
.LBB92_34:
	s_load_dwordx2 s[20:21], s[0:1], 0x28
	v_mul_u32_u24_e32 v66, 15, v0
	v_lshlrev_b32_e32 v1, 3, v66
	s_waitcnt lgkmcnt(0)
	ds_read2_b64 v[58:61], v1 offset1:1
	ds_read2_b64 v[54:57], v1 offset0:2 offset1:3
	ds_read2_b64 v[50:53], v1 offset0:4 offset1:5
	;; [unrolled: 1-line block ×6, first 2 shown]
	ds_read_b64 v[64:65], v1 offset:112
	s_cmp_lg_u32 s2, 0
	s_waitcnt lgkmcnt(7)
	v_cmp_lt_u64_e64 s[4:5], v[58:59], v[60:61]
	v_lshrrev_b32_e32 v63, 5, v0
	v_cmp_gt_u32_e32 vcc, 64, v0
	s_waitcnt lgkmcnt(0)
	s_barrier
	s_cbranch_scc0 .LBB92_59
; %bb.35:
	v_cndmask_b32_e64 v3, v61, v59, s[4:5]
	v_cndmask_b32_e64 v2, v60, v58, s[4:5]
	v_cmp_lt_u64_e64 s[4:5], v[2:3], v[54:55]
	s_nop 1
	v_cndmask_b32_e64 v3, v55, v3, s[4:5]
	v_cndmask_b32_e64 v2, v54, v2, s[4:5]
	v_cmp_lt_u64_e64 s[4:5], v[2:3], v[56:57]
	s_nop 1
	;; [unrolled: 4-line block ×13, first 2 shown]
	v_cndmask_b32_e64 v11, v65, v3, s[4:5]
	v_cndmask_b32_e64 v10, v64, v2, s[4:5]
	v_add_lshl_u32 v2, v63, v0, 3
	ds_write_b64 v2, v[10:11]
	s_waitcnt lgkmcnt(0)
	s_barrier
	s_and_saveexec_b64 s[6:7], vcc
	s_cbranch_execz .LBB92_37
; %bb.36:
	v_lshlrev_b32_e32 v2, 2, v0
	v_lshrrev_b32_e32 v3, 3, v0
	v_add_lshl_u32 v16, v3, v2, 3
	ds_read2_b64 v[2:5], v16 offset1:1
	ds_read2_b64 v[6:9], v16 offset0:2 offset1:3
	v_mbcnt_lo_u32_b32 v14, -1, 0
	v_mbcnt_hi_u32_b32 v17, -1, v14
	v_and_b32_e32 v18, 15, v17
	s_waitcnt lgkmcnt(1)
	v_cmp_lt_u64_e64 s[4:5], v[2:3], v[4:5]
	s_nop 1
	v_cndmask_b32_e64 v13, v5, v3, s[4:5]
	v_cndmask_b32_e64 v12, v4, v2, s[4:5]
	s_waitcnt lgkmcnt(0)
	v_cmp_lt_u64_e64 s[4:5], v[12:13], v[6:7]
	s_nop 1
	v_cndmask_b32_e64 v13, v7, v13, s[4:5]
	v_cndmask_b32_e64 v12, v6, v12, s[4:5]
	v_cmp_lt_u64_e64 s[4:5], v[12:13], v[8:9]
	s_nop 1
	v_cndmask_b32_e64 v13, v9, v13, s[4:5]
	v_cndmask_b32_e64 v12, v8, v12, s[4:5]
	s_nop 0
	v_mov_b32_dpp v15, v13 row_shr:1 row_mask:0xf bank_mask:0xf
	v_mov_b32_dpp v14, v12 row_shr:1 row_mask:0xf bank_mask:0xf
	v_cmp_lt_u64_e64 s[4:5], v[14:15], v[12:13]
	s_nop 1
	v_cndmask_b32_e64 v14, v12, v14, s[4:5]
	v_cndmask_b32_e64 v15, v13, v15, s[4:5]
	v_cmp_eq_u32_e64 s[4:5], 0, v18
	s_nop 1
	v_cndmask_b32_e64 v13, v15, v13, s[4:5]
	v_cndmask_b32_e64 v12, v14, v12, s[4:5]
	s_nop 0
	v_mov_b32_dpp v15, v13 row_shr:2 row_mask:0xf bank_mask:0xf
	v_mov_b32_dpp v14, v12 row_shr:2 row_mask:0xf bank_mask:0xf
	v_cmp_lt_u64_e64 s[4:5], v[14:15], v[12:13]
	s_nop 1
	v_cndmask_b32_e64 v14, v12, v14, s[4:5]
	v_cndmask_b32_e64 v15, v13, v15, s[4:5]
	v_cmp_lt_u32_e64 s[4:5], 1, v18
	s_nop 1
	v_cndmask_b32_e64 v13, v13, v15, s[4:5]
	v_cndmask_b32_e64 v12, v12, v14, s[4:5]
	s_nop 0
	v_mov_b32_dpp v15, v13 row_shr:4 row_mask:0xf bank_mask:0xf
	v_mov_b32_dpp v14, v12 row_shr:4 row_mask:0xf bank_mask:0xf
	v_cmp_lt_u64_e64 s[4:5], v[14:15], v[12:13]
	s_nop 1
	v_cndmask_b32_e64 v14, v12, v14, s[4:5]
	v_cndmask_b32_e64 v15, v13, v15, s[4:5]
	v_cmp_lt_u32_e64 s[4:5], 3, v18
	;; [unrolled: 11-line block ×3, first 2 shown]
	v_and_b32_e32 v18, 16, v17
	s_nop 0
	v_cndmask_b32_e64 v13, v13, v15, s[4:5]
	v_cndmask_b32_e64 v12, v12, v14, s[4:5]
	s_nop 0
	v_mov_b32_dpp v15, v13 row_bcast:15 row_mask:0xf bank_mask:0xf
	v_mov_b32_dpp v14, v12 row_bcast:15 row_mask:0xf bank_mask:0xf
	v_cmp_lt_u64_e64 s[4:5], v[14:15], v[12:13]
	s_nop 1
	v_cndmask_b32_e64 v14, v12, v14, s[4:5]
	v_cndmask_b32_e64 v15, v13, v15, s[4:5]
	v_cmp_eq_u32_e64 s[4:5], 0, v18
	s_nop 1
	v_cndmask_b32_e64 v13, v15, v13, s[4:5]
	v_cndmask_b32_e64 v12, v14, v12, s[4:5]
	s_nop 0
	v_mov_b32_dpp v15, v13 row_bcast:31 row_mask:0xf bank_mask:0xf
	v_mov_b32_dpp v14, v12 row_bcast:31 row_mask:0xf bank_mask:0xf
	v_cmp_lt_u64_e64 s[4:5], v[14:15], v[12:13]
	s_nop 1
	v_cndmask_b32_e64 v15, v13, v15, s[4:5]
	v_cndmask_b32_e64 v14, v12, v14, s[4:5]
	v_cmp_lt_u32_e64 s[4:5], 31, v17
	s_nop 1
	v_cndmask_b32_e64 v12, v12, v14, s[4:5]
	v_cndmask_b32_e64 v13, v13, v15, s[4:5]
	v_add_u32_e32 v14, -1, v17
	v_and_b32_e32 v15, 64, v17
	v_cmp_lt_i32_e64 s[4:5], v14, v15
	s_nop 1
	v_cndmask_b32_e64 v14, v14, v17, s[4:5]
	v_lshlrev_b32_e32 v14, 2, v14
	ds_bpermute_b32 v12, v14, v12
	ds_bpermute_b32 v13, v14, v13
	s_waitcnt lgkmcnt(0)
	v_cmp_lt_u64_e64 s[4:5], v[12:13], v[2:3]
	s_nop 1
	v_cndmask_b32_e64 v2, v2, v12, s[4:5]
	v_cndmask_b32_e64 v3, v3, v13, s[4:5]
	v_cmp_eq_u32_e64 s[4:5], 0, v0
	s_nop 1
	v_cndmask_b32_e64 v3, v3, v11, s[4:5]
	v_cndmask_b32_e64 v2, v2, v10, s[4:5]
	v_cmp_lt_u64_e64 s[4:5], v[2:3], v[4:5]
	s_nop 1
	v_cndmask_b32_e64 v5, v5, v3, s[4:5]
	v_cndmask_b32_e64 v4, v4, v2, s[4:5]
	v_cmp_lt_u64_e64 s[4:5], v[4:5], v[6:7]
	ds_write2_b64 v16, v[2:3], v[4:5] offset1:1
	s_nop 0
	v_cndmask_b32_e64 v3, v7, v5, s[4:5]
	v_cndmask_b32_e64 v2, v6, v4, s[4:5]
	v_cmp_lt_u64_e64 s[4:5], v[2:3], v[8:9]
	s_nop 1
	v_cndmask_b32_e64 v5, v9, v3, s[4:5]
	v_cndmask_b32_e64 v4, v8, v2, s[4:5]
	ds_write2_b64 v16, v[2:3], v[4:5] offset0:2 offset1:3
.LBB92_37:
	s_or_b64 exec, exec, s[6:7]
	v_cmp_eq_u32_e64 s[6:7], 0, v0
	v_cmp_ne_u32_e64 s[4:5], 0, v0
	s_waitcnt lgkmcnt(0)
	s_barrier
	s_and_saveexec_b64 s[8:9], s[4:5]
	s_cbranch_execz .LBB92_39
; %bb.38:
	v_add_u32_e32 v2, -1, v0
	v_lshrrev_b32_e32 v3, 5, v2
	v_add_lshl_u32 v2, v3, v2, 3
	ds_read_b64 v[10:11], v2
.LBB92_39:
	s_or_b64 exec, exec, s[8:9]
	s_and_saveexec_b64 s[22:23], vcc
	s_cbranch_execz .LBB92_58
; %bb.40:
	v_mov_b32_e32 v5, 0
	ds_read_b64 v[2:3], v5 offset:2096
	v_mbcnt_lo_u32_b32 v4, -1, 0
	v_mbcnt_hi_u32_b32 v13, -1, v4
	s_mov_b32 s25, 0
	v_cmp_eq_u32_e64 s[4:5], 0, v13
	s_and_saveexec_b64 s[8:9], s[4:5]
	s_cbranch_execz .LBB92_42
; %bb.41:
	s_add_i32 s24, s2, 64
	s_lshl_b64 s[24:25], s[24:25], 4
	s_add_u32 s24, s20, s24
	s_addc_u32 s25, s21, s25
	v_mov_b32_e32 v4, 1
	v_mov_b64_e32 v[6:7], s[24:25]
	s_waitcnt lgkmcnt(0)
	;;#ASMSTART
	global_store_dwordx4 v[6:7], v[2:5] off sc1	
s_waitcnt vmcnt(0)
	;;#ASMEND
.LBB92_42:
	s_or_b64 exec, exec, s[8:9]
	v_xad_u32 v12, v13, -1, s2
	v_add_u32_e32 v4, 64, v12
	v_lshl_add_u64 v[14:15], v[4:5], 4, s[20:21]
	;;#ASMSTART
	global_load_dwordx4 v[6:9], v[14:15] off sc1	
s_waitcnt vmcnt(0)
	;;#ASMEND
	s_nop 0
	v_cmp_eq_u16_sdwa s[24:25], v8, v5 src0_sel:BYTE_0 src1_sel:DWORD
	s_and_saveexec_b64 s[8:9], s[24:25]
	s_cbranch_execz .LBB92_46
; %bb.43:
	s_mov_b64 s[24:25], 0
	v_mov_b32_e32 v4, 0
.LBB92_44:                              ; =>This Inner Loop Header: Depth=1
	;;#ASMSTART
	global_load_dwordx4 v[6:9], v[14:15] off sc1	
s_waitcnt vmcnt(0)
	;;#ASMEND
	s_nop 0
	v_cmp_ne_u16_sdwa s[28:29], v8, v4 src0_sel:BYTE_0 src1_sel:DWORD
	s_or_b64 s[24:25], s[28:29], s[24:25]
	s_andn2_b64 exec, exec, s[24:25]
	s_cbranch_execnz .LBB92_44
; %bb.45:
	s_or_b64 exec, exec, s[24:25]
.LBB92_46:
	s_or_b64 exec, exec, s[8:9]
	v_and_b32_e32 v17, 63, v13
	v_cmp_ne_u32_e32 vcc, 63, v17
	v_mov_b32_e32 v18, 2
	v_cmp_eq_u16_sdwa s[8:9], v8, v18 src0_sel:BYTE_0 src1_sel:DWORD
	v_addc_co_u32_e32 v14, vcc, 0, v13, vcc
	v_lshlrev_b32_e32 v19, 2, v14
	v_lshlrev_b64 v[4:5], v13, -1
	ds_bpermute_b32 v14, v19, v6
	ds_bpermute_b32 v15, v19, v7
	v_and_b32_e32 v9, s9, v5
	v_or_b32_e32 v9, 0x80000000, v9
	v_and_b32_e32 v16, s8, v4
	v_ffbl_b32_e32 v9, v9
	v_add_u32_e32 v9, 32, v9
	v_ffbl_b32_e32 v16, v16
	v_min_u32_e32 v9, v16, v9
	v_add_u32_e32 v20, 1, v13
	s_waitcnt lgkmcnt(0)
	v_cmp_lt_u64_e32 vcc, v[14:15], v[6:7]
	v_add_u32_e32 v22, 2, v13
	v_add_u32_e32 v24, 4, v13
	v_cndmask_b32_e32 v15, v7, v15, vcc
	v_cndmask_b32_e32 v14, v6, v14, vcc
	v_cmp_gt_u32_e32 vcc, v20, v9
	v_add_u32_e32 v26, 8, v13
	v_add_u32_e32 v28, 16, v13
	v_cndmask_b32_e32 v6, v14, v6, vcc
	v_cndmask_b32_e32 v7, v15, v7, vcc
	v_cmp_gt_u32_e32 vcc, 62, v17
	v_cmp_gt_u32_e64 s[8:9], 32, v17
	v_add_u32_e32 v30, 32, v13
	v_cndmask_b32_e64 v14, 0, 1, vcc
	v_lshlrev_b32_e32 v14, 1, v14
	v_add_lshl_u32 v21, v14, v13, 2
	ds_bpermute_b32 v14, v21, v6
	ds_bpermute_b32 v15, v21, v7
	s_waitcnt lgkmcnt(0)
	v_cmp_lt_u64_e32 vcc, v[14:15], v[6:7]
	s_nop 1
	v_cndmask_b32_e32 v15, v7, v15, vcc
	v_cndmask_b32_e32 v14, v6, v14, vcc
	v_cmp_gt_u32_e32 vcc, v22, v9
	s_nop 1
	v_cndmask_b32_e32 v6, v14, v6, vcc
	v_cndmask_b32_e32 v7, v15, v7, vcc
	v_cmp_gt_u32_e32 vcc, 60, v17
	s_nop 1
	v_cndmask_b32_e64 v14, 0, 1, vcc
	v_lshlrev_b32_e32 v14, 2, v14
	v_add_lshl_u32 v23, v14, v13, 2
	ds_bpermute_b32 v14, v23, v6
	ds_bpermute_b32 v15, v23, v7
	s_waitcnt lgkmcnt(0)
	v_cmp_lt_u64_e32 vcc, v[14:15], v[6:7]
	s_nop 1
	v_cndmask_b32_e32 v15, v7, v15, vcc
	v_cndmask_b32_e32 v14, v6, v14, vcc
	v_cmp_gt_u32_e32 vcc, v24, v9
	s_nop 1
	v_cndmask_b32_e32 v6, v14, v6, vcc
	v_cndmask_b32_e32 v7, v15, v7, vcc
	v_cmp_gt_u32_e32 vcc, 56, v17
	s_nop 1
	;; [unrolled: 16-line block ×3, first 2 shown]
	v_cndmask_b32_e64 v14, 0, 1, vcc
	v_lshlrev_b32_e32 v14, 4, v14
	v_add_lshl_u32 v27, v14, v13, 2
	ds_bpermute_b32 v14, v27, v6
	ds_bpermute_b32 v15, v27, v7
	s_waitcnt lgkmcnt(0)
	v_cmp_lt_u64_e32 vcc, v[14:15], v[6:7]
	s_nop 1
	v_cndmask_b32_e32 v15, v7, v15, vcc
	v_cndmask_b32_e32 v14, v6, v14, vcc
	v_cmp_gt_u32_e32 vcc, v28, v9
	s_nop 1
	v_cndmask_b32_e32 v6, v14, v6, vcc
	v_cndmask_b32_e64 v14, 0, 1, s[8:9]
	v_lshlrev_b32_e32 v14, 5, v14
	v_add_lshl_u32 v29, v14, v13, 2
	v_cndmask_b32_e32 v7, v15, v7, vcc
	ds_bpermute_b32 v14, v29, v6
	ds_bpermute_b32 v15, v29, v7
	s_waitcnt lgkmcnt(0)
	v_cmp_lt_u64_e32 vcc, v[14:15], v[6:7]
	s_nop 1
	v_cndmask_b32_e32 v13, v6, v14, vcc
	v_cndmask_b32_e32 v14, v7, v15, vcc
	v_cmp_gt_u32_e32 vcc, v30, v9
	s_nop 1
	v_cndmask_b32_e32 v7, v14, v7, vcc
	v_cndmask_b32_e32 v6, v13, v6, vcc
	v_mov_b32_e32 v13, 0
	s_branch .LBB92_48
.LBB92_47:                              ;   in Loop: Header=BB92_48 Depth=1
	s_or_b64 exec, exec, s[8:9]
	v_cmp_eq_u16_sdwa s[8:9], v8, v18 src0_sel:BYTE_0 src1_sel:DWORD
	ds_bpermute_b32 v16, v19, v6
	ds_bpermute_b32 v17, v19, v7
	v_and_b32_e32 v9, s9, v5
	v_or_b32_e32 v9, 0x80000000, v9
	v_and_b32_e32 v31, s8, v4
	v_ffbl_b32_e32 v9, v9
	v_add_u32_e32 v9, 32, v9
	v_ffbl_b32_e32 v31, v31
	v_min_u32_e32 v9, v31, v9
	s_waitcnt lgkmcnt(0)
	v_cmp_lt_u64_e32 vcc, v[16:17], v[6:7]
	v_subrev_u32_e32 v12, 64, v12
	s_nop 0
	v_cndmask_b32_e32 v17, v7, v17, vcc
	v_cndmask_b32_e32 v16, v6, v16, vcc
	v_cmp_gt_u32_e32 vcc, v20, v9
	s_nop 1
	v_cndmask_b32_e32 v6, v16, v6, vcc
	v_cndmask_b32_e32 v7, v17, v7, vcc
	ds_bpermute_b32 v16, v21, v6
	ds_bpermute_b32 v17, v21, v7
	s_waitcnt lgkmcnt(0)
	v_cmp_lt_u64_e32 vcc, v[16:17], v[6:7]
	s_nop 1
	v_cndmask_b32_e32 v17, v7, v17, vcc
	v_cndmask_b32_e32 v16, v6, v16, vcc
	v_cmp_gt_u32_e32 vcc, v22, v9
	s_nop 1
	v_cndmask_b32_e32 v6, v16, v6, vcc
	v_cndmask_b32_e32 v7, v17, v7, vcc
	ds_bpermute_b32 v16, v23, v6
	ds_bpermute_b32 v17, v23, v7
	s_waitcnt lgkmcnt(0)
	v_cmp_lt_u64_e32 vcc, v[16:17], v[6:7]
	;; [unrolled: 11-line block ×5, first 2 shown]
	s_nop 1
	v_cndmask_b32_e32 v16, v6, v16, vcc
	v_cndmask_b32_e32 v17, v7, v17, vcc
	v_cmp_gt_u32_e32 vcc, v30, v9
	s_nop 1
	v_cndmask_b32_e32 v7, v17, v7, vcc
	v_cndmask_b32_e32 v6, v16, v6, vcc
	v_cmp_lt_u64_e32 vcc, v[6:7], v[14:15]
	s_nop 1
	v_cndmask_b32_e32 v7, v15, v7, vcc
	v_cndmask_b32_e32 v6, v14, v6, vcc
.LBB92_48:                              ; =>This Loop Header: Depth=1
                                        ;     Child Loop BB92_51 Depth 2
	v_cmp_ne_u16_sdwa s[8:9], v8, v18 src0_sel:BYTE_0 src1_sel:DWORD
	v_mov_b64_e32 v[14:15], v[6:7]
	s_nop 0
	v_cndmask_b32_e64 v8, 0, 1, s[8:9]
	;;#ASMSTART
	;;#ASMEND
	s_nop 0
	v_cmp_ne_u32_e32 vcc, 0, v8
	s_cmp_lg_u64 vcc, exec
	s_cbranch_scc1 .LBB92_53
; %bb.49:                               ;   in Loop: Header=BB92_48 Depth=1
	v_lshl_add_u64 v[16:17], v[12:13], 4, s[20:21]
	;;#ASMSTART
	global_load_dwordx4 v[6:9], v[16:17] off sc1	
s_waitcnt vmcnt(0)
	;;#ASMEND
	s_nop 0
	v_cmp_eq_u16_sdwa s[24:25], v8, v13 src0_sel:BYTE_0 src1_sel:DWORD
	s_and_saveexec_b64 s[8:9], s[24:25]
	s_cbranch_execz .LBB92_47
; %bb.50:                               ;   in Loop: Header=BB92_48 Depth=1
	s_mov_b64 s[24:25], 0
.LBB92_51:                              ;   Parent Loop BB92_48 Depth=1
                                        ; =>  This Inner Loop Header: Depth=2
	;;#ASMSTART
	global_load_dwordx4 v[6:9], v[16:17] off sc1	
s_waitcnt vmcnt(0)
	;;#ASMEND
	s_nop 0
	v_cmp_ne_u16_sdwa s[28:29], v8, v13 src0_sel:BYTE_0 src1_sel:DWORD
	s_or_b64 s[24:25], s[28:29], s[24:25]
	s_andn2_b64 exec, exec, s[24:25]
	s_cbranch_execnz .LBB92_51
; %bb.52:                               ;   in Loop: Header=BB92_48 Depth=1
	s_or_b64 exec, exec, s[24:25]
	s_branch .LBB92_47
.LBB92_53:                              ;   in Loop: Header=BB92_48 Depth=1
                                        ; implicit-def: $vgpr6_vgpr7
                                        ; implicit-def: $vgpr8
	s_cbranch_execz .LBB92_48
; %bb.54:
	s_and_saveexec_b64 s[8:9], s[4:5]
	s_cbranch_execz .LBB92_56
; %bb.55:
	s_add_i32 s2, s2, 64
	s_mov_b32 s3, 0
	s_lshl_b64 s[2:3], s[2:3], 4
	s_add_u32 s2, s20, s2
	v_cmp_lt_u64_e32 vcc, v[14:15], v[2:3]
	s_addc_u32 s3, s21, s3
	v_mov_b32_e32 v4, 2
	v_cndmask_b32_e32 v3, v3, v15, vcc
	v_cndmask_b32_e32 v2, v2, v14, vcc
	v_mov_b32_e32 v5, 0
	v_mov_b64_e32 v[6:7], s[2:3]
	;;#ASMSTART
	global_store_dwordx4 v[6:7], v[2:5] off sc1	
s_waitcnt vmcnt(0)
	;;#ASMEND
.LBB92_56:
	s_or_b64 exec, exec, s[8:9]
	s_and_b64 exec, exec, s[6:7]
	s_cbranch_execz .LBB92_58
; %bb.57:
	v_mov_b32_e32 v2, 0
	ds_write_b64 v2, v[14:15]
.LBB92_58:
	s_or_b64 exec, exec, s[22:23]
	v_mov_b32_e32 v2, 0
	s_waitcnt lgkmcnt(0)
	s_barrier
	ds_read_b64 v[2:3], v2
	s_waitcnt lgkmcnt(0)
	v_cmp_lt_u64_e32 vcc, v[2:3], v[10:11]
	s_or_b64 vcc, s[6:7], vcc
	s_nop 0
	v_cndmask_b32_e32 v3, v11, v3, vcc
	v_cndmask_b32_e32 v2, v10, v2, vcc
	v_cmp_lt_u64_e32 vcc, v[2:3], v[58:59]
	s_nop 1
	v_cndmask_b32_e32 v5, v59, v3, vcc
	v_cndmask_b32_e32 v4, v58, v2, vcc
	v_cmp_lt_u64_e32 vcc, v[4:5], v[60:61]
	;; [unrolled: 4-line block ×14, first 2 shown]
	s_nop 1
	v_cndmask_b32_e32 v31, v37, v29, vcc
	v_cndmask_b32_e32 v30, v36, v28, vcc
	s_load_dwordx4 s[4:7], s[0:1], 0x38
	s_branch .LBB92_69
.LBB92_59:
                                        ; implicit-def: $vgpr2_vgpr3_vgpr4_vgpr5_vgpr6_vgpr7_vgpr8_vgpr9_vgpr10_vgpr11_vgpr12_vgpr13_vgpr14_vgpr15_vgpr16_vgpr17_vgpr18_vgpr19_vgpr20_vgpr21_vgpr22_vgpr23_vgpr24_vgpr25_vgpr26_vgpr27_vgpr28_vgpr29_vgpr30_vgpr31_vgpr32_vgpr33
	s_load_dwordx4 s[4:7], s[0:1], 0x38
	s_cbranch_execz .LBB92_69
; %bb.60:
	s_load_dword s2, s[0:1], 0x48
	s_waitcnt lgkmcnt(0)
	s_bitcmp0_b32 s2, 0
	s_cbranch_scc1 .LBB92_62
; %bb.61:
	s_add_u32 s2, s12, -8
	s_addc_u32 s3, s13, -1
	s_load_dwordx2 s[8:9], s[2:3], 0x0
	s_load_dwordx2 s[12:13], s[4:5], 0x0
	s_waitcnt lgkmcnt(0)
	v_mov_b64_e32 v[2:3], s[8:9]
	v_cmp_lt_u64_e32 vcc, s[12:13], v[2:3]
	s_and_b64 s[2:3], vcc, exec
	s_cselect_b32 s19, s13, s9
	s_cselect_b32 s18, s12, s8
.LBB92_62:
	v_cmp_lt_u64_e32 vcc, v[58:59], v[60:61]
	v_add_lshl_u32 v4, v63, v0, 3
	s_nop 0
	v_cndmask_b32_e32 v3, v61, v59, vcc
	v_cndmask_b32_e32 v2, v60, v58, vcc
	v_cmp_lt_u64_e32 vcc, v[2:3], v[54:55]
	s_nop 1
	v_cndmask_b32_e32 v3, v55, v3, vcc
	v_cndmask_b32_e32 v2, v54, v2, vcc
	v_cmp_lt_u64_e32 vcc, v[2:3], v[56:57]
	;; [unrolled: 4-line block ×13, first 2 shown]
	s_nop 1
	v_cndmask_b32_e32 v3, v65, v3, vcc
	v_cndmask_b32_e32 v2, v64, v2, vcc
	v_cmp_gt_u32_e32 vcc, 64, v0
	ds_write_b64 v4, v[2:3]
	s_waitcnt lgkmcnt(0)
	s_barrier
	s_and_saveexec_b64 s[2:3], vcc
	s_cbranch_execz .LBB92_64
; %bb.63:
	v_lshlrev_b32_e32 v4, 2, v0
	v_lshrrev_b32_e32 v5, 3, v0
	v_add_lshl_u32 v16, v5, v4, 3
	ds_read2_b64 v[4:7], v16 offset1:1
	ds_read2_b64 v[8:11], v16 offset0:2 offset1:3
	v_mbcnt_lo_u32_b32 v14, -1, 0
	v_mbcnt_hi_u32_b32 v17, -1, v14
	v_and_b32_e32 v18, 15, v17
	s_waitcnt lgkmcnt(1)
	v_cmp_lt_u64_e32 vcc, v[4:5], v[6:7]
	s_nop 1
	v_cndmask_b32_e32 v13, v7, v5, vcc
	v_cndmask_b32_e32 v12, v6, v4, vcc
	s_waitcnt lgkmcnt(0)
	v_cmp_lt_u64_e32 vcc, v[12:13], v[8:9]
	s_nop 1
	v_cndmask_b32_e32 v13, v9, v13, vcc
	v_cndmask_b32_e32 v12, v8, v12, vcc
	v_cmp_lt_u64_e32 vcc, v[12:13], v[10:11]
	s_nop 1
	v_cndmask_b32_e32 v13, v11, v13, vcc
	v_cndmask_b32_e32 v12, v10, v12, vcc
	s_nop 0
	v_mov_b32_dpp v15, v13 row_shr:1 row_mask:0xf bank_mask:0xf
	v_mov_b32_dpp v14, v12 row_shr:1 row_mask:0xf bank_mask:0xf
	v_cmp_lt_u64_e32 vcc, v[14:15], v[12:13]
	s_nop 1
	v_cndmask_b32_e32 v14, v12, v14, vcc
	v_cndmask_b32_e32 v15, v13, v15, vcc
	v_cmp_eq_u32_e32 vcc, 0, v18
	s_nop 1
	v_cndmask_b32_e32 v13, v15, v13, vcc
	v_cndmask_b32_e32 v12, v14, v12, vcc
	s_nop 0
	v_mov_b32_dpp v15, v13 row_shr:2 row_mask:0xf bank_mask:0xf
	v_mov_b32_dpp v14, v12 row_shr:2 row_mask:0xf bank_mask:0xf
	v_cmp_lt_u64_e32 vcc, v[14:15], v[12:13]
	s_nop 1
	v_cndmask_b32_e32 v14, v12, v14, vcc
	v_cndmask_b32_e32 v15, v13, v15, vcc
	v_cmp_lt_u32_e32 vcc, 1, v18
	s_nop 1
	v_cndmask_b32_e32 v13, v13, v15, vcc
	v_cndmask_b32_e32 v12, v12, v14, vcc
	s_nop 0
	v_mov_b32_dpp v15, v13 row_shr:4 row_mask:0xf bank_mask:0xf
	v_mov_b32_dpp v14, v12 row_shr:4 row_mask:0xf bank_mask:0xf
	v_cmp_lt_u64_e32 vcc, v[14:15], v[12:13]
	s_nop 1
	v_cndmask_b32_e32 v14, v12, v14, vcc
	v_cndmask_b32_e32 v15, v13, v15, vcc
	v_cmp_lt_u32_e32 vcc, 3, v18
	;; [unrolled: 11-line block ×3, first 2 shown]
	v_and_b32_e32 v18, 16, v17
	s_nop 0
	v_cndmask_b32_e32 v13, v13, v15, vcc
	v_cndmask_b32_e32 v12, v12, v14, vcc
	s_nop 0
	v_mov_b32_dpp v15, v13 row_bcast:15 row_mask:0xf bank_mask:0xf
	v_mov_b32_dpp v14, v12 row_bcast:15 row_mask:0xf bank_mask:0xf
	v_cmp_lt_u64_e32 vcc, v[14:15], v[12:13]
	s_nop 1
	v_cndmask_b32_e32 v14, v12, v14, vcc
	v_cndmask_b32_e32 v15, v13, v15, vcc
	v_cmp_eq_u32_e32 vcc, 0, v18
	s_nop 1
	v_cndmask_b32_e32 v13, v15, v13, vcc
	v_cndmask_b32_e32 v12, v14, v12, vcc
	s_nop 0
	v_mov_b32_dpp v15, v13 row_bcast:31 row_mask:0xf bank_mask:0xf
	v_mov_b32_dpp v14, v12 row_bcast:31 row_mask:0xf bank_mask:0xf
	v_cmp_lt_u64_e32 vcc, v[14:15], v[12:13]
	s_nop 1
	v_cndmask_b32_e32 v15, v13, v15, vcc
	v_cndmask_b32_e32 v14, v12, v14, vcc
	v_cmp_lt_u32_e32 vcc, 31, v17
	s_nop 1
	v_cndmask_b32_e32 v12, v12, v14, vcc
	v_cndmask_b32_e32 v13, v13, v15, vcc
	v_add_u32_e32 v14, -1, v17
	v_and_b32_e32 v15, 64, v17
	v_cmp_lt_i32_e32 vcc, v14, v15
	s_nop 1
	v_cndmask_b32_e32 v14, v14, v17, vcc
	v_lshlrev_b32_e32 v14, 2, v14
	ds_bpermute_b32 v12, v14, v12
	ds_bpermute_b32 v13, v14, v13
	s_waitcnt lgkmcnt(0)
	v_cmp_lt_u64_e32 vcc, v[12:13], v[4:5]
	s_nop 1
	v_cndmask_b32_e32 v4, v4, v12, vcc
	v_cndmask_b32_e32 v5, v5, v13, vcc
	v_cmp_eq_u32_e32 vcc, 0, v0
	s_nop 1
	v_cndmask_b32_e32 v3, v5, v3, vcc
	v_cndmask_b32_e32 v2, v4, v2, vcc
	v_cmp_lt_u64_e32 vcc, v[2:3], v[6:7]
	s_nop 1
	v_cndmask_b32_e32 v5, v7, v3, vcc
	v_cndmask_b32_e32 v4, v6, v2, vcc
	v_cmp_lt_u64_e32 vcc, v[4:5], v[8:9]
	ds_write2_b64 v16, v[2:3], v[4:5] offset1:1
	s_nop 0
	v_cndmask_b32_e32 v3, v9, v5, vcc
	v_cndmask_b32_e32 v2, v8, v4, vcc
	v_cmp_lt_u64_e32 vcc, v[2:3], v[10:11]
	s_nop 1
	v_cndmask_b32_e32 v5, v11, v3, vcc
	v_cndmask_b32_e32 v4, v10, v2, vcc
	ds_write2_b64 v16, v[2:3], v[4:5] offset0:2 offset1:3
.LBB92_64:
	s_or_b64 exec, exec, s[2:3]
	v_cmp_eq_u32_e32 vcc, 0, v0
	v_cmp_ne_u32_e64 s[2:3], 0, v0
	v_mov_b64_e32 v[2:3], s[18:19]
	s_waitcnt lgkmcnt(0)
	s_barrier
	s_and_saveexec_b64 s[4:5], s[2:3]
	s_cbranch_execz .LBB92_66
; %bb.65:
	v_add_u32_e32 v2, -1, v0
	v_lshrrev_b32_e32 v3, 5, v2
	v_add_lshl_u32 v2, v3, v2, 3
	ds_read_b64 v[2:3], v2
	v_mov_b32_e32 v4, s19
	s_waitcnt lgkmcnt(0)
	v_cmp_lt_u64_e64 s[2:3], s[18:19], v[2:3]
	s_nop 1
	v_cndmask_b32_e64 v3, v3, v4, s[2:3]
	v_mov_b32_e32 v4, s18
	v_cndmask_b32_e64 v2, v2, v4, s[2:3]
.LBB92_66:
	s_or_b64 exec, exec, s[4:5]
	v_cmp_lt_u64_e64 s[2:3], v[2:3], v[58:59]
	s_nop 1
	v_cndmask_b32_e64 v5, v59, v3, s[2:3]
	v_cndmask_b32_e64 v4, v58, v2, s[2:3]
	v_cmp_lt_u64_e64 s[2:3], v[4:5], v[60:61]
	s_nop 1
	v_cndmask_b32_e64 v7, v61, v5, s[2:3]
	v_cndmask_b32_e64 v6, v60, v4, s[2:3]
	;; [unrolled: 4-line block ×14, first 2 shown]
	s_and_saveexec_b64 s[2:3], vcc
	s_cbranch_execz .LBB92_68
; %bb.67:
	v_mov_b32_e32 v35, 0
	ds_read_b64 v[32:33], v35 offset:2096
	s_add_u32 s4, s20, 0x400
	v_mov_b32_e32 v34, s19
	v_mov_b32_e32 v36, s18
	s_addc_u32 s5, s21, 0
	s_waitcnt lgkmcnt(0)
	v_cmp_lt_u64_e32 vcc, s[18:19], v[32:33]
	s_nop 1
	v_cndmask_b32_e32 v33, v33, v34, vcc
	v_cndmask_b32_e32 v32, v32, v36, vcc
	v_mov_b32_e32 v34, 2
	v_mov_b64_e32 v[36:37], s[4:5]
	;;#ASMSTART
	global_store_dwordx4 v[36:37], v[32:35] off sc1	
s_waitcnt vmcnt(0)
	;;#ASMEND
.LBB92_68:
	s_or_b64 exec, exec, s[2:3]
.LBB92_69:
	s_add_u32 s2, s14, s16
	s_addc_u32 s3, s15, s17
	s_waitcnt lgkmcnt(0)
	s_mov_b64 s[4:5], -1
	s_and_b64 vcc, exec, s[10:11]
	s_barrier
	s_cbranch_vccz .LBB92_71
; %bb.70:
	v_mul_u32_u24_e32 v32, 0x78, v0
	s_movk_i32 s4, 0x78
	ds_write2_b64 v32, v[2:3], v[4:5] offset1:1
	ds_write2_b64 v32, v[6:7], v[8:9] offset0:2 offset1:3
	ds_write2_b64 v32, v[10:11], v[12:13] offset0:4 offset1:5
	ds_write2_b64 v32, v[14:15], v[16:17] offset0:6 offset1:7
	ds_write2_b64 v32, v[18:19], v[20:21] offset0:8 offset1:9
	ds_write2_b64 v32, v[22:23], v[24:25] offset0:10 offset1:11
	ds_write2_b64 v32, v[26:27], v[28:29] offset0:12 offset1:13
	ds_write_b64 v32, v[30:31] offset:112
	v_mul_i32_i24_e32 v32, 0xffffff90, v0
	v_mad_u32_u24 v60, v0, s4, v32
	v_mov_b32_e32 v63, 0
	s_waitcnt lgkmcnt(0)
	s_barrier
	ds_read2st64_b64 v[32:35], v60 offset1:4
	ds_read2st64_b64 v[36:39], v60 offset0:8 offset1:12
	ds_read2st64_b64 v[40:43], v60 offset0:16 offset1:20
	;; [unrolled: 1-line block ×6, first 2 shown]
	ds_read_b64 v[60:61], v60 offset:28672
	v_lshl_add_u64 v[64:65], s[2:3], 0, v[62:63]
	s_movk_i32 s4, 0x1000
	s_waitcnt lgkmcnt(7)
	global_store_dwordx2 v62, v[32:33], s[2:3]
	global_store_dwordx2 v62, v[34:35], s[2:3] offset:2048
	v_add_co_u32_e32 v32, vcc, s4, v64
	s_movk_i32 s4, 0x2000
	s_nop 0
	v_addc_co_u32_e32 v33, vcc, 0, v65, vcc
	v_add_co_u32_e32 v34, vcc, s4, v64
	s_movk_i32 s4, 0x3000
	s_nop 0
	v_addc_co_u32_e32 v35, vcc, 0, v65, vcc
	s_waitcnt lgkmcnt(6)
	global_store_dwordx2 v[34:35], v[36:37], off offset:-4096
	global_store_dwordx2 v[32:33], v[38:39], off offset:2048
	s_waitcnt lgkmcnt(5)
	global_store_dwordx2 v[34:35], v[40:41], off
	global_store_dwordx2 v[34:35], v[42:43], off offset:2048
	v_add_co_u32_e32 v32, vcc, s4, v64
	s_movk_i32 s4, 0x4000
	s_nop 0
	v_addc_co_u32_e32 v33, vcc, 0, v65, vcc
	v_add_co_u32_e32 v34, vcc, s4, v64
	s_movk_i32 s4, 0x5000
	s_nop 0
	v_addc_co_u32_e32 v35, vcc, 0, v65, vcc
	s_waitcnt lgkmcnt(4)
	global_store_dwordx2 v[34:35], v[44:45], off offset:-4096
	global_store_dwordx2 v[32:33], v[46:47], off offset:2048
	s_waitcnt lgkmcnt(3)
	global_store_dwordx2 v[34:35], v[48:49], off
	global_store_dwordx2 v[34:35], v[50:51], off offset:2048
	v_add_co_u32_e32 v32, vcc, s4, v64
	s_mov_b64 s[4:5], 0
	s_nop 0
	v_addc_co_u32_e32 v33, vcc, 0, v65, vcc
	s_waitcnt lgkmcnt(2)
	global_store_dwordx2 v[32:33], v[52:53], off
	global_store_dwordx2 v[32:33], v[54:55], off offset:2048
	v_add_co_u32_e32 v32, vcc, 0x6000, v64
	s_nop 1
	v_addc_co_u32_e32 v33, vcc, 0, v65, vcc
	s_waitcnt lgkmcnt(1)
	global_store_dwordx2 v[32:33], v[56:57], off
	global_store_dwordx2 v[32:33], v[58:59], off offset:2048
	v_add_co_u32_e32 v32, vcc, 0x7000, v64
	s_nop 1
	v_addc_co_u32_e32 v33, vcc, 0, v65, vcc
	s_waitcnt lgkmcnt(0)
	global_store_dwordx2 v[32:33], v[60:61], off
.LBB92_71:
	s_andn2_b64 vcc, exec, s[4:5]
	s_cbranch_vccnz .LBB92_157
; %bb.72:
	s_movk_i32 s4, 0xff90
	ds_write2_b64 v1, v[2:3], v[4:5] offset1:1
	ds_write2_b64 v1, v[6:7], v[8:9] offset0:2 offset1:3
	ds_write2_b64 v1, v[10:11], v[12:13] offset0:4 offset1:5
	;; [unrolled: 1-line block ×6, first 2 shown]
	ds_write_b64 v1, v[30:31] offset:112
	v_mad_i32_i24 v1, v0, s4, v1
	s_waitcnt lgkmcnt(0)
	s_barrier
	ds_read2st64_b64 v[6:9], v1 offset1:4
	ds_read2st64_b64 v[14:17], v1 offset0:8 offset1:12
	ds_read2st64_b64 v[10:13], v1 offset0:16 offset1:20
	;; [unrolled: 1-line block ×6, first 2 shown]
	ds_read_b64 v[30:31], v1 offset:28672
	v_mov_b32_e32 v63, 0
	v_lshl_add_u64 v[32:33], s[2:3], 0, v[62:63]
	v_cmp_gt_u32_e32 vcc, s26, v0
	s_and_saveexec_b64 s[2:3], vcc
	s_cbranch_execz .LBB92_74
; %bb.73:
	s_waitcnt lgkmcnt(7)
	global_store_dwordx2 v[32:33], v[6:7], off
.LBB92_74:
	s_or_b64 exec, exec, s[2:3]
	v_or_b32_e32 v1, 0x100, v0
	v_cmp_gt_u32_e32 vcc, s26, v1
	s_and_saveexec_b64 s[2:3], vcc
	s_cbranch_execz .LBB92_76
; %bb.75:
	s_waitcnt lgkmcnt(7)
	global_store_dwordx2 v[32:33], v[8:9], off offset:2048
.LBB92_76:
	s_or_b64 exec, exec, s[2:3]
	v_or_b32_e32 v1, 0x200, v0
	v_cmp_gt_u32_e32 vcc, s26, v1
	s_and_saveexec_b64 s[2:3], vcc
	s_cbranch_execz .LBB92_78
; %bb.77:
	v_add_co_u32_e32 v34, vcc, 0x1000, v32
	s_nop 1
	v_addc_co_u32_e32 v35, vcc, 0, v33, vcc
	s_waitcnt lgkmcnt(6)
	global_store_dwordx2 v[34:35], v[14:15], off
.LBB92_78:
	s_or_b64 exec, exec, s[2:3]
	v_or_b32_e32 v1, 0x300, v0
	v_cmp_gt_u32_e32 vcc, s26, v1
	s_and_saveexec_b64 s[2:3], vcc
	s_cbranch_execz .LBB92_80
; %bb.79:
	v_add_co_u32_e32 v34, vcc, 0x1000, v32
	s_nop 1
	v_addc_co_u32_e32 v35, vcc, 0, v33, vcc
	s_waitcnt lgkmcnt(6)
	global_store_dwordx2 v[34:35], v[16:17], off offset:2048
.LBB92_80:
	s_or_b64 exec, exec, s[2:3]
	v_or_b32_e32 v1, 0x400, v0
	v_cmp_gt_u32_e32 vcc, s26, v1
	s_and_saveexec_b64 s[2:3], vcc
	s_cbranch_execz .LBB92_82
; %bb.81:
	v_add_co_u32_e32 v34, vcc, 0x2000, v32
	s_nop 1
	v_addc_co_u32_e32 v35, vcc, 0, v33, vcc
	s_waitcnt lgkmcnt(5)
	global_store_dwordx2 v[34:35], v[10:11], off
.LBB92_82:
	s_or_b64 exec, exec, s[2:3]
	v_or_b32_e32 v1, 0x500, v0
	v_cmp_gt_u32_e32 vcc, s26, v1
	s_and_saveexec_b64 s[2:3], vcc
	s_cbranch_execz .LBB92_84
; %bb.83:
	v_add_co_u32_e32 v34, vcc, 0x2000, v32
	s_nop 1
	v_addc_co_u32_e32 v35, vcc, 0, v33, vcc
	s_waitcnt lgkmcnt(5)
	global_store_dwordx2 v[34:35], v[12:13], off offset:2048
.LBB92_84:
	;; [unrolled: 24-line block ×6, first 2 shown]
	s_or_b64 exec, exec, s[2:3]
	v_or_b32_e32 v1, 0xe00, v0
	v_cmp_gt_u32_e32 vcc, s26, v1
	s_and_saveexec_b64 s[2:3], vcc
	s_cbranch_execz .LBB92_102
; %bb.101:
	v_add_co_u32_e32 v32, vcc, 0x7000, v32
	s_nop 1
	v_addc_co_u32_e32 v33, vcc, 0, v33, vcc
	s_waitcnt lgkmcnt(0)
	global_store_dwordx2 v[32:33], v[30:31], off
.LBB92_102:
	s_or_b64 exec, exec, s[2:3]
	s_load_dword s0, s[0:1], 0x48
	s_waitcnt lgkmcnt(0)
	s_bfe_u32 s0, s0, 0x10008
	s_cmp_eq_u32 s0, 0
	s_cbranch_scc1 .LBB92_157
; %bb.103:
	s_add_u32 s0, s26, -1
	s_addc_u32 s1, s27, -1
	s_add_u32 s2, 0, 0x11108400
	s_addc_u32 s3, 0, 49
	s_add_i32 s3, s3, 0x111110e0
	s_mul_hi_u32 s9, s2, -15
	s_sub_i32 s9, s9, s2
	s_mul_i32 s10, s3, -15
	s_mul_i32 s4, s2, -15
	s_add_i32 s9, s9, s10
	s_mul_hi_u32 s5, s3, s4
	s_mul_i32 s8, s3, s4
	s_mul_i32 s11, s2, s9
	s_mul_hi_u32 s4, s2, s4
	s_mul_hi_u32 s10, s2, s9
	s_add_u32 s4, s4, s11
	s_addc_u32 s10, 0, s10
	s_add_u32 s4, s4, s8
	s_mul_hi_u32 s11, s3, s9
	s_addc_u32 s4, s10, s5
	s_addc_u32 s5, s11, 0
	s_mul_i32 s8, s3, s9
	s_add_u32 s4, s4, s8
	v_mov_b32_e32 v32, s4
	s_addc_u32 s5, 0, s5
	v_add_co_u32_e32 v32, vcc, s2, v32
	s_cmp_lg_u64 vcc, 0
	s_addc_u32 s2, s3, s5
	v_readfirstlane_b32 s5, v32
	s_mul_i32 s4, s0, s2
	s_mul_hi_u32 s8, s0, s5
	s_mul_hi_u32 s3, s0, s2
	s_add_u32 s4, s8, s4
	s_addc_u32 s3, 0, s3
	s_mul_hi_u32 s9, s1, s5
	s_mul_i32 s5, s1, s5
	s_add_u32 s4, s4, s5
	s_mul_hi_u32 s8, s1, s2
	s_addc_u32 s3, s3, s9
	s_addc_u32 s4, s8, 0
	s_mul_i32 s2, s1, s2
	s_add_u32 s2, s3, s2
	s_addc_u32 s3, 0, s4
	s_add_u32 s4, s2, 1
	s_addc_u32 s5, s3, 0
	s_add_u32 s8, s2, 2
	s_mul_i32 s10, s3, 15
	s_mul_hi_u32 s11, s2, 15
	s_addc_u32 s9, s3, 0
	s_add_i32 s11, s11, s10
	s_mul_i32 s10, s2, 15
	v_mov_b32_e32 v32, s10
	v_sub_co_u32_e32 v32, vcc, s0, v32
	s_cmp_lg_u64 vcc, 0
	s_subb_u32 s10, s1, s11
	v_subrev_co_u32_e32 v33, vcc, 15, v32
	s_cmp_lg_u64 vcc, 0
	s_subb_u32 s11, s10, 0
	v_readfirstlane_b32 s12, v33
	s_cmp_gt_u32 s12, 14
	s_cselect_b32 s12, -1, 0
	s_cmp_eq_u32 s11, 0
	s_cselect_b32 s11, s12, -1
	s_cmp_lg_u32 s11, 0
	s_cselect_b32 s4, s8, s4
	v_readfirstlane_b32 s8, v32
	s_cselect_b32 s5, s9, s5
	s_cmp_gt_u32 s8, 14
	s_cselect_b32 s8, -1, 0
	s_cmp_eq_u32 s10, 0
	s_cselect_b32 s8, s8, -1
	s_cmp_lg_u32 s8, 0
	v_mov_b32_e32 v1, v63
	s_cselect_b32 s3, s5, s3
	s_cselect_b32 s2, s4, s2
	v_cmp_eq_u64_e32 vcc, s[2:3], v[0:1]
	s_and_saveexec_b64 s[2:3], vcc
	s_cbranch_execz .LBB92_157
; %bb.104:
	v_mul_hi_u32_u24_e32 v1, 15, v0
	v_mov_b32_e32 v32, s1
	v_sub_co_u32_e32 v0, vcc, s0, v66
	s_nop 1
	v_subb_co_u32_e32 v1, vcc, v32, v1, vcc
	v_cmp_lt_i64_e32 vcc, 7, v[0:1]
	s_and_saveexec_b64 s[0:1], vcc
	s_xor_b64 s[0:1], exec, s[0:1]
	s_cbranch_execz .LBB92_130
; %bb.105:
	v_cmp_lt_i64_e32 vcc, 10, v[0:1]
	s_and_saveexec_b64 s[2:3], vcc
	s_xor_b64 s[2:3], exec, s[2:3]
	s_cbranch_execz .LBB92_119
; %bb.106:
	;; [unrolled: 5-line block ×4, first 2 shown]
	v_mov_b32_e32 v0, 0
	global_store_dwordx2 v0, v[30:31], s[6:7]
                                        ; implicit-def: $vgpr22_vgpr23_vgpr24_vgpr25
.LBB92_109:
	s_andn2_saveexec_b64 s[8:9], s[8:9]
	s_cbranch_execz .LBB92_111
; %bb.110:
	v_mov_b32_e32 v0, 0
	global_store_dwordx2 v0, v[24:25], s[6:7]
.LBB92_111:
	s_or_b64 exec, exec, s[8:9]
                                        ; implicit-def: $vgpr2_vgpr3_vgpr4_vgpr5
                                        ; implicit-def: $vgpr0_vgpr1
                                        ; implicit-def: $vgpr22_vgpr23_vgpr24_vgpr25
.LBB92_112:
	s_andn2_saveexec_b64 s[4:5], s[4:5]
	s_cbranch_execz .LBB92_118
; %bb.113:
	v_cmp_lt_i64_e32 vcc, 11, v[0:1]
	s_and_saveexec_b64 s[8:9], vcc
	s_xor_b64 s[8:9], exec, s[8:9]
	s_cbranch_execz .LBB92_115
; %bb.114:
	v_mov_b32_e32 v0, 0
	global_store_dwordx2 v0, v[22:23], s[6:7]
                                        ; implicit-def: $vgpr2_vgpr3_vgpr4_vgpr5
.LBB92_115:
	s_andn2_saveexec_b64 s[8:9], s[8:9]
	s_cbranch_execz .LBB92_117
; %bb.116:
	v_mov_b32_e32 v0, 0
	global_store_dwordx2 v0, v[4:5], s[6:7]
.LBB92_117:
	s_or_b64 exec, exec, s[8:9]
.LBB92_118:
	s_or_b64 exec, exec, s[4:5]
                                        ; implicit-def: $vgpr18_vgpr19_vgpr20_vgpr21
                                        ; implicit-def: $vgpr0_vgpr1
                                        ; implicit-def: $vgpr2_vgpr3_vgpr4_vgpr5
.LBB92_119:
	s_andn2_saveexec_b64 s[2:3], s[2:3]
	s_cbranch_execz .LBB92_129
; %bb.120:
	v_cmp_lt_i64_e32 vcc, 8, v[0:1]
	s_and_saveexec_b64 s[4:5], vcc
	s_xor_b64 s[4:5], exec, s[4:5]
	s_cbranch_execz .LBB92_126
; %bb.121:
	v_cmp_lt_i64_e32 vcc, 9, v[0:1]
	s_and_saveexec_b64 s[8:9], vcc
	s_xor_b64 s[8:9], exec, s[8:9]
	s_cbranch_execz .LBB92_123
; %bb.122:
	v_mov_b32_e32 v0, 0
	global_store_dwordx2 v0, v[2:3], s[6:7]
                                        ; implicit-def: $vgpr18_vgpr19_vgpr20_vgpr21
.LBB92_123:
	s_andn2_saveexec_b64 s[8:9], s[8:9]
	s_cbranch_execz .LBB92_125
; %bb.124:
	v_mov_b32_e32 v0, 0
	global_store_dwordx2 v0, v[20:21], s[6:7]
.LBB92_125:
	s_or_b64 exec, exec, s[8:9]
                                        ; implicit-def: $vgpr18_vgpr19_vgpr20_vgpr21
.LBB92_126:
	s_andn2_saveexec_b64 s[4:5], s[4:5]
	s_cbranch_execz .LBB92_128
; %bb.127:
	v_mov_b32_e32 v0, 0
	global_store_dwordx2 v0, v[18:19], s[6:7]
.LBB92_128:
	s_or_b64 exec, exec, s[4:5]
.LBB92_129:
	s_or_b64 exec, exec, s[2:3]
                                        ; implicit-def: $vgpr0_vgpr1
                                        ; implicit-def: $vgpr6_vgpr7_vgpr8_vgpr9
                                        ; implicit-def: $vgpr10_vgpr11_vgpr12_vgpr13
                                        ; implicit-def: $vgpr14_vgpr15_vgpr16_vgpr17
                                        ; implicit-def: $vgpr26_vgpr27_vgpr28_vgpr29
.LBB92_130:
	s_andn2_saveexec_b64 s[0:1], s[0:1]
	s_cbranch_execz .LBB92_157
; %bb.131:
	v_cmp_lt_i64_e32 vcc, 3, v[0:1]
	s_and_saveexec_b64 s[0:1], vcc
	s_xor_b64 s[0:1], exec, s[0:1]
	s_cbranch_execz .LBB92_145
; %bb.132:
	v_cmp_lt_i64_e32 vcc, 5, v[0:1]
	s_and_saveexec_b64 s[2:3], vcc
	s_xor_b64 s[2:3], exec, s[2:3]
	;; [unrolled: 5-line block ×3, first 2 shown]
	s_cbranch_execz .LBB92_135
; %bb.134:
	v_mov_b32_e32 v0, 0
	global_store_dwordx2 v0, v[28:29], s[6:7]
                                        ; implicit-def: $vgpr26_vgpr27_vgpr28_vgpr29
.LBB92_135:
	s_andn2_saveexec_b64 s[4:5], s[4:5]
	s_cbranch_execz .LBB92_137
; %bb.136:
	v_mov_b32_e32 v0, 0
	global_store_dwordx2 v0, v[26:27], s[6:7]
.LBB92_137:
	s_or_b64 exec, exec, s[4:5]
                                        ; implicit-def: $vgpr10_vgpr11_vgpr12_vgpr13
                                        ; implicit-def: $vgpr0_vgpr1
.LBB92_138:
	s_andn2_saveexec_b64 s[2:3], s[2:3]
	s_cbranch_execz .LBB92_144
; %bb.139:
	v_cmp_lt_i64_e32 vcc, 4, v[0:1]
	s_and_saveexec_b64 s[4:5], vcc
	s_xor_b64 s[4:5], exec, s[4:5]
	s_cbranch_execz .LBB92_141
; %bb.140:
	v_mov_b32_e32 v0, 0
	global_store_dwordx2 v0, v[12:13], s[6:7]
                                        ; implicit-def: $vgpr10_vgpr11_vgpr12_vgpr13
.LBB92_141:
	s_andn2_saveexec_b64 s[4:5], s[4:5]
	s_cbranch_execz .LBB92_143
; %bb.142:
	v_mov_b32_e32 v0, 0
	global_store_dwordx2 v0, v[10:11], s[6:7]
.LBB92_143:
	s_or_b64 exec, exec, s[4:5]
.LBB92_144:
	s_or_b64 exec, exec, s[2:3]
                                        ; implicit-def: $vgpr0_vgpr1
                                        ; implicit-def: $vgpr6_vgpr7_vgpr8_vgpr9
                                        ; implicit-def: $vgpr14_vgpr15_vgpr16_vgpr17
.LBB92_145:
	s_andn2_saveexec_b64 s[0:1], s[0:1]
	s_cbranch_execz .LBB92_157
; %bb.146:
	v_cmp_lt_i64_e32 vcc, 1, v[0:1]
	s_and_saveexec_b64 s[0:1], vcc
	s_xor_b64 s[0:1], exec, s[0:1]
	s_cbranch_execz .LBB92_152
; %bb.147:
	v_cmp_lt_i64_e32 vcc, 2, v[0:1]
	s_and_saveexec_b64 s[2:3], vcc
	s_xor_b64 s[2:3], exec, s[2:3]
	s_cbranch_execz .LBB92_149
; %bb.148:
	v_mov_b32_e32 v0, 0
	global_store_dwordx2 v0, v[16:17], s[6:7]
                                        ; implicit-def: $vgpr14_vgpr15_vgpr16_vgpr17
.LBB92_149:
	s_andn2_saveexec_b64 s[2:3], s[2:3]
	s_cbranch_execz .LBB92_151
; %bb.150:
	v_mov_b32_e32 v0, 0
	global_store_dwordx2 v0, v[14:15], s[6:7]
.LBB92_151:
	s_or_b64 exec, exec, s[2:3]
                                        ; implicit-def: $vgpr6_vgpr7_vgpr8_vgpr9
                                        ; implicit-def: $vgpr0_vgpr1
.LBB92_152:
	s_andn2_saveexec_b64 s[0:1], s[0:1]
	s_cbranch_execz .LBB92_157
; %bb.153:
	v_cmp_ne_u64_e32 vcc, 1, v[0:1]
	s_and_saveexec_b64 s[0:1], vcc
	s_xor_b64 s[0:1], exec, s[0:1]
	s_cbranch_execz .LBB92_155
; %bb.154:
	v_mov_b32_e32 v0, 0
	global_store_dwordx2 v0, v[6:7], s[6:7]
                                        ; implicit-def: $vgpr6_vgpr7_vgpr8_vgpr9
.LBB92_155:
	s_andn2_saveexec_b64 s[0:1], s[0:1]
	s_cbranch_execz .LBB92_157
; %bb.156:
	v_mov_b32_e32 v0, 0
	global_store_dwordx2 v0, v[8:9], s[6:7]
.LBB92_157:
	s_endpgm
	.section	.rodata,"a",@progbits
	.p2align	6, 0x0
	.amdhsa_kernel _ZN7rocprim6detail20lookback_scan_kernelILNS0_25lookback_scan_determinismE0ELb1ENS0_19wrapped_scan_configINS_14default_configEyEEPyS6_N6hipcub3MinEyyNS0_19lookback_scan_stateIyLb0ELb1EEEEEvT2_T3_mT5_T4_T7_jPT6_SH_bb
		.amdhsa_group_segment_fixed_size 30720
		.amdhsa_private_segment_fixed_size 0
		.amdhsa_kernarg_size 76
		.amdhsa_user_sgpr_count 2
		.amdhsa_user_sgpr_dispatch_ptr 0
		.amdhsa_user_sgpr_queue_ptr 0
		.amdhsa_user_sgpr_kernarg_segment_ptr 1
		.amdhsa_user_sgpr_dispatch_id 0
		.amdhsa_user_sgpr_kernarg_preload_length 0
		.amdhsa_user_sgpr_kernarg_preload_offset 0
		.amdhsa_user_sgpr_private_segment_size 0
		.amdhsa_uses_dynamic_stack 0
		.amdhsa_enable_private_segment 0
		.amdhsa_system_sgpr_workgroup_id_x 1
		.amdhsa_system_sgpr_workgroup_id_y 0
		.amdhsa_system_sgpr_workgroup_id_z 0
		.amdhsa_system_sgpr_workgroup_info 0
		.amdhsa_system_vgpr_workitem_id 0
		.amdhsa_next_free_vgpr 67
		.amdhsa_next_free_sgpr 68
		.amdhsa_accum_offset 68
		.amdhsa_reserve_vcc 1
		.amdhsa_float_round_mode_32 0
		.amdhsa_float_round_mode_16_64 0
		.amdhsa_float_denorm_mode_32 3
		.amdhsa_float_denorm_mode_16_64 3
		.amdhsa_dx10_clamp 1
		.amdhsa_ieee_mode 1
		.amdhsa_fp16_overflow 0
		.amdhsa_tg_split 0
		.amdhsa_exception_fp_ieee_invalid_op 0
		.amdhsa_exception_fp_denorm_src 0
		.amdhsa_exception_fp_ieee_div_zero 0
		.amdhsa_exception_fp_ieee_overflow 0
		.amdhsa_exception_fp_ieee_underflow 0
		.amdhsa_exception_fp_ieee_inexact 0
		.amdhsa_exception_int_div_zero 0
	.end_amdhsa_kernel
	.section	.text._ZN7rocprim6detail20lookback_scan_kernelILNS0_25lookback_scan_determinismE0ELb1ENS0_19wrapped_scan_configINS_14default_configEyEEPyS6_N6hipcub3MinEyyNS0_19lookback_scan_stateIyLb0ELb1EEEEEvT2_T3_mT5_T4_T7_jPT6_SH_bb,"axG",@progbits,_ZN7rocprim6detail20lookback_scan_kernelILNS0_25lookback_scan_determinismE0ELb1ENS0_19wrapped_scan_configINS_14default_configEyEEPyS6_N6hipcub3MinEyyNS0_19lookback_scan_stateIyLb0ELb1EEEEEvT2_T3_mT5_T4_T7_jPT6_SH_bb,comdat
.Lfunc_end92:
	.size	_ZN7rocprim6detail20lookback_scan_kernelILNS0_25lookback_scan_determinismE0ELb1ENS0_19wrapped_scan_configINS_14default_configEyEEPyS6_N6hipcub3MinEyyNS0_19lookback_scan_stateIyLb0ELb1EEEEEvT2_T3_mT5_T4_T7_jPT6_SH_bb, .Lfunc_end92-_ZN7rocprim6detail20lookback_scan_kernelILNS0_25lookback_scan_determinismE0ELb1ENS0_19wrapped_scan_configINS_14default_configEyEEPyS6_N6hipcub3MinEyyNS0_19lookback_scan_stateIyLb0ELb1EEEEEvT2_T3_mT5_T4_T7_jPT6_SH_bb
                                        ; -- End function
	.section	.AMDGPU.csdata,"",@progbits
; Kernel info:
; codeLenInByte = 8368
; NumSgprs: 74
; NumVgprs: 67
; NumAgprs: 0
; TotalNumVgprs: 67
; ScratchSize: 0
; MemoryBound: 1
; FloatMode: 240
; IeeeMode: 1
; LDSByteSize: 30720 bytes/workgroup (compile time only)
; SGPRBlocks: 9
; VGPRBlocks: 8
; NumSGPRsForWavesPerEU: 74
; NumVGPRsForWavesPerEU: 67
; AccumOffset: 68
; Occupancy: 2
; WaveLimiterHint : 1
; COMPUTE_PGM_RSRC2:SCRATCH_EN: 0
; COMPUTE_PGM_RSRC2:USER_SGPR: 2
; COMPUTE_PGM_RSRC2:TRAP_HANDLER: 0
; COMPUTE_PGM_RSRC2:TGID_X_EN: 1
; COMPUTE_PGM_RSRC2:TGID_Y_EN: 0
; COMPUTE_PGM_RSRC2:TGID_Z_EN: 0
; COMPUTE_PGM_RSRC2:TIDIG_COMP_CNT: 0
; COMPUTE_PGM_RSRC3_GFX90A:ACCUM_OFFSET: 16
; COMPUTE_PGM_RSRC3_GFX90A:TG_SPLIT: 0
	.section	.text._ZN7rocprim6detail18single_scan_kernelILb1ENS0_19wrapped_scan_configINS_14default_configEyEEPyS5_N6hipcub3MinEyyEEvT1_mT4_T2_T3_,"axG",@progbits,_ZN7rocprim6detail18single_scan_kernelILb1ENS0_19wrapped_scan_configINS_14default_configEyEEPyS5_N6hipcub3MinEyyEEvT1_mT4_T2_T3_,comdat
	.protected	_ZN7rocprim6detail18single_scan_kernelILb1ENS0_19wrapped_scan_configINS_14default_configEyEEPyS5_N6hipcub3MinEyyEEvT1_mT4_T2_T3_ ; -- Begin function _ZN7rocprim6detail18single_scan_kernelILb1ENS0_19wrapped_scan_configINS_14default_configEyEEPyS5_N6hipcub3MinEyyEEvT1_mT4_T2_T3_
	.globl	_ZN7rocprim6detail18single_scan_kernelILb1ENS0_19wrapped_scan_configINS_14default_configEyEEPyS5_N6hipcub3MinEyyEEvT1_mT4_T2_T3_
	.p2align	8
	.type	_ZN7rocprim6detail18single_scan_kernelILb1ENS0_19wrapped_scan_configINS_14default_configEyEEPyS5_N6hipcub3MinEyyEEvT1_mT4_T2_T3_,@function
_ZN7rocprim6detail18single_scan_kernelILb1ENS0_19wrapped_scan_configINS_14default_configEyEEPyS5_N6hipcub3MinEyyEEvT1_mT4_T2_T3_: ; @_ZN7rocprim6detail18single_scan_kernelILb1ENS0_19wrapped_scan_configINS_14default_configEyEEPyS5_N6hipcub3MinEyyEEvT1_mT4_T2_T3_
; %bb.0:
	s_load_dwordx8 s[68:75], s[0:1], 0x0
	v_mov_b32_e32 v35, 0
	v_lshlrev_b32_e32 v34, 3, v0
	s_waitcnt lgkmcnt(0)
	s_load_dwordx2 s[36:37], s[68:69], 0x0
	v_lshl_add_u64 v[36:37], s[68:69], 0, v[34:35]
	v_cmp_gt_u32_e64 s[0:1], s70, v0
	s_waitcnt lgkmcnt(0)
	s_mov_b32 s38, s36
	s_mov_b32 s39, s37
	s_mov_b32 s40, s36
	s_mov_b32 s41, s37
	s_mov_b32 s42, s36
	s_mov_b32 s43, s37
	s_mov_b32 s44, s36
	s_mov_b32 s45, s37
	s_mov_b32 s46, s36
	s_mov_b32 s47, s37
	s_mov_b32 s48, s36
	s_mov_b32 s49, s37
	s_mov_b32 s50, s36
	s_mov_b32 s51, s37
	s_mov_b32 s52, s36
	s_mov_b32 s53, s37
	s_mov_b32 s54, s36
	s_mov_b32 s55, s37
	s_mov_b32 s56, s36
	s_mov_b32 s57, s37
	s_mov_b32 s58, s36
	s_mov_b32 s59, s37
	s_mov_b32 s60, s36
	s_mov_b32 s61, s37
	s_mov_b32 s62, s36
	s_mov_b32 s63, s37
	s_mov_b32 s64, s36
	s_mov_b32 s65, s37
	v_mov_b64_e32 v[2:3], s[36:37]
	v_mov_b64_e32 v[4:5], s[38:39]
	;; [unrolled: 1-line block ×16, first 2 shown]
	s_and_saveexec_b64 s[2:3], s[0:1]
	s_cbranch_execz .LBB93_2
; %bb.1:
	global_load_dwordx2 v[2:3], v[36:37], off
	v_mov_b32_e32 v4, s36
	v_mov_b32_e32 v5, s37
	;; [unrolled: 1-line block ×28, first 2 shown]
.LBB93_2:
	s_or_b64 exec, exec, s[2:3]
	v_or_b32_e32 v1, 0x100, v0
	v_cmp_gt_u32_e64 s[2:3], s70, v1
	s_and_saveexec_b64 s[4:5], s[2:3]
	s_cbranch_execz .LBB93_4
; %bb.3:
	global_load_dwordx2 v[4:5], v[36:37], off offset:2048
.LBB93_4:
	s_or_b64 exec, exec, s[4:5]
	v_or_b32_e32 v1, 0x200, v0
	v_cmp_gt_u32_e64 s[4:5], s70, v1
	s_and_saveexec_b64 s[6:7], s[4:5]
	s_cbranch_execz .LBB93_6
; %bb.5:
	v_add_co_u32_e32 v6, vcc, 0x1000, v36
	s_nop 1
	v_addc_co_u32_e32 v7, vcc, 0, v37, vcc
	global_load_dwordx2 v[6:7], v[6:7], off
.LBB93_6:
	s_or_b64 exec, exec, s[6:7]
	v_or_b32_e32 v1, 0x300, v0
	v_cmp_gt_u32_e64 s[6:7], s70, v1
	s_and_saveexec_b64 s[8:9], s[6:7]
	s_cbranch_execz .LBB93_8
; %bb.7:
	v_add_co_u32_e32 v8, vcc, 0x1000, v36
	s_nop 1
	v_addc_co_u32_e32 v9, vcc, 0, v37, vcc
	global_load_dwordx2 v[8:9], v[8:9], off offset:2048
.LBB93_8:
	s_or_b64 exec, exec, s[8:9]
	v_or_b32_e32 v1, 0x400, v0
	v_cmp_gt_u32_e64 s[8:9], s70, v1
	s_and_saveexec_b64 s[10:11], s[8:9]
	s_cbranch_execz .LBB93_10
; %bb.9:
	v_add_co_u32_e32 v10, vcc, 0x2000, v36
	s_nop 1
	v_addc_co_u32_e32 v11, vcc, 0, v37, vcc
	global_load_dwordx2 v[10:11], v[10:11], off
.LBB93_10:
	s_or_b64 exec, exec, s[10:11]
	v_or_b32_e32 v1, 0x500, v0
	v_cmp_gt_u32_e64 s[10:11], s70, v1
	s_and_saveexec_b64 s[12:13], s[10:11]
	s_cbranch_execz .LBB93_12
; %bb.11:
	v_add_co_u32_e32 v12, vcc, 0x2000, v36
	s_nop 1
	v_addc_co_u32_e32 v13, vcc, 0, v37, vcc
	global_load_dwordx2 v[12:13], v[12:13], off offset:2048
.LBB93_12:
	;; [unrolled: 22-line block ×6, first 2 shown]
	s_or_b64 exec, exec, s[28:29]
	v_or_b32_e32 v1, 0xe00, v0
	v_cmp_gt_u32_e64 s[28:29], s70, v1
	s_and_saveexec_b64 s[30:31], s[28:29]
	s_cbranch_execz .LBB93_30
; %bb.29:
	v_add_co_u32_e32 v30, vcc, 0x7000, v36
	s_nop 1
	v_addc_co_u32_e32 v31, vcc, 0, v37, vcc
	global_load_dwordx2 v[30:31], v[30:31], off
.LBB93_30:
	s_or_b64 exec, exec, s[30:31]
	s_movk_i32 s30, 0x70
	v_mad_u32_u24 v1, v0, s30, v34
	s_waitcnt vmcnt(0)
	ds_write2st64_b64 v34, v[2:3], v[4:5] offset1:4
	ds_write2st64_b64 v34, v[6:7], v[8:9] offset0:8 offset1:12
	ds_write2st64_b64 v34, v[10:11], v[12:13] offset0:16 offset1:20
	;; [unrolled: 1-line block ×6, first 2 shown]
	ds_write_b64 v34, v[30:31] offset:28672
	s_waitcnt lgkmcnt(0)
	s_barrier
	ds_read2_b64 v[26:29], v1 offset1:1
	ds_read2_b64 v[22:25], v1 offset0:2 offset1:3
	ds_read2_b64 v[18:21], v1 offset0:4 offset1:5
	;; [unrolled: 1-line block ×6, first 2 shown]
	ds_read_b64 v[30:31], v1 offset:112
	s_waitcnt lgkmcnt(7)
	v_cmp_lt_u64_e32 vcc, v[26:27], v[28:29]
	s_waitcnt lgkmcnt(0)
	s_barrier
	v_cndmask_b32_e32 v33, v29, v27, vcc
	v_cndmask_b32_e32 v32, v28, v26, vcc
	v_cmp_lt_u64_e32 vcc, v[32:33], v[22:23]
	s_nop 1
	v_cndmask_b32_e32 v33, v23, v33, vcc
	v_cndmask_b32_e32 v32, v22, v32, vcc
	v_cmp_lt_u64_e32 vcc, v[32:33], v[24:25]
	s_nop 1
	v_cndmask_b32_e32 v33, v25, v33, vcc
	v_cndmask_b32_e32 v32, v24, v32, vcc
	v_cmp_lt_u64_e32 vcc, v[32:33], v[18:19]
	s_nop 1
	v_cndmask_b32_e32 v33, v19, v33, vcc
	v_cndmask_b32_e32 v32, v18, v32, vcc
	v_cmp_lt_u64_e32 vcc, v[32:33], v[20:21]
	s_nop 1
	v_cndmask_b32_e32 v33, v21, v33, vcc
	v_cndmask_b32_e32 v32, v20, v32, vcc
	v_cmp_lt_u64_e32 vcc, v[32:33], v[14:15]
	s_nop 1
	v_cndmask_b32_e32 v33, v15, v33, vcc
	v_cndmask_b32_e32 v32, v14, v32, vcc
	v_cmp_lt_u64_e32 vcc, v[32:33], v[16:17]
	s_nop 1
	v_cndmask_b32_e32 v33, v17, v33, vcc
	v_cndmask_b32_e32 v32, v16, v32, vcc
	v_cmp_lt_u64_e32 vcc, v[32:33], v[10:11]
	s_nop 1
	v_cndmask_b32_e32 v33, v11, v33, vcc
	v_cndmask_b32_e32 v32, v10, v32, vcc
	v_cmp_lt_u64_e32 vcc, v[32:33], v[12:13]
	s_nop 1
	v_cndmask_b32_e32 v33, v13, v33, vcc
	v_cndmask_b32_e32 v32, v12, v32, vcc
	v_cmp_lt_u64_e32 vcc, v[32:33], v[6:7]
	s_nop 1
	v_cndmask_b32_e32 v33, v7, v33, vcc
	v_cndmask_b32_e32 v32, v6, v32, vcc
	v_cmp_lt_u64_e32 vcc, v[32:33], v[8:9]
	s_nop 1
	v_cndmask_b32_e32 v33, v9, v33, vcc
	v_cndmask_b32_e32 v32, v8, v32, vcc
	v_cmp_lt_u64_e32 vcc, v[32:33], v[2:3]
	s_nop 1
	v_cndmask_b32_e32 v33, v3, v33, vcc
	v_cndmask_b32_e32 v32, v2, v32, vcc
	v_cmp_lt_u64_e32 vcc, v[32:33], v[4:5]
	s_nop 1
	v_cndmask_b32_e32 v33, v5, v33, vcc
	v_cndmask_b32_e32 v32, v4, v32, vcc
	v_cmp_lt_u64_e32 vcc, v[32:33], v[30:31]
	s_nop 1
	v_cndmask_b32_e32 v30, v30, v32, vcc
	v_lshrrev_b32_e32 v32, 2, v0
	v_and_b32_e32 v32, 56, v32
	v_cndmask_b32_e32 v31, v31, v33, vcc
	v_add_u32_e32 v32, v34, v32
	v_cmp_gt_u32_e32 vcc, 64, v0
	ds_write_b64 v32, v[30:31]
	s_waitcnt lgkmcnt(0)
	s_barrier
	s_and_saveexec_b64 s[30:31], vcc
	s_cbranch_execz .LBB93_32
; %bb.31:
	v_lshlrev_b32_e32 v32, 2, v0
	v_lshrrev_b32_e32 v33, 3, v0
	v_add_lshl_u32 v35, v33, v32, 3
	ds_read2_b64 v[36:39], v35 offset1:1
	ds_read2_b64 v[40:43], v35 offset0:2 offset1:3
	v_mbcnt_lo_u32_b32 v44, -1, 0
	v_mbcnt_hi_u32_b32 v46, -1, v44
	v_and_b32_e32 v47, 15, v46
	s_waitcnt lgkmcnt(1)
	v_cmp_lt_u64_e32 vcc, v[36:37], v[38:39]
	s_nop 1
	v_cndmask_b32_e32 v33, v39, v37, vcc
	v_cndmask_b32_e32 v32, v38, v36, vcc
	s_waitcnt lgkmcnt(0)
	v_cmp_lt_u64_e32 vcc, v[32:33], v[40:41]
	s_nop 1
	v_cndmask_b32_e32 v33, v41, v33, vcc
	v_cndmask_b32_e32 v32, v40, v32, vcc
	v_cmp_lt_u64_e32 vcc, v[32:33], v[42:43]
	s_nop 1
	v_cndmask_b32_e32 v33, v43, v33, vcc
	v_cndmask_b32_e32 v32, v42, v32, vcc
	s_nop 0
	v_mov_b32_dpp v45, v33 row_shr:1 row_mask:0xf bank_mask:0xf
	v_mov_b32_dpp v44, v32 row_shr:1 row_mask:0xf bank_mask:0xf
	v_cmp_lt_u64_e32 vcc, v[44:45], v[32:33]
	s_nop 1
	v_cndmask_b32_e32 v44, v32, v44, vcc
	v_cndmask_b32_e32 v45, v33, v45, vcc
	v_cmp_eq_u32_e32 vcc, 0, v47
	s_nop 1
	v_cndmask_b32_e32 v33, v45, v33, vcc
	v_cndmask_b32_e32 v32, v44, v32, vcc
	s_nop 0
	v_mov_b32_dpp v45, v33 row_shr:2 row_mask:0xf bank_mask:0xf
	v_mov_b32_dpp v44, v32 row_shr:2 row_mask:0xf bank_mask:0xf
	v_cmp_lt_u64_e32 vcc, v[44:45], v[32:33]
	s_nop 1
	v_cndmask_b32_e32 v44, v32, v44, vcc
	v_cndmask_b32_e32 v45, v33, v45, vcc
	v_cmp_lt_u32_e32 vcc, 1, v47
	s_nop 1
	v_cndmask_b32_e32 v33, v33, v45, vcc
	v_cndmask_b32_e32 v32, v32, v44, vcc
	s_nop 0
	v_mov_b32_dpp v45, v33 row_shr:4 row_mask:0xf bank_mask:0xf
	v_mov_b32_dpp v44, v32 row_shr:4 row_mask:0xf bank_mask:0xf
	v_cmp_lt_u64_e32 vcc, v[44:45], v[32:33]
	s_nop 1
	v_cndmask_b32_e32 v44, v32, v44, vcc
	v_cndmask_b32_e32 v45, v33, v45, vcc
	v_cmp_lt_u32_e32 vcc, 3, v47
	s_nop 1
	v_cndmask_b32_e32 v33, v33, v45, vcc
	v_cndmask_b32_e32 v32, v32, v44, vcc
	s_nop 0
	v_mov_b32_dpp v45, v33 row_shr:8 row_mask:0xf bank_mask:0xf
	v_mov_b32_dpp v44, v32 row_shr:8 row_mask:0xf bank_mask:0xf
	v_cmp_lt_u64_e32 vcc, v[44:45], v[32:33]
	s_nop 1
	v_cndmask_b32_e32 v44, v32, v44, vcc
	v_cndmask_b32_e32 v45, v33, v45, vcc
	v_cmp_lt_u32_e32 vcc, 7, v47
	v_and_b32_e32 v47, 16, v46
	s_nop 0
	v_cndmask_b32_e32 v33, v33, v45, vcc
	v_cndmask_b32_e32 v32, v32, v44, vcc
	s_nop 0
	v_mov_b32_dpp v45, v33 row_bcast:15 row_mask:0xf bank_mask:0xf
	v_mov_b32_dpp v44, v32 row_bcast:15 row_mask:0xf bank_mask:0xf
	v_cmp_lt_u64_e32 vcc, v[44:45], v[32:33]
	s_nop 1
	v_cndmask_b32_e32 v44, v32, v44, vcc
	v_cndmask_b32_e32 v45, v33, v45, vcc
	v_cmp_eq_u32_e32 vcc, 0, v47
	s_nop 1
	v_cndmask_b32_e32 v33, v45, v33, vcc
	v_cndmask_b32_e32 v32, v44, v32, vcc
	s_nop 0
	v_mov_b32_dpp v45, v33 row_bcast:31 row_mask:0xf bank_mask:0xf
	v_mov_b32_dpp v44, v32 row_bcast:31 row_mask:0xf bank_mask:0xf
	v_cmp_lt_u64_e32 vcc, v[44:45], v[32:33]
	s_nop 1
	v_cndmask_b32_e32 v45, v33, v45, vcc
	v_cndmask_b32_e32 v44, v32, v44, vcc
	v_cmp_lt_u32_e32 vcc, 31, v46
	s_nop 1
	v_cndmask_b32_e32 v32, v32, v44, vcc
	v_cndmask_b32_e32 v33, v33, v45, vcc
	v_add_u32_e32 v44, -1, v46
	v_and_b32_e32 v45, 64, v46
	v_cmp_lt_i32_e32 vcc, v44, v45
	s_nop 1
	v_cndmask_b32_e32 v44, v44, v46, vcc
	v_lshlrev_b32_e32 v44, 2, v44
	ds_bpermute_b32 v32, v44, v32
	ds_bpermute_b32 v33, v44, v33
	s_waitcnt lgkmcnt(0)
	v_cmp_lt_u64_e32 vcc, v[32:33], v[36:37]
	s_nop 1
	v_cndmask_b32_e32 v32, v36, v32, vcc
	v_cndmask_b32_e32 v33, v37, v33, vcc
	v_cmp_eq_u32_e32 vcc, 0, v0
	s_nop 1
	v_cndmask_b32_e32 v31, v33, v31, vcc
	v_cndmask_b32_e32 v30, v32, v30, vcc
	v_cmp_lt_u64_e32 vcc, v[30:31], v[38:39]
	s_nop 1
	v_cndmask_b32_e32 v33, v39, v31, vcc
	v_cndmask_b32_e32 v32, v38, v30, vcc
	v_cmp_lt_u64_e32 vcc, v[32:33], v[40:41]
	ds_write2_b64 v35, v[30:31], v[32:33] offset1:1
	s_nop 0
	v_cndmask_b32_e32 v31, v41, v33, vcc
	v_cndmask_b32_e32 v30, v40, v32, vcc
	v_cmp_lt_u64_e32 vcc, v[30:31], v[42:43]
	s_nop 1
	v_cndmask_b32_e32 v33, v43, v31, vcc
	v_cndmask_b32_e32 v32, v42, v30, vcc
	ds_write2_b64 v35, v[30:31], v[32:33] offset0:2 offset1:3
.LBB93_32:
	s_or_b64 exec, exec, s[30:31]
	v_cmp_ne_u32_e32 vcc, 0, v0
	v_mov_b64_e32 v[30:31], s[72:73]
	s_waitcnt lgkmcnt(0)
	s_barrier
	s_and_saveexec_b64 s[30:31], vcc
	s_cbranch_execz .LBB93_34
; %bb.33:
	v_add_u32_e32 v30, -1, v0
	v_lshrrev_b32_e32 v31, 5, v30
	v_add_lshl_u32 v30, v31, v30, 3
	ds_read_b64 v[30:31], v30
	v_mov_b32_e32 v32, s73
	s_waitcnt lgkmcnt(0)
	v_cmp_lt_u64_e32 vcc, s[72:73], v[30:31]
	s_nop 1
	v_cndmask_b32_e32 v31, v31, v32, vcc
	v_mov_b32_e32 v32, s72
	v_cndmask_b32_e32 v30, v30, v32, vcc
.LBB93_34:
	s_or_b64 exec, exec, s[30:31]
	v_cmp_lt_u64_e32 vcc, v[30:31], v[26:27]
	s_movk_i32 s30, 0xff90
	s_nop 0
	v_cndmask_b32_e32 v27, v27, v31, vcc
	v_cndmask_b32_e32 v26, v26, v30, vcc
	v_cmp_lt_u64_e32 vcc, v[26:27], v[28:29]
	s_barrier
	s_nop 0
	v_cndmask_b32_e32 v29, v29, v27, vcc
	v_cndmask_b32_e32 v28, v28, v26, vcc
	v_cmp_lt_u64_e32 vcc, v[28:29], v[22:23]
	v_mov_b32_e32 v35, 0
	s_nop 0
	v_cndmask_b32_e32 v23, v23, v29, vcc
	v_cndmask_b32_e32 v22, v22, v28, vcc
	v_cmp_lt_u64_e32 vcc, v[22:23], v[24:25]
	s_nop 1
	v_cndmask_b32_e32 v25, v25, v23, vcc
	v_cndmask_b32_e32 v24, v24, v22, vcc
	v_cmp_lt_u64_e32 vcc, v[24:25], v[18:19]
	;; [unrolled: 4-line block ×11, first 2 shown]
	s_nop 1
	v_cndmask_b32_e32 v5, v5, v3, vcc
	v_cndmask_b32_e32 v4, v4, v2, vcc
	ds_write2_b64 v1, v[30:31], v[26:27] offset1:1
	ds_write2_b64 v1, v[28:29], v[22:23] offset0:2 offset1:3
	ds_write2_b64 v1, v[24:25], v[18:19] offset0:4 offset1:5
	ds_write2_b64 v1, v[20:21], v[14:15] offset0:6 offset1:7
	ds_write2_b64 v1, v[16:17], v[10:11] offset0:8 offset1:9
	ds_write2_b64 v1, v[12:13], v[6:7] offset0:10 offset1:11
	ds_write2_b64 v1, v[8:9], v[2:3] offset0:12 offset1:13
	ds_write_b64 v1, v[4:5] offset:112
	v_mad_i32_i24 v24, v0, s30, v1
	s_waitcnt lgkmcnt(0)
	s_barrier
	ds_read2st64_b64 v[20:23], v24 offset0:4 offset1:8
	ds_read2st64_b64 v[16:19], v24 offset0:12 offset1:20
	;; [unrolled: 1-line block ×6, first 2 shown]
	ds_read_b64 v[28:29], v34 offset:24576
	ds_read_b64 v[24:25], v24 offset:28672
	v_lshl_add_u64 v[26:27], s[74:75], 0, v[34:35]
	s_and_saveexec_b64 s[30:31], s[0:1]
	s_cbranch_execnz .LBB93_50
; %bb.35:
	s_or_b64 exec, exec, s[30:31]
	s_and_saveexec_b64 s[0:1], s[2:3]
	s_cbranch_execnz .LBB93_51
.LBB93_36:
	s_or_b64 exec, exec, s[0:1]
	s_and_saveexec_b64 s[0:1], s[4:5]
	s_cbranch_execnz .LBB93_52
.LBB93_37:
	s_or_b64 exec, exec, s[0:1]
	s_and_saveexec_b64 s[0:1], s[6:7]
	s_cbranch_execnz .LBB93_53
.LBB93_38:
	s_or_b64 exec, exec, s[0:1]
	s_and_saveexec_b64 s[0:1], s[8:9]
	s_cbranch_execnz .LBB93_54
.LBB93_39:
	s_or_b64 exec, exec, s[0:1]
	s_and_saveexec_b64 s[0:1], s[10:11]
	s_cbranch_execnz .LBB93_55
.LBB93_40:
	s_or_b64 exec, exec, s[0:1]
	s_and_saveexec_b64 s[0:1], s[12:13]
	s_cbranch_execnz .LBB93_56
.LBB93_41:
	s_or_b64 exec, exec, s[0:1]
	s_and_saveexec_b64 s[0:1], s[14:15]
	s_cbranch_execnz .LBB93_57
.LBB93_42:
	s_or_b64 exec, exec, s[0:1]
	s_and_saveexec_b64 s[0:1], s[16:17]
	s_cbranch_execnz .LBB93_58
.LBB93_43:
	s_or_b64 exec, exec, s[0:1]
	s_and_saveexec_b64 s[0:1], s[18:19]
	s_cbranch_execnz .LBB93_59
.LBB93_44:
	s_or_b64 exec, exec, s[0:1]
	s_and_saveexec_b64 s[0:1], s[20:21]
	s_cbranch_execnz .LBB93_60
.LBB93_45:
	s_or_b64 exec, exec, s[0:1]
	s_and_saveexec_b64 s[0:1], s[22:23]
	s_cbranch_execnz .LBB93_61
.LBB93_46:
	s_or_b64 exec, exec, s[0:1]
	s_and_saveexec_b64 s[0:1], s[24:25]
	s_cbranch_execnz .LBB93_62
.LBB93_47:
	s_or_b64 exec, exec, s[0:1]
	s_and_saveexec_b64 s[0:1], s[26:27]
	s_cbranch_execnz .LBB93_63
.LBB93_48:
	s_or_b64 exec, exec, s[0:1]
	s_and_saveexec_b64 s[0:1], s[28:29]
	s_cbranch_execnz .LBB93_64
.LBB93_49:
	s_endpgm
.LBB93_50:
	ds_read_b64 v[30:31], v34
	s_waitcnt lgkmcnt(0)
	global_store_dwordx2 v[26:27], v[30:31], off
	s_or_b64 exec, exec, s[30:31]
	s_and_saveexec_b64 s[0:1], s[2:3]
	s_cbranch_execz .LBB93_36
.LBB93_51:
	s_waitcnt lgkmcnt(7)
	global_store_dwordx2 v[26:27], v[20:21], off offset:2048
	s_or_b64 exec, exec, s[0:1]
	s_and_saveexec_b64 s[0:1], s[4:5]
	s_cbranch_execz .LBB93_37
.LBB93_52:
	s_waitcnt lgkmcnt(7)
	v_add_co_u32_e32 v20, vcc, 0x1000, v26
	s_nop 1
	v_addc_co_u32_e32 v21, vcc, 0, v27, vcc
	global_store_dwordx2 v[20:21], v[22:23], off
	s_or_b64 exec, exec, s[0:1]
	s_and_saveexec_b64 s[0:1], s[6:7]
	s_cbranch_execz .LBB93_38
.LBB93_53:
	s_waitcnt lgkmcnt(7)
	v_add_co_u32_e32 v20, vcc, 0x1000, v26
	s_nop 1
	v_addc_co_u32_e32 v21, vcc, 0, v27, vcc
	s_waitcnt lgkmcnt(6)
	global_store_dwordx2 v[20:21], v[16:17], off offset:2048
	s_or_b64 exec, exec, s[0:1]
	s_and_saveexec_b64 s[0:1], s[8:9]
	s_cbranch_execz .LBB93_39
.LBB93_54:
	s_waitcnt lgkmcnt(6)
	v_add_co_u32_e32 v16, vcc, 0x2000, v26
	s_nop 1
	v_addc_co_u32_e32 v17, vcc, 0, v27, vcc
	s_waitcnt lgkmcnt(5)
	global_store_dwordx2 v[16:17], v[8:9], off
	s_or_b64 exec, exec, s[0:1]
	s_and_saveexec_b64 s[0:1], s[10:11]
	s_cbranch_execz .LBB93_40
.LBB93_55:
	s_waitcnt lgkmcnt(5)
	v_add_co_u32_e32 v8, vcc, 0x2000, v26
	s_nop 1
	v_addc_co_u32_e32 v9, vcc, 0, v27, vcc
	global_store_dwordx2 v[8:9], v[18:19], off offset:2048
	s_or_b64 exec, exec, s[0:1]
	s_and_saveexec_b64 s[0:1], s[12:13]
	s_cbranch_execz .LBB93_41
.LBB93_56:
	s_waitcnt lgkmcnt(5)
	v_add_co_u32_e32 v8, vcc, 0x3000, v26
	s_nop 1
	v_addc_co_u32_e32 v9, vcc, 0, v27, vcc
	s_waitcnt lgkmcnt(4)
	global_store_dwordx2 v[8:9], v[12:13], off
	s_or_b64 exec, exec, s[0:1]
	s_and_saveexec_b64 s[0:1], s[14:15]
	s_cbranch_execz .LBB93_42
.LBB93_57:
	s_waitcnt lgkmcnt(5)
	v_add_co_u32_e32 v8, vcc, 0x3000, v26
	s_nop 1
	v_addc_co_u32_e32 v9, vcc, 0, v27, vcc
	s_waitcnt lgkmcnt(4)
	global_store_dwordx2 v[8:9], v[14:15], off offset:2048
	s_or_b64 exec, exec, s[0:1]
	s_and_saveexec_b64 s[0:1], s[16:17]
	s_cbranch_execz .LBB93_43
.LBB93_58:
	s_waitcnt lgkmcnt(5)
	v_add_co_u32_e32 v8, vcc, 0x4000, v26
	s_nop 1
	v_addc_co_u32_e32 v9, vcc, 0, v27, vcc
	global_store_dwordx2 v[8:9], v[10:11], off
	s_or_b64 exec, exec, s[0:1]
	s_and_saveexec_b64 s[0:1], s[18:19]
	s_cbranch_execz .LBB93_44
.LBB93_59:
	s_waitcnt lgkmcnt(5)
	v_add_co_u32_e32 v8, vcc, 0x4000, v26
	s_nop 1
	v_addc_co_u32_e32 v9, vcc, 0, v27, vcc
	s_waitcnt lgkmcnt(3)
	global_store_dwordx2 v[8:9], v[4:5], off offset:2048
	s_or_b64 exec, exec, s[0:1]
	s_and_saveexec_b64 s[0:1], s[20:21]
	s_cbranch_execz .LBB93_45
.LBB93_60:
	s_waitcnt lgkmcnt(3)
	v_add_co_u32_e32 v4, vcc, 0x5000, v26
	s_nop 1
	v_addc_co_u32_e32 v5, vcc, 0, v27, vcc
	global_store_dwordx2 v[4:5], v[6:7], off
	s_or_b64 exec, exec, s[0:1]
	s_and_saveexec_b64 s[0:1], s[22:23]
	s_cbranch_execz .LBB93_46
.LBB93_61:
	s_waitcnt lgkmcnt(3)
	v_add_co_u32_e32 v4, vcc, 0x5000, v26
	s_nop 1
	v_addc_co_u32_e32 v5, vcc, 0, v27, vcc
	s_waitcnt lgkmcnt(2)
	global_store_dwordx2 v[4:5], v[0:1], off offset:2048
	s_or_b64 exec, exec, s[0:1]
	s_and_saveexec_b64 s[0:1], s[24:25]
	s_cbranch_execz .LBB93_47
.LBB93_62:
	s_waitcnt lgkmcnt(2)
	v_add_co_u32_e32 v0, vcc, 0x6000, v26
	s_nop 1
	v_addc_co_u32_e32 v1, vcc, 0, v27, vcc
	s_waitcnt lgkmcnt(1)
	global_store_dwordx2 v[0:1], v[28:29], off
	s_or_b64 exec, exec, s[0:1]
	s_and_saveexec_b64 s[0:1], s[26:27]
	s_cbranch_execz .LBB93_48
.LBB93_63:
	s_waitcnt lgkmcnt(2)
	v_add_co_u32_e32 v0, vcc, 0x6000, v26
	s_nop 1
	v_addc_co_u32_e32 v1, vcc, 0, v27, vcc
	global_store_dwordx2 v[0:1], v[2:3], off offset:2048
	s_or_b64 exec, exec, s[0:1]
	s_and_saveexec_b64 s[0:1], s[28:29]
	s_cbranch_execz .LBB93_49
.LBB93_64:
	s_waitcnt lgkmcnt(2)
	v_add_co_u32_e32 v0, vcc, 0x7000, v26
	s_nop 1
	v_addc_co_u32_e32 v1, vcc, 0, v27, vcc
	s_waitcnt lgkmcnt(0)
	global_store_dwordx2 v[0:1], v[24:25], off
	s_endpgm
	.section	.rodata,"a",@progbits
	.p2align	6, 0x0
	.amdhsa_kernel _ZN7rocprim6detail18single_scan_kernelILb1ENS0_19wrapped_scan_configINS_14default_configEyEEPyS5_N6hipcub3MinEyyEEvT1_mT4_T2_T3_
		.amdhsa_group_segment_fixed_size 30720
		.amdhsa_private_segment_fixed_size 0
		.amdhsa_kernarg_size 36
		.amdhsa_user_sgpr_count 2
		.amdhsa_user_sgpr_dispatch_ptr 0
		.amdhsa_user_sgpr_queue_ptr 0
		.amdhsa_user_sgpr_kernarg_segment_ptr 1
		.amdhsa_user_sgpr_dispatch_id 0
		.amdhsa_user_sgpr_kernarg_preload_length 0
		.amdhsa_user_sgpr_kernarg_preload_offset 0
		.amdhsa_user_sgpr_private_segment_size 0
		.amdhsa_uses_dynamic_stack 0
		.amdhsa_enable_private_segment 0
		.amdhsa_system_sgpr_workgroup_id_x 1
		.amdhsa_system_sgpr_workgroup_id_y 0
		.amdhsa_system_sgpr_workgroup_id_z 0
		.amdhsa_system_sgpr_workgroup_info 0
		.amdhsa_system_vgpr_workitem_id 0
		.amdhsa_next_free_vgpr 48
		.amdhsa_next_free_sgpr 76
		.amdhsa_accum_offset 48
		.amdhsa_reserve_vcc 1
		.amdhsa_float_round_mode_32 0
		.amdhsa_float_round_mode_16_64 0
		.amdhsa_float_denorm_mode_32 3
		.amdhsa_float_denorm_mode_16_64 3
		.amdhsa_dx10_clamp 1
		.amdhsa_ieee_mode 1
		.amdhsa_fp16_overflow 0
		.amdhsa_tg_split 0
		.amdhsa_exception_fp_ieee_invalid_op 0
		.amdhsa_exception_fp_denorm_src 0
		.amdhsa_exception_fp_ieee_div_zero 0
		.amdhsa_exception_fp_ieee_overflow 0
		.amdhsa_exception_fp_ieee_underflow 0
		.amdhsa_exception_fp_ieee_inexact 0
		.amdhsa_exception_int_div_zero 0
	.end_amdhsa_kernel
	.section	.text._ZN7rocprim6detail18single_scan_kernelILb1ENS0_19wrapped_scan_configINS_14default_configEyEEPyS5_N6hipcub3MinEyyEEvT1_mT4_T2_T3_,"axG",@progbits,_ZN7rocprim6detail18single_scan_kernelILb1ENS0_19wrapped_scan_configINS_14default_configEyEEPyS5_N6hipcub3MinEyyEEvT1_mT4_T2_T3_,comdat
.Lfunc_end93:
	.size	_ZN7rocprim6detail18single_scan_kernelILb1ENS0_19wrapped_scan_configINS_14default_configEyEEPyS5_N6hipcub3MinEyyEEvT1_mT4_T2_T3_, .Lfunc_end93-_ZN7rocprim6detail18single_scan_kernelILb1ENS0_19wrapped_scan_configINS_14default_configEyEEPyS5_N6hipcub3MinEyyEEvT1_mT4_T2_T3_
                                        ; -- End function
	.section	.AMDGPU.csdata,"",@progbits
; Kernel info:
; codeLenInByte = 3308
; NumSgprs: 82
; NumVgprs: 48
; NumAgprs: 0
; TotalNumVgprs: 48
; ScratchSize: 0
; MemoryBound: 1
; FloatMode: 240
; IeeeMode: 1
; LDSByteSize: 30720 bytes/workgroup (compile time only)
; SGPRBlocks: 10
; VGPRBlocks: 5
; NumSGPRsForWavesPerEU: 82
; NumVGPRsForWavesPerEU: 48
; AccumOffset: 48
; Occupancy: 2
; WaveLimiterHint : 0
; COMPUTE_PGM_RSRC2:SCRATCH_EN: 0
; COMPUTE_PGM_RSRC2:USER_SGPR: 2
; COMPUTE_PGM_RSRC2:TRAP_HANDLER: 0
; COMPUTE_PGM_RSRC2:TGID_X_EN: 1
; COMPUTE_PGM_RSRC2:TGID_Y_EN: 0
; COMPUTE_PGM_RSRC2:TGID_Z_EN: 0
; COMPUTE_PGM_RSRC2:TIDIG_COMP_CNT: 0
; COMPUTE_PGM_RSRC3_GFX90A:ACCUM_OFFSET: 11
; COMPUTE_PGM_RSRC3_GFX90A:TG_SPLIT: 0
	.section	.text._ZN7rocprim6detail25device_scan_by_key_kernelILNS0_25lookback_scan_determinismE0ELb1ENS0_26wrapped_scan_by_key_configINS_14default_configEiiEEPiN6hipcub22TransformInputIteratorIiNS7_6CastOpIiEES6_lEEPliNS7_8EqualityENS7_3SumENS0_19lookback_scan_stateINS_5tupleIJibEEELb1ELb1EEEiEEvT2_T3_T4_T5_T6_T7_T8_mmmPKNSG_IJT9_bEEE,"axG",@progbits,_ZN7rocprim6detail25device_scan_by_key_kernelILNS0_25lookback_scan_determinismE0ELb1ENS0_26wrapped_scan_by_key_configINS_14default_configEiiEEPiN6hipcub22TransformInputIteratorIiNS7_6CastOpIiEES6_lEEPliNS7_8EqualityENS7_3SumENS0_19lookback_scan_stateINS_5tupleIJibEEELb1ELb1EEEiEEvT2_T3_T4_T5_T6_T7_T8_mmmPKNSG_IJT9_bEEE,comdat
	.protected	_ZN7rocprim6detail25device_scan_by_key_kernelILNS0_25lookback_scan_determinismE0ELb1ENS0_26wrapped_scan_by_key_configINS_14default_configEiiEEPiN6hipcub22TransformInputIteratorIiNS7_6CastOpIiEES6_lEEPliNS7_8EqualityENS7_3SumENS0_19lookback_scan_stateINS_5tupleIJibEEELb1ELb1EEEiEEvT2_T3_T4_T5_T6_T7_T8_mmmPKNSG_IJT9_bEEE ; -- Begin function _ZN7rocprim6detail25device_scan_by_key_kernelILNS0_25lookback_scan_determinismE0ELb1ENS0_26wrapped_scan_by_key_configINS_14default_configEiiEEPiN6hipcub22TransformInputIteratorIiNS7_6CastOpIiEES6_lEEPliNS7_8EqualityENS7_3SumENS0_19lookback_scan_stateINS_5tupleIJibEEELb1ELb1EEEiEEvT2_T3_T4_T5_T6_T7_T8_mmmPKNSG_IJT9_bEEE
	.globl	_ZN7rocprim6detail25device_scan_by_key_kernelILNS0_25lookback_scan_determinismE0ELb1ENS0_26wrapped_scan_by_key_configINS_14default_configEiiEEPiN6hipcub22TransformInputIteratorIiNS7_6CastOpIiEES6_lEEPliNS7_8EqualityENS7_3SumENS0_19lookback_scan_stateINS_5tupleIJibEEELb1ELb1EEEiEEvT2_T3_T4_T5_T6_T7_T8_mmmPKNSG_IJT9_bEEE
	.p2align	8
	.type	_ZN7rocprim6detail25device_scan_by_key_kernelILNS0_25lookback_scan_determinismE0ELb1ENS0_26wrapped_scan_by_key_configINS_14default_configEiiEEPiN6hipcub22TransformInputIteratorIiNS7_6CastOpIiEES6_lEEPliNS7_8EqualityENS7_3SumENS0_19lookback_scan_stateINS_5tupleIJibEEELb1ELb1EEEiEEvT2_T3_T4_T5_T6_T7_T8_mmmPKNSG_IJT9_bEEE,@function
_ZN7rocprim6detail25device_scan_by_key_kernelILNS0_25lookback_scan_determinismE0ELb1ENS0_26wrapped_scan_by_key_configINS_14default_configEiiEEPiN6hipcub22TransformInputIteratorIiNS7_6CastOpIiEES6_lEEPliNS7_8EqualityENS7_3SumENS0_19lookback_scan_stateINS_5tupleIJibEEELb1ELb1EEEiEEvT2_T3_T4_T5_T6_T7_T8_mmmPKNSG_IJT9_bEEE: ; @_ZN7rocprim6detail25device_scan_by_key_kernelILNS0_25lookback_scan_determinismE0ELb1ENS0_26wrapped_scan_by_key_configINS_14default_configEiiEEPiN6hipcub22TransformInputIteratorIiNS7_6CastOpIiEES6_lEEPliNS7_8EqualityENS7_3SumENS0_19lookback_scan_stateINS_5tupleIJibEEELb1ELb1EEEiEEvT2_T3_T4_T5_T6_T7_T8_mmmPKNSG_IJT9_bEEE
; %bb.0:
	s_endpgm
	.section	.rodata,"a",@progbits
	.p2align	6, 0x0
	.amdhsa_kernel _ZN7rocprim6detail25device_scan_by_key_kernelILNS0_25lookback_scan_determinismE0ELb1ENS0_26wrapped_scan_by_key_configINS_14default_configEiiEEPiN6hipcub22TransformInputIteratorIiNS7_6CastOpIiEES6_lEEPliNS7_8EqualityENS7_3SumENS0_19lookback_scan_stateINS_5tupleIJibEEELb1ELb1EEEiEEvT2_T3_T4_T5_T6_T7_T8_mmmPKNSG_IJT9_bEEE
		.amdhsa_group_segment_fixed_size 0
		.amdhsa_private_segment_fixed_size 0
		.amdhsa_kernarg_size 80
		.amdhsa_user_sgpr_count 2
		.amdhsa_user_sgpr_dispatch_ptr 0
		.amdhsa_user_sgpr_queue_ptr 0
		.amdhsa_user_sgpr_kernarg_segment_ptr 1
		.amdhsa_user_sgpr_dispatch_id 0
		.amdhsa_user_sgpr_kernarg_preload_length 0
		.amdhsa_user_sgpr_kernarg_preload_offset 0
		.amdhsa_user_sgpr_private_segment_size 0
		.amdhsa_uses_dynamic_stack 0
		.amdhsa_enable_private_segment 0
		.amdhsa_system_sgpr_workgroup_id_x 1
		.amdhsa_system_sgpr_workgroup_id_y 0
		.amdhsa_system_sgpr_workgroup_id_z 0
		.amdhsa_system_sgpr_workgroup_info 0
		.amdhsa_system_vgpr_workitem_id 0
		.amdhsa_next_free_vgpr 1
		.amdhsa_next_free_sgpr 0
		.amdhsa_accum_offset 4
		.amdhsa_reserve_vcc 0
		.amdhsa_float_round_mode_32 0
		.amdhsa_float_round_mode_16_64 0
		.amdhsa_float_denorm_mode_32 3
		.amdhsa_float_denorm_mode_16_64 3
		.amdhsa_dx10_clamp 1
		.amdhsa_ieee_mode 1
		.amdhsa_fp16_overflow 0
		.amdhsa_tg_split 0
		.amdhsa_exception_fp_ieee_invalid_op 0
		.amdhsa_exception_fp_denorm_src 0
		.amdhsa_exception_fp_ieee_div_zero 0
		.amdhsa_exception_fp_ieee_overflow 0
		.amdhsa_exception_fp_ieee_underflow 0
		.amdhsa_exception_fp_ieee_inexact 0
		.amdhsa_exception_int_div_zero 0
	.end_amdhsa_kernel
	.section	.text._ZN7rocprim6detail25device_scan_by_key_kernelILNS0_25lookback_scan_determinismE0ELb1ENS0_26wrapped_scan_by_key_configINS_14default_configEiiEEPiN6hipcub22TransformInputIteratorIiNS7_6CastOpIiEES6_lEEPliNS7_8EqualityENS7_3SumENS0_19lookback_scan_stateINS_5tupleIJibEEELb1ELb1EEEiEEvT2_T3_T4_T5_T6_T7_T8_mmmPKNSG_IJT9_bEEE,"axG",@progbits,_ZN7rocprim6detail25device_scan_by_key_kernelILNS0_25lookback_scan_determinismE0ELb1ENS0_26wrapped_scan_by_key_configINS_14default_configEiiEEPiN6hipcub22TransformInputIteratorIiNS7_6CastOpIiEES6_lEEPliNS7_8EqualityENS7_3SumENS0_19lookback_scan_stateINS_5tupleIJibEEELb1ELb1EEEiEEvT2_T3_T4_T5_T6_T7_T8_mmmPKNSG_IJT9_bEEE,comdat
.Lfunc_end94:
	.size	_ZN7rocprim6detail25device_scan_by_key_kernelILNS0_25lookback_scan_determinismE0ELb1ENS0_26wrapped_scan_by_key_configINS_14default_configEiiEEPiN6hipcub22TransformInputIteratorIiNS7_6CastOpIiEES6_lEEPliNS7_8EqualityENS7_3SumENS0_19lookback_scan_stateINS_5tupleIJibEEELb1ELb1EEEiEEvT2_T3_T4_T5_T6_T7_T8_mmmPKNSG_IJT9_bEEE, .Lfunc_end94-_ZN7rocprim6detail25device_scan_by_key_kernelILNS0_25lookback_scan_determinismE0ELb1ENS0_26wrapped_scan_by_key_configINS_14default_configEiiEEPiN6hipcub22TransformInputIteratorIiNS7_6CastOpIiEES6_lEEPliNS7_8EqualityENS7_3SumENS0_19lookback_scan_stateINS_5tupleIJibEEELb1ELb1EEEiEEvT2_T3_T4_T5_T6_T7_T8_mmmPKNSG_IJT9_bEEE
                                        ; -- End function
	.section	.AMDGPU.csdata,"",@progbits
; Kernel info:
; codeLenInByte = 4
; NumSgprs: 6
; NumVgprs: 0
; NumAgprs: 0
; TotalNumVgprs: 0
; ScratchSize: 0
; MemoryBound: 0
; FloatMode: 240
; IeeeMode: 1
; LDSByteSize: 0 bytes/workgroup (compile time only)
; SGPRBlocks: 0
; VGPRBlocks: 0
; NumSGPRsForWavesPerEU: 6
; NumVGPRsForWavesPerEU: 1
; AccumOffset: 4
; Occupancy: 8
; WaveLimiterHint : 0
; COMPUTE_PGM_RSRC2:SCRATCH_EN: 0
; COMPUTE_PGM_RSRC2:USER_SGPR: 2
; COMPUTE_PGM_RSRC2:TRAP_HANDLER: 0
; COMPUTE_PGM_RSRC2:TGID_X_EN: 1
; COMPUTE_PGM_RSRC2:TGID_Y_EN: 0
; COMPUTE_PGM_RSRC2:TGID_Z_EN: 0
; COMPUTE_PGM_RSRC2:TIDIG_COMP_CNT: 0
; COMPUTE_PGM_RSRC3_GFX90A:ACCUM_OFFSET: 0
; COMPUTE_PGM_RSRC3_GFX90A:TG_SPLIT: 0
	.section	.text._ZN7rocprim6detail25device_scan_by_key_kernelILNS0_25lookback_scan_determinismE0ELb1ENS0_26wrapped_scan_by_key_configINS_14default_configEiiEEPiN6hipcub22TransformInputIteratorIiNS7_6CastOpIiEES6_lEEPliNS7_8EqualityENS7_3SumENS0_19lookback_scan_stateINS_5tupleIJibEEELb0ELb1EEEiEEvT2_T3_T4_T5_T6_T7_T8_mmmPKNSG_IJT9_bEEE,"axG",@progbits,_ZN7rocprim6detail25device_scan_by_key_kernelILNS0_25lookback_scan_determinismE0ELb1ENS0_26wrapped_scan_by_key_configINS_14default_configEiiEEPiN6hipcub22TransformInputIteratorIiNS7_6CastOpIiEES6_lEEPliNS7_8EqualityENS7_3SumENS0_19lookback_scan_stateINS_5tupleIJibEEELb0ELb1EEEiEEvT2_T3_T4_T5_T6_T7_T8_mmmPKNSG_IJT9_bEEE,comdat
	.protected	_ZN7rocprim6detail25device_scan_by_key_kernelILNS0_25lookback_scan_determinismE0ELb1ENS0_26wrapped_scan_by_key_configINS_14default_configEiiEEPiN6hipcub22TransformInputIteratorIiNS7_6CastOpIiEES6_lEEPliNS7_8EqualityENS7_3SumENS0_19lookback_scan_stateINS_5tupleIJibEEELb0ELb1EEEiEEvT2_T3_T4_T5_T6_T7_T8_mmmPKNSG_IJT9_bEEE ; -- Begin function _ZN7rocprim6detail25device_scan_by_key_kernelILNS0_25lookback_scan_determinismE0ELb1ENS0_26wrapped_scan_by_key_configINS_14default_configEiiEEPiN6hipcub22TransformInputIteratorIiNS7_6CastOpIiEES6_lEEPliNS7_8EqualityENS7_3SumENS0_19lookback_scan_stateINS_5tupleIJibEEELb0ELb1EEEiEEvT2_T3_T4_T5_T6_T7_T8_mmmPKNSG_IJT9_bEEE
	.globl	_ZN7rocprim6detail25device_scan_by_key_kernelILNS0_25lookback_scan_determinismE0ELb1ENS0_26wrapped_scan_by_key_configINS_14default_configEiiEEPiN6hipcub22TransformInputIteratorIiNS7_6CastOpIiEES6_lEEPliNS7_8EqualityENS7_3SumENS0_19lookback_scan_stateINS_5tupleIJibEEELb0ELb1EEEiEEvT2_T3_T4_T5_T6_T7_T8_mmmPKNSG_IJT9_bEEE
	.p2align	8
	.type	_ZN7rocprim6detail25device_scan_by_key_kernelILNS0_25lookback_scan_determinismE0ELb1ENS0_26wrapped_scan_by_key_configINS_14default_configEiiEEPiN6hipcub22TransformInputIteratorIiNS7_6CastOpIiEES6_lEEPliNS7_8EqualityENS7_3SumENS0_19lookback_scan_stateINS_5tupleIJibEEELb0ELb1EEEiEEvT2_T3_T4_T5_T6_T7_T8_mmmPKNSG_IJT9_bEEE,@function
_ZN7rocprim6detail25device_scan_by_key_kernelILNS0_25lookback_scan_determinismE0ELb1ENS0_26wrapped_scan_by_key_configINS_14default_configEiiEEPiN6hipcub22TransformInputIteratorIiNS7_6CastOpIiEES6_lEEPliNS7_8EqualityENS7_3SumENS0_19lookback_scan_stateINS_5tupleIJibEEELb0ELb1EEEiEEvT2_T3_T4_T5_T6_T7_T8_mmmPKNSG_IJT9_bEEE: ; @_ZN7rocprim6detail25device_scan_by_key_kernelILNS0_25lookback_scan_determinismE0ELb1ENS0_26wrapped_scan_by_key_configINS_14default_configEiiEEPiN6hipcub22TransformInputIteratorIiNS7_6CastOpIiEES6_lEEPliNS7_8EqualityENS7_3SumENS0_19lookback_scan_stateINS_5tupleIJibEEELb0ELb1EEEiEEvT2_T3_T4_T5_T6_T7_T8_mmmPKNSG_IJT9_bEEE
; %bb.0:
	s_load_dwordx4 s[4:7], s[0:1], 0x0
	s_load_dword s76, s[0:1], 0x20
	s_load_dwordx8 s[64:71], s[0:1], 0x28
	s_load_dwordx2 s[74:75], s[0:1], 0x48
	s_mul_i32 s72, s2, 0x1700
	s_mov_b32 s73, 0
	s_lshl_b64 s[8:9], s[72:73], 2
	s_waitcnt lgkmcnt(0)
	s_add_u32 s54, s4, s8
	s_addc_u32 s55, s5, s9
	s_add_u32 s52, s6, s8
	s_addc_u32 s53, s7, s9
	;; [unrolled: 2-line block ×3, first 2 shown]
	s_add_u32 s8, s70, -1
	s_addc_u32 s9, s71, -1
	v_mov_b64_e32 v[2:3], s[8:9]
	v_cmp_ge_u64_e64 s[60:61], s[6:7], v[2:3]
	s_mov_b64 s[4:5], -1
	s_and_b64 vcc, exec, s[60:61]
	s_mul_i32 s33, s8, 0xffffe900
	s_cbranch_vccz .LBB95_71
; %bb.1:
	s_load_dword s56, s[54:55], 0x0
	s_add_i32 s3, s33, s66
	v_mov_b32_e32 v3, 0
	v_lshlrev_b32_e32 v2, 2, v0
	v_lshl_add_u64 v[4:5], s[54:55], 0, v[2:3]
	v_cmp_gt_u32_e64 s[4:5], s3, v0
	s_waitcnt lgkmcnt(0)
	v_mov_b32_e32 v1, s56
	s_and_saveexec_b64 s[6:7], s[4:5]
	s_cbranch_execz .LBB95_3
; %bb.2:
	global_load_dword v1, v[4:5], off
.LBB95_3:
	s_or_b64 exec, exec, s[6:7]
	v_or_b32_e32 v3, 0x100, v0
	v_cmp_gt_u32_e64 s[6:7], s3, v3
	v_mov_b32_e32 v3, s56
	s_and_saveexec_b64 s[8:9], s[6:7]
	s_cbranch_execz .LBB95_5
; %bb.4:
	global_load_dword v3, v[4:5], off offset:1024
.LBB95_5:
	s_or_b64 exec, exec, s[8:9]
	v_or_b32_e32 v6, 0x200, v0
	v_cmp_gt_u32_e64 s[8:9], s3, v6
	v_mov_b32_e32 v6, s56
	s_and_saveexec_b64 s[10:11], s[8:9]
	s_cbranch_execz .LBB95_7
; %bb.6:
	global_load_dword v6, v[4:5], off offset:2048
.LBB95_7:
	;; [unrolled: 9-line block ×3, first 2 shown]
	s_or_b64 exec, exec, s[12:13]
	v_or_b32_e32 v8, 0x400, v0
	v_cmp_gt_u32_e64 s[12:13], s3, v8
	v_mov_b32_e32 v8, s56
	s_and_saveexec_b64 s[14:15], s[12:13]
	s_cbranch_execz .LBB95_11
; %bb.10:
	v_add_co_u32_e32 v8, vcc, 0x1000, v4
	s_nop 1
	v_addc_co_u32_e32 v9, vcc, 0, v5, vcc
	global_load_dword v8, v[8:9], off
.LBB95_11:
	s_or_b64 exec, exec, s[14:15]
	v_or_b32_e32 v9, 0x500, v0
	v_cmp_gt_u32_e64 s[14:15], s3, v9
	v_mov_b32_e32 v9, s56
	s_and_saveexec_b64 s[16:17], s[14:15]
	s_cbranch_execz .LBB95_13
; %bb.12:
	v_add_co_u32_e32 v10, vcc, 0x1000, v4
	s_nop 1
	v_addc_co_u32_e32 v11, vcc, 0, v5, vcc
	global_load_dword v9, v[10:11], off offset:1024
.LBB95_13:
	s_or_b64 exec, exec, s[16:17]
	v_or_b32_e32 v10, 0x600, v0
	v_cmp_gt_u32_e64 s[16:17], s3, v10
	v_mov_b32_e32 v10, s56
	s_and_saveexec_b64 s[18:19], s[16:17]
	s_cbranch_execz .LBB95_15
; %bb.14:
	v_add_co_u32_e32 v10, vcc, 0x1000, v4
	s_nop 1
	v_addc_co_u32_e32 v11, vcc, 0, v5, vcc
	global_load_dword v10, v[10:11], off offset:2048
.LBB95_15:
	s_or_b64 exec, exec, s[18:19]
	v_or_b32_e32 v11, 0x700, v0
	v_cmp_gt_u32_e64 s[18:19], s3, v11
	v_mov_b32_e32 v11, s56
	s_and_saveexec_b64 s[20:21], s[18:19]
	s_cbranch_execz .LBB95_17
; %bb.16:
	v_add_co_u32_e32 v12, vcc, 0x1000, v4
	s_nop 1
	v_addc_co_u32_e32 v13, vcc, 0, v5, vcc
	global_load_dword v11, v[12:13], off offset:3072
.LBB95_17:
	s_or_b64 exec, exec, s[20:21]
	v_or_b32_e32 v12, 0x800, v0
	v_cmp_gt_u32_e64 s[20:21], s3, v12
	v_mov_b32_e32 v12, s56
	s_and_saveexec_b64 s[22:23], s[20:21]
	s_cbranch_execz .LBB95_19
; %bb.18:
	v_add_co_u32_e32 v12, vcc, 0x2000, v4
	s_nop 1
	v_addc_co_u32_e32 v13, vcc, 0, v5, vcc
	global_load_dword v12, v[12:13], off
.LBB95_19:
	s_or_b64 exec, exec, s[22:23]
	v_or_b32_e32 v13, 0x900, v0
	v_cmp_gt_u32_e64 s[22:23], s3, v13
	v_mov_b32_e32 v13, s56
	s_and_saveexec_b64 s[24:25], s[22:23]
	s_cbranch_execz .LBB95_21
; %bb.20:
	v_add_co_u32_e32 v14, vcc, 0x2000, v4
	s_nop 1
	v_addc_co_u32_e32 v15, vcc, 0, v5, vcc
	global_load_dword v13, v[14:15], off offset:1024
.LBB95_21:
	s_or_b64 exec, exec, s[24:25]
	v_or_b32_e32 v14, 0xa00, v0
	v_cmp_gt_u32_e64 s[24:25], s3, v14
	v_mov_b32_e32 v14, s56
	s_and_saveexec_b64 s[26:27], s[24:25]
	s_cbranch_execz .LBB95_23
; %bb.22:
	v_add_co_u32_e32 v14, vcc, 0x2000, v4
	s_nop 1
	v_addc_co_u32_e32 v15, vcc, 0, v5, vcc
	global_load_dword v14, v[14:15], off offset:2048
.LBB95_23:
	s_or_b64 exec, exec, s[26:27]
	v_or_b32_e32 v15, 0xb00, v0
	v_cmp_gt_u32_e64 s[26:27], s3, v15
	v_mov_b32_e32 v15, s56
	s_and_saveexec_b64 s[28:29], s[26:27]
	s_cbranch_execz .LBB95_25
; %bb.24:
	v_add_co_u32_e32 v16, vcc, 0x2000, v4
	s_nop 1
	v_addc_co_u32_e32 v17, vcc, 0, v5, vcc
	global_load_dword v15, v[16:17], off offset:3072
.LBB95_25:
	;; [unrolled: 48-line block ×4, first 2 shown]
	s_or_b64 exec, exec, s[46:47]
	v_or_b32_e32 v24, 0x1400, v0
	v_cmp_gt_u32_e64 s[46:47], s3, v24
	v_mov_b32_e32 v24, s56
	s_and_saveexec_b64 s[48:49], s[46:47]
	s_cbranch_execz .LBB95_43
; %bb.42:
	v_add_co_u32_e32 v24, vcc, 0x5000, v4
	s_nop 1
	v_addc_co_u32_e32 v25, vcc, 0, v5, vcc
	global_load_dword v24, v[24:25], off
.LBB95_43:
	s_or_b64 exec, exec, s[48:49]
	v_or_b32_e32 v25, 0x1500, v0
	v_cmp_gt_u32_e64 s[48:49], s3, v25
	v_mov_b32_e32 v25, s56
	s_and_saveexec_b64 s[50:51], s[48:49]
	s_cbranch_execz .LBB95_45
; %bb.44:
	v_add_co_u32_e32 v26, vcc, 0x5000, v4
	s_nop 1
	v_addc_co_u32_e32 v27, vcc, 0, v5, vcc
	global_load_dword v25, v[26:27], off offset:1024
.LBB95_45:
	s_or_b64 exec, exec, s[50:51]
	v_or_b32_e32 v26, 0x1600, v0
	v_cmp_gt_u32_e64 s[50:51], s3, v26
	v_mov_b32_e32 v26, s56
	s_and_saveexec_b64 s[56:57], s[50:51]
	s_cbranch_execz .LBB95_47
; %bb.46:
	v_add_co_u32_e32 v4, vcc, 0x5000, v4
	s_nop 1
	v_addc_co_u32_e32 v5, vcc, 0, v5, vcc
	global_load_dword v26, v[4:5], off offset:2048
.LBB95_47:
	s_or_b64 exec, exec, s[56:57]
	s_movk_i32 s56, 0x58
	v_mad_u32_u24 v70, v0, s56, v2
	s_waitcnt vmcnt(0)
	ds_write2st64_b32 v2, v1, v3 offset1:4
	ds_write2st64_b32 v2, v6, v7 offset0:8 offset1:12
	ds_write2st64_b32 v2, v8, v9 offset0:16 offset1:20
	;; [unrolled: 1-line block ×10, first 2 shown]
	ds_write_b32 v2, v26 offset:22528
	s_waitcnt lgkmcnt(0)
	s_barrier
	ds_read_b32 v72, v70
	ds_read2_b32 v[68:69], v70 offset0:1 offset1:2
	ds_read2_b32 v[66:67], v70 offset0:3 offset1:4
	;; [unrolled: 1-line block ×11, first 2 shown]
	s_load_dword s56, s[54:55], 0x0
	s_movk_i32 s57, 0xffa8
	v_mad_i32_i24 v1, v0, s57, v70
	s_movk_i32 s57, 0xff
	s_waitcnt lgkmcnt(0)
	ds_write_b32 v1, v72 offset:24576
	v_cmp_ne_u32_e32 vcc, s57, v0
	v_mov_b32_e32 v1, s56
	s_waitcnt lgkmcnt(0)
	s_barrier
	s_and_saveexec_b64 s[56:57], vcc
	s_cbranch_execz .LBB95_49
; %bb.48:
	ds_read_b32 v1, v2 offset:24580
.LBB95_49:
	s_or_b64 exec, exec, s[56:57]
	v_mov_b32_e32 v3, 0
	v_lshl_add_u64 v[10:11], s[52:53], 0, v[2:3]
	s_waitcnt lgkmcnt(0)
	s_barrier
	s_waitcnt lgkmcnt(0)
                                        ; implicit-def: $vgpr3
	s_and_saveexec_b64 s[56:57], s[4:5]
	s_cbranch_execz .LBB95_72
; %bb.50:
	global_load_dword v3, v[10:11], off
	s_or_b64 exec, exec, s[56:57]
                                        ; implicit-def: $vgpr12
	s_and_saveexec_b64 s[4:5], s[6:7]
	s_cbranch_execnz .LBB95_73
.LBB95_51:
	s_or_b64 exec, exec, s[4:5]
                                        ; implicit-def: $vgpr13
	s_and_saveexec_b64 s[4:5], s[8:9]
	s_cbranch_execz .LBB95_74
.LBB95_52:
	global_load_dword v13, v[10:11], off offset:2048
	s_or_b64 exec, exec, s[4:5]
                                        ; implicit-def: $vgpr14
	s_and_saveexec_b64 s[4:5], s[10:11]
	s_cbranch_execnz .LBB95_75
.LBB95_53:
	s_or_b64 exec, exec, s[4:5]
                                        ; implicit-def: $vgpr15
	s_and_saveexec_b64 s[4:5], s[12:13]
	s_cbranch_execz .LBB95_76
.LBB95_54:
	v_add_co_u32_e32 v16, vcc, 0x1000, v10
	s_nop 1
	v_addc_co_u32_e32 v17, vcc, 0, v11, vcc
	global_load_dword v15, v[16:17], off
	s_or_b64 exec, exec, s[4:5]
                                        ; implicit-def: $vgpr16
	s_and_saveexec_b64 s[4:5], s[14:15]
	s_cbranch_execnz .LBB95_77
.LBB95_55:
	s_or_b64 exec, exec, s[4:5]
                                        ; implicit-def: $vgpr17
	s_and_saveexec_b64 s[4:5], s[16:17]
	s_cbranch_execz .LBB95_78
.LBB95_56:
	v_add_co_u32_e32 v18, vcc, 0x1000, v10
	s_nop 1
	v_addc_co_u32_e32 v19, vcc, 0, v11, vcc
	global_load_dword v17, v[18:19], off offset:2048
	s_or_b64 exec, exec, s[4:5]
                                        ; implicit-def: $vgpr18
	s_and_saveexec_b64 s[4:5], s[18:19]
	s_cbranch_execnz .LBB95_79
.LBB95_57:
	s_or_b64 exec, exec, s[4:5]
                                        ; implicit-def: $vgpr19
	s_and_saveexec_b64 s[4:5], s[20:21]
	s_cbranch_execz .LBB95_80
.LBB95_58:
	v_add_co_u32_e32 v20, vcc, 0x2000, v10
	s_nop 1
	v_addc_co_u32_e32 v21, vcc, 0, v11, vcc
	global_load_dword v19, v[20:21], off
	s_or_b64 exec, exec, s[4:5]
                                        ; implicit-def: $vgpr20
	s_and_saveexec_b64 s[4:5], s[22:23]
	s_cbranch_execnz .LBB95_81
.LBB95_59:
	s_or_b64 exec, exec, s[4:5]
                                        ; implicit-def: $vgpr21
	s_and_saveexec_b64 s[4:5], s[24:25]
	s_cbranch_execz .LBB95_82
.LBB95_60:
	v_add_co_u32_e32 v22, vcc, 0x2000, v10
	s_nop 1
	v_addc_co_u32_e32 v23, vcc, 0, v11, vcc
	global_load_dword v21, v[22:23], off offset:2048
	s_or_b64 exec, exec, s[4:5]
                                        ; implicit-def: $vgpr22
	s_and_saveexec_b64 s[4:5], s[26:27]
	s_cbranch_execnz .LBB95_83
.LBB95_61:
	s_or_b64 exec, exec, s[4:5]
                                        ; implicit-def: $vgpr23
	s_and_saveexec_b64 s[4:5], s[28:29]
	s_cbranch_execz .LBB95_84
.LBB95_62:
	v_add_co_u32_e32 v24, vcc, 0x3000, v10
	s_nop 1
	v_addc_co_u32_e32 v25, vcc, 0, v11, vcc
	global_load_dword v23, v[24:25], off
	s_or_b64 exec, exec, s[4:5]
                                        ; implicit-def: $vgpr24
	s_and_saveexec_b64 s[4:5], s[30:31]
	s_cbranch_execnz .LBB95_85
.LBB95_63:
	s_or_b64 exec, exec, s[4:5]
                                        ; implicit-def: $vgpr25
	s_and_saveexec_b64 s[4:5], s[34:35]
	s_cbranch_execz .LBB95_86
.LBB95_64:
	v_add_co_u32_e32 v26, vcc, 0x3000, v10
	s_nop 1
	v_addc_co_u32_e32 v27, vcc, 0, v11, vcc
	global_load_dword v25, v[26:27], off offset:2048
	s_or_b64 exec, exec, s[4:5]
                                        ; implicit-def: $vgpr26
	s_and_saveexec_b64 s[4:5], s[36:37]
	s_cbranch_execnz .LBB95_87
.LBB95_65:
	s_or_b64 exec, exec, s[4:5]
                                        ; implicit-def: $vgpr27
	s_and_saveexec_b64 s[4:5], s[38:39]
	s_cbranch_execz .LBB95_88
.LBB95_66:
	v_add_co_u32_e32 v28, vcc, 0x4000, v10
	s_nop 1
	v_addc_co_u32_e32 v29, vcc, 0, v11, vcc
	global_load_dword v27, v[28:29], off
	s_or_b64 exec, exec, s[4:5]
                                        ; implicit-def: $vgpr28
	s_and_saveexec_b64 s[4:5], s[40:41]
	s_cbranch_execnz .LBB95_89
.LBB95_67:
	s_or_b64 exec, exec, s[4:5]
                                        ; implicit-def: $vgpr29
	s_and_saveexec_b64 s[4:5], s[42:43]
	s_cbranch_execz .LBB95_90
.LBB95_68:
	v_add_co_u32_e32 v30, vcc, 0x4000, v10
	s_nop 1
	v_addc_co_u32_e32 v31, vcc, 0, v11, vcc
	global_load_dword v29, v[30:31], off offset:2048
	s_or_b64 exec, exec, s[4:5]
                                        ; implicit-def: $vgpr30
	s_and_saveexec_b64 s[4:5], s[44:45]
	s_cbranch_execnz .LBB95_91
.LBB95_69:
	s_or_b64 exec, exec, s[4:5]
                                        ; implicit-def: $vgpr31
	s_and_saveexec_b64 s[4:5], s[46:47]
	s_cbranch_execz .LBB95_92
.LBB95_70:
	v_add_co_u32_e32 v32, vcc, 0x5000, v10
	s_nop 1
	v_addc_co_u32_e32 v33, vcc, 0, v11, vcc
	global_load_dword v31, v[32:33], off
	s_or_b64 exec, exec, s[4:5]
                                        ; implicit-def: $vgpr32
	s_and_saveexec_b64 s[4:5], s[48:49]
	s_cbranch_execz .LBB95_94
	s_branch .LBB95_93
.LBB95_71:
	s_mov_b64 s[10:11], 0
                                        ; implicit-def: $sgpr8_sgpr9
                                        ; implicit-def: $vgpr2
                                        ; implicit-def: $vgpr10_vgpr11
                                        ; implicit-def: $vgpr12_vgpr13
                                        ; implicit-def: $vgpr14_vgpr15
                                        ; implicit-def: $vgpr16_vgpr17
                                        ; implicit-def: $vgpr18_vgpr19
                                        ; implicit-def: $vgpr20_vgpr21
                                        ; implicit-def: $vgpr22_vgpr23
                                        ; implicit-def: $vgpr24_vgpr25
                                        ; implicit-def: $vgpr26_vgpr27
                                        ; implicit-def: $vgpr28_vgpr29
                                        ; implicit-def: $vgpr30_vgpr31
                                        ; implicit-def: $vgpr32_vgpr33
                                        ; implicit-def: $vgpr34_vgpr35
                                        ; implicit-def: $vgpr36_vgpr37
                                        ; implicit-def: $vgpr38_vgpr39
                                        ; implicit-def: $vgpr40_vgpr41
                                        ; implicit-def: $vgpr42_vgpr43
                                        ; implicit-def: $vgpr44_vgpr45
                                        ; implicit-def: $vgpr46_vgpr47
                                        ; implicit-def: $vgpr48_vgpr49
                                        ; implicit-def: $vgpr50_vgpr51
                                        ; implicit-def: $vgpr52_vgpr53
                                        ; implicit-def: $sgpr6_sgpr7
	s_and_b64 vcc, exec, s[4:5]
	s_cbranch_vccz .LBB95_148
	s_branch .LBB95_143
.LBB95_72:
	s_or_b64 exec, exec, s[56:57]
                                        ; implicit-def: $vgpr12
	s_and_saveexec_b64 s[4:5], s[6:7]
	s_cbranch_execz .LBB95_51
.LBB95_73:
	global_load_dword v12, v[10:11], off offset:1024
	s_or_b64 exec, exec, s[4:5]
                                        ; implicit-def: $vgpr13
	s_and_saveexec_b64 s[4:5], s[8:9]
	s_cbranch_execnz .LBB95_52
.LBB95_74:
	s_or_b64 exec, exec, s[4:5]
                                        ; implicit-def: $vgpr14
	s_and_saveexec_b64 s[4:5], s[10:11]
	s_cbranch_execz .LBB95_53
.LBB95_75:
	global_load_dword v14, v[10:11], off offset:3072
	s_or_b64 exec, exec, s[4:5]
                                        ; implicit-def: $vgpr15
	s_and_saveexec_b64 s[4:5], s[12:13]
	s_cbranch_execnz .LBB95_54
.LBB95_76:
	s_or_b64 exec, exec, s[4:5]
                                        ; implicit-def: $vgpr16
	s_and_saveexec_b64 s[4:5], s[14:15]
	s_cbranch_execz .LBB95_55
.LBB95_77:
	v_add_co_u32_e32 v16, vcc, 0x1000, v10
	s_nop 1
	v_addc_co_u32_e32 v17, vcc, 0, v11, vcc
	global_load_dword v16, v[16:17], off offset:1024
	s_or_b64 exec, exec, s[4:5]
                                        ; implicit-def: $vgpr17
	s_and_saveexec_b64 s[4:5], s[16:17]
	s_cbranch_execnz .LBB95_56
.LBB95_78:
	s_or_b64 exec, exec, s[4:5]
                                        ; implicit-def: $vgpr18
	s_and_saveexec_b64 s[4:5], s[18:19]
	s_cbranch_execz .LBB95_57
.LBB95_79:
	v_add_co_u32_e32 v18, vcc, 0x1000, v10
	s_nop 1
	v_addc_co_u32_e32 v19, vcc, 0, v11, vcc
	global_load_dword v18, v[18:19], off offset:3072
	s_or_b64 exec, exec, s[4:5]
                                        ; implicit-def: $vgpr19
	s_and_saveexec_b64 s[4:5], s[20:21]
	s_cbranch_execnz .LBB95_58
.LBB95_80:
	s_or_b64 exec, exec, s[4:5]
                                        ; implicit-def: $vgpr20
	s_and_saveexec_b64 s[4:5], s[22:23]
	s_cbranch_execz .LBB95_59
.LBB95_81:
	v_add_co_u32_e32 v20, vcc, 0x2000, v10
	s_nop 1
	v_addc_co_u32_e32 v21, vcc, 0, v11, vcc
	global_load_dword v20, v[20:21], off offset:1024
	s_or_b64 exec, exec, s[4:5]
                                        ; implicit-def: $vgpr21
	s_and_saveexec_b64 s[4:5], s[24:25]
	s_cbranch_execnz .LBB95_60
.LBB95_82:
	s_or_b64 exec, exec, s[4:5]
                                        ; implicit-def: $vgpr22
	s_and_saveexec_b64 s[4:5], s[26:27]
	s_cbranch_execz .LBB95_61
.LBB95_83:
	v_add_co_u32_e32 v22, vcc, 0x2000, v10
	s_nop 1
	v_addc_co_u32_e32 v23, vcc, 0, v11, vcc
	global_load_dword v22, v[22:23], off offset:3072
	s_or_b64 exec, exec, s[4:5]
                                        ; implicit-def: $vgpr23
	s_and_saveexec_b64 s[4:5], s[28:29]
	s_cbranch_execnz .LBB95_62
.LBB95_84:
	s_or_b64 exec, exec, s[4:5]
                                        ; implicit-def: $vgpr24
	s_and_saveexec_b64 s[4:5], s[30:31]
	s_cbranch_execz .LBB95_63
.LBB95_85:
	v_add_co_u32_e32 v24, vcc, 0x3000, v10
	s_nop 1
	v_addc_co_u32_e32 v25, vcc, 0, v11, vcc
	global_load_dword v24, v[24:25], off offset:1024
	s_or_b64 exec, exec, s[4:5]
                                        ; implicit-def: $vgpr25
	s_and_saveexec_b64 s[4:5], s[34:35]
	s_cbranch_execnz .LBB95_64
.LBB95_86:
	s_or_b64 exec, exec, s[4:5]
                                        ; implicit-def: $vgpr26
	s_and_saveexec_b64 s[4:5], s[36:37]
	s_cbranch_execz .LBB95_65
.LBB95_87:
	v_add_co_u32_e32 v26, vcc, 0x3000, v10
	s_nop 1
	v_addc_co_u32_e32 v27, vcc, 0, v11, vcc
	global_load_dword v26, v[26:27], off offset:3072
	s_or_b64 exec, exec, s[4:5]
                                        ; implicit-def: $vgpr27
	s_and_saveexec_b64 s[4:5], s[38:39]
	s_cbranch_execnz .LBB95_66
.LBB95_88:
	s_or_b64 exec, exec, s[4:5]
                                        ; implicit-def: $vgpr28
	s_and_saveexec_b64 s[4:5], s[40:41]
	s_cbranch_execz .LBB95_67
.LBB95_89:
	v_add_co_u32_e32 v28, vcc, 0x4000, v10
	s_nop 1
	v_addc_co_u32_e32 v29, vcc, 0, v11, vcc
	global_load_dword v28, v[28:29], off offset:1024
	s_or_b64 exec, exec, s[4:5]
                                        ; implicit-def: $vgpr29
	s_and_saveexec_b64 s[4:5], s[42:43]
	s_cbranch_execnz .LBB95_68
.LBB95_90:
	s_or_b64 exec, exec, s[4:5]
                                        ; implicit-def: $vgpr30
	s_and_saveexec_b64 s[4:5], s[44:45]
	s_cbranch_execz .LBB95_69
.LBB95_91:
	v_add_co_u32_e32 v30, vcc, 0x4000, v10
	s_nop 1
	v_addc_co_u32_e32 v31, vcc, 0, v11, vcc
	global_load_dword v30, v[30:31], off offset:3072
	s_or_b64 exec, exec, s[4:5]
                                        ; implicit-def: $vgpr31
	s_and_saveexec_b64 s[4:5], s[46:47]
	s_cbranch_execnz .LBB95_70
.LBB95_92:
	s_or_b64 exec, exec, s[4:5]
                                        ; implicit-def: $vgpr32
	s_and_saveexec_b64 s[4:5], s[48:49]
	s_cbranch_execz .LBB95_94
.LBB95_93:
	v_add_co_u32_e32 v32, vcc, 0x5000, v10
	s_nop 1
	v_addc_co_u32_e32 v33, vcc, 0, v11, vcc
	global_load_dword v32, v[32:33], off offset:1024
.LBB95_94:
	s_or_b64 exec, exec, s[4:5]
	v_mul_u32_u24_e32 v71, 23, v0
                                        ; implicit-def: $vgpr33
	s_and_saveexec_b64 s[4:5], s[50:51]
	s_cbranch_execz .LBB95_96
; %bb.95:
	v_add_co_u32_e32 v10, vcc, 0x5000, v10
	s_nop 1
	v_addc_co_u32_e32 v11, vcc, 0, v11, vcc
	global_load_dword v33, v[10:11], off offset:2048
.LBB95_96:
	s_or_b64 exec, exec, s[4:5]
	v_mov_b64_e32 v[10:11], 0
	s_waitcnt vmcnt(0)
	ds_write2st64_b32 v2, v3, v12 offset1:4
	ds_write2st64_b32 v2, v13, v14 offset0:8 offset1:12
	ds_write2st64_b32 v2, v15, v16 offset0:16 offset1:20
	;; [unrolled: 1-line block ×10, first 2 shown]
	ds_write_b32 v2, v33 offset:22528
	v_cmp_gt_u32_e32 vcc, s3, v71
	s_mov_b64 s[10:11], 0
	s_mov_b64 s[4:5], 0
	v_mov_b64_e32 v[12:13], v[10:11]
	v_mov_b64_e32 v[14:15], v[10:11]
	;; [unrolled: 1-line block ×21, first 2 shown]
	s_waitcnt lgkmcnt(0)
	s_barrier
	s_waitcnt lgkmcnt(0)
                                        ; implicit-def: $sgpr8_sgpr9
                                        ; implicit-def: $vgpr2
	s_and_saveexec_b64 s[6:7], vcc
	s_cbranch_execz .LBB95_142
; %bb.97:
	ds_read_b32 v2, v70
	v_mov_b32_e32 v10, s76
	v_cmp_eq_u32_e32 vcc, v72, v68
	v_add_u32_e32 v3, 1, v71
	v_mov_b64_e32 v[12:13], 0
	s_waitcnt lgkmcnt(0)
	v_cndmask_b32_e32 v10, v10, v2, vcc
	v_cmp_ne_u32_e32 vcc, v72, v68
	s_mov_b64 s[12:13], 0
	v_mov_b64_e32 v[14:15], v[12:13]
	v_cndmask_b32_e64 v11, 0, 1, vcc
	v_cmp_gt_u32_e32 vcc, s3, v3
	v_mov_b64_e32 v[16:17], v[12:13]
	v_mov_b64_e32 v[18:19], v[12:13]
	;; [unrolled: 1-line block ×19, first 2 shown]
                                        ; implicit-def: $sgpr14_sgpr15
                                        ; implicit-def: $vgpr2
	s_and_saveexec_b64 s[8:9], vcc
	s_cbranch_execz .LBB95_141
; %bb.98:
	ds_read2_b32 v[2:3], v70 offset0:1 offset1:2
	v_mov_b32_e32 v12, s76
	v_cmp_eq_u32_e32 vcc, v68, v69
	v_add_u32_e32 v14, 2, v71
	s_mov_b64 s[14:15], 0
	s_waitcnt lgkmcnt(0)
	v_cndmask_b32_e32 v12, v12, v2, vcc
	v_cmp_ne_u32_e32 vcc, v68, v69
                                        ; implicit-def: $sgpr16_sgpr17
                                        ; implicit-def: $vgpr2
	s_nop 1
	v_cndmask_b32_e64 v13, 0, 1, vcc
	v_cmp_gt_u32_e32 vcc, s3, v14
	v_mov_b64_e32 v[14:15], 0
	v_mov_b64_e32 v[16:17], v[14:15]
	;; [unrolled: 1-line block ×20, first 2 shown]
	s_and_saveexec_b64 s[10:11], vcc
	s_cbranch_execz .LBB95_140
; %bb.99:
	v_mov_b32_e32 v14, s76
	v_cmp_eq_u32_e32 vcc, v69, v66
	v_add_u32_e32 v2, 3, v71
	v_mov_b64_e32 v[16:17], 0
	v_cndmask_b32_e32 v14, v14, v3, vcc
	v_cmp_ne_u32_e32 vcc, v69, v66
	s_mov_b64 s[16:17], 0
	v_mov_b64_e32 v[18:19], v[16:17]
	v_cndmask_b32_e64 v15, 0, 1, vcc
	v_cmp_gt_u32_e32 vcc, s3, v2
	v_mov_b64_e32 v[20:21], v[16:17]
	v_mov_b64_e32 v[22:23], v[16:17]
	;; [unrolled: 1-line block ×17, first 2 shown]
                                        ; implicit-def: $sgpr18_sgpr19
                                        ; implicit-def: $vgpr2
	s_and_saveexec_b64 s[12:13], vcc
	s_cbranch_execz .LBB95_139
; %bb.100:
	ds_read2_b32 v[2:3], v70 offset0:3 offset1:4
	v_mov_b32_e32 v16, s76
	v_cmp_eq_u32_e32 vcc, v66, v67
	v_add_u32_e32 v18, 4, v71
	s_mov_b64 s[18:19], 0
	s_waitcnt lgkmcnt(0)
	v_cndmask_b32_e32 v16, v16, v2, vcc
	v_cmp_ne_u32_e32 vcc, v66, v67
                                        ; implicit-def: $sgpr20_sgpr21
                                        ; implicit-def: $vgpr2
	s_nop 1
	v_cndmask_b32_e64 v17, 0, 1, vcc
	v_cmp_gt_u32_e32 vcc, s3, v18
	v_mov_b64_e32 v[18:19], 0
	v_mov_b64_e32 v[20:21], v[18:19]
	;; [unrolled: 1-line block ×18, first 2 shown]
	s_and_saveexec_b64 s[14:15], vcc
	s_cbranch_execz .LBB95_138
; %bb.101:
	v_mov_b32_e32 v18, s76
	v_cmp_eq_u32_e32 vcc, v67, v64
	v_add_u32_e32 v2, 5, v71
	v_mov_b64_e32 v[20:21], 0
	v_cndmask_b32_e32 v18, v18, v3, vcc
	v_cmp_ne_u32_e32 vcc, v67, v64
	s_mov_b64 s[20:21], 0
	v_mov_b64_e32 v[22:23], v[20:21]
	v_cndmask_b32_e64 v19, 0, 1, vcc
	v_cmp_gt_u32_e32 vcc, s3, v2
	v_mov_b64_e32 v[24:25], v[20:21]
	v_mov_b64_e32 v[26:27], v[20:21]
	;; [unrolled: 1-line block ×15, first 2 shown]
                                        ; implicit-def: $sgpr22_sgpr23
                                        ; implicit-def: $vgpr2
	s_and_saveexec_b64 s[16:17], vcc
	s_cbranch_execz .LBB95_137
; %bb.102:
	ds_read2_b32 v[2:3], v70 offset0:5 offset1:6
	v_mov_b32_e32 v20, s76
	v_cmp_eq_u32_e32 vcc, v64, v65
	v_add_u32_e32 v22, 6, v71
	s_mov_b64 s[22:23], 0
	s_waitcnt lgkmcnt(0)
	v_cndmask_b32_e32 v20, v20, v2, vcc
	v_cmp_ne_u32_e32 vcc, v64, v65
                                        ; implicit-def: $sgpr24_sgpr25
                                        ; implicit-def: $vgpr2
	s_nop 1
	v_cndmask_b32_e64 v21, 0, 1, vcc
	v_cmp_gt_u32_e32 vcc, s3, v22
	v_mov_b64_e32 v[22:23], 0
	v_mov_b64_e32 v[24:25], v[22:23]
	;; [unrolled: 1-line block ×16, first 2 shown]
	s_and_saveexec_b64 s[18:19], vcc
	s_cbranch_execz .LBB95_136
; %bb.103:
	v_mov_b32_e32 v22, s76
	v_cmp_eq_u32_e32 vcc, v65, v62
	v_add_u32_e32 v2, 7, v71
	v_mov_b64_e32 v[24:25], 0
	v_cndmask_b32_e32 v22, v22, v3, vcc
	v_cmp_ne_u32_e32 vcc, v65, v62
	s_mov_b64 s[24:25], 0
	v_mov_b64_e32 v[26:27], v[24:25]
	v_cndmask_b32_e64 v23, 0, 1, vcc
	v_cmp_gt_u32_e32 vcc, s3, v2
	v_mov_b64_e32 v[28:29], v[24:25]
	v_mov_b64_e32 v[30:31], v[24:25]
	;; [unrolled: 1-line block ×13, first 2 shown]
                                        ; implicit-def: $sgpr26_sgpr27
                                        ; implicit-def: $vgpr2
	s_and_saveexec_b64 s[20:21], vcc
	s_cbranch_execz .LBB95_135
; %bb.104:
	ds_read2_b32 v[2:3], v70 offset0:7 offset1:8
	v_mov_b32_e32 v24, s76
	v_cmp_eq_u32_e32 vcc, v62, v63
	v_add_u32_e32 v26, 8, v71
	s_mov_b64 s[26:27], 0
	s_waitcnt lgkmcnt(0)
	v_cndmask_b32_e32 v24, v24, v2, vcc
	v_cmp_ne_u32_e32 vcc, v62, v63
                                        ; implicit-def: $sgpr28_sgpr29
                                        ; implicit-def: $vgpr2
	s_nop 1
	v_cndmask_b32_e64 v25, 0, 1, vcc
	v_cmp_gt_u32_e32 vcc, s3, v26
	v_mov_b64_e32 v[26:27], 0
	v_mov_b64_e32 v[28:29], v[26:27]
	;; [unrolled: 1-line block ×14, first 2 shown]
	s_and_saveexec_b64 s[22:23], vcc
	s_cbranch_execz .LBB95_134
; %bb.105:
	v_mov_b32_e32 v26, s76
	v_cmp_eq_u32_e32 vcc, v63, v60
	v_add_u32_e32 v2, 9, v71
	v_mov_b64_e32 v[28:29], 0
	v_cndmask_b32_e32 v26, v26, v3, vcc
	v_cmp_ne_u32_e32 vcc, v63, v60
	s_mov_b64 s[28:29], 0
	v_mov_b64_e32 v[30:31], v[28:29]
	v_cndmask_b32_e64 v27, 0, 1, vcc
	v_cmp_gt_u32_e32 vcc, s3, v2
	v_mov_b64_e32 v[32:33], v[28:29]
	v_mov_b64_e32 v[34:35], v[28:29]
	;; [unrolled: 1-line block ×11, first 2 shown]
                                        ; implicit-def: $sgpr30_sgpr31
                                        ; implicit-def: $vgpr2
	s_and_saveexec_b64 s[24:25], vcc
	s_cbranch_execz .LBB95_133
; %bb.106:
	ds_read2_b32 v[2:3], v70 offset0:9 offset1:10
	v_mov_b32_e32 v28, s76
	v_cmp_eq_u32_e32 vcc, v60, v61
	v_add_u32_e32 v30, 10, v71
	s_mov_b64 s[30:31], 0
	s_waitcnt lgkmcnt(0)
	v_cndmask_b32_e32 v28, v28, v2, vcc
	v_cmp_ne_u32_e32 vcc, v60, v61
                                        ; implicit-def: $sgpr34_sgpr35
                                        ; implicit-def: $vgpr2
	s_nop 1
	v_cndmask_b32_e64 v29, 0, 1, vcc
	v_cmp_gt_u32_e32 vcc, s3, v30
	v_mov_b64_e32 v[30:31], 0
	v_mov_b64_e32 v[32:33], v[30:31]
	;; [unrolled: 1-line block ×12, first 2 shown]
	s_and_saveexec_b64 s[26:27], vcc
	s_cbranch_execz .LBB95_132
; %bb.107:
	v_mov_b32_e32 v30, s76
	v_cmp_eq_u32_e32 vcc, v61, v58
	v_add_u32_e32 v2, 11, v71
	v_mov_b64_e32 v[32:33], 0
	v_cndmask_b32_e32 v30, v30, v3, vcc
	v_cmp_ne_u32_e32 vcc, v61, v58
	s_mov_b64 s[34:35], 0
	v_mov_b64_e32 v[34:35], v[32:33]
	v_cndmask_b32_e64 v31, 0, 1, vcc
	v_cmp_gt_u32_e32 vcc, s3, v2
	v_mov_b64_e32 v[36:37], v[32:33]
	v_mov_b64_e32 v[38:39], v[32:33]
	;; [unrolled: 1-line block ×9, first 2 shown]
                                        ; implicit-def: $sgpr36_sgpr37
                                        ; implicit-def: $vgpr2
	s_and_saveexec_b64 s[28:29], vcc
	s_cbranch_execz .LBB95_131
; %bb.108:
	ds_read2_b32 v[2:3], v70 offset0:11 offset1:12
	v_mov_b32_e32 v32, s76
	v_cmp_eq_u32_e32 vcc, v58, v59
	v_add_u32_e32 v34, 12, v71
	s_mov_b64 s[36:37], 0
	s_waitcnt lgkmcnt(0)
	v_cndmask_b32_e32 v32, v32, v2, vcc
	v_cmp_ne_u32_e32 vcc, v58, v59
                                        ; implicit-def: $sgpr38_sgpr39
                                        ; implicit-def: $vgpr2
	s_nop 1
	v_cndmask_b32_e64 v33, 0, 1, vcc
	v_cmp_gt_u32_e32 vcc, s3, v34
	v_mov_b64_e32 v[34:35], 0
	v_mov_b64_e32 v[36:37], v[34:35]
	;; [unrolled: 1-line block ×10, first 2 shown]
	s_and_saveexec_b64 s[30:31], vcc
	s_cbranch_execz .LBB95_130
; %bb.109:
	v_mov_b32_e32 v34, s76
	v_cmp_eq_u32_e32 vcc, v59, v56
	v_add_u32_e32 v2, 13, v71
	v_mov_b64_e32 v[36:37], 0
	v_cndmask_b32_e32 v34, v34, v3, vcc
	v_cmp_ne_u32_e32 vcc, v59, v56
	s_mov_b64 s[38:39], 0
	v_mov_b64_e32 v[38:39], v[36:37]
	v_cndmask_b32_e64 v35, 0, 1, vcc
	v_cmp_gt_u32_e32 vcc, s3, v2
	v_mov_b64_e32 v[40:41], v[36:37]
	v_mov_b64_e32 v[42:43], v[36:37]
	;; [unrolled: 1-line block ×7, first 2 shown]
                                        ; implicit-def: $sgpr40_sgpr41
                                        ; implicit-def: $vgpr2
	s_and_saveexec_b64 s[34:35], vcc
	s_cbranch_execz .LBB95_129
; %bb.110:
	ds_read2_b32 v[2:3], v70 offset0:13 offset1:14
	v_mov_b32_e32 v36, s76
	v_cmp_eq_u32_e32 vcc, v56, v57
	v_add_u32_e32 v38, 14, v71
	s_mov_b64 s[40:41], 0
	s_waitcnt lgkmcnt(0)
	v_cndmask_b32_e32 v36, v36, v2, vcc
	v_cmp_ne_u32_e32 vcc, v56, v57
                                        ; implicit-def: $sgpr42_sgpr43
                                        ; implicit-def: $vgpr2
	s_nop 1
	v_cndmask_b32_e64 v37, 0, 1, vcc
	v_cmp_gt_u32_e32 vcc, s3, v38
	v_mov_b64_e32 v[38:39], 0
	v_mov_b64_e32 v[40:41], v[38:39]
	;; [unrolled: 1-line block ×8, first 2 shown]
	s_and_saveexec_b64 s[36:37], vcc
	s_cbranch_execz .LBB95_128
; %bb.111:
	v_mov_b32_e32 v38, s76
	v_cmp_eq_u32_e32 vcc, v57, v54
	v_add_u32_e32 v2, 15, v71
	v_mov_b64_e32 v[40:41], 0
	v_cndmask_b32_e32 v38, v38, v3, vcc
	v_cmp_ne_u32_e32 vcc, v57, v54
	s_mov_b64 s[42:43], 0
	v_mov_b64_e32 v[42:43], v[40:41]
	v_cndmask_b32_e64 v39, 0, 1, vcc
	v_cmp_gt_u32_e32 vcc, s3, v2
	v_mov_b64_e32 v[44:45], v[40:41]
	v_mov_b64_e32 v[46:47], v[40:41]
	v_mov_b64_e32 v[48:49], v[40:41]
	v_mov_b64_e32 v[50:51], v[40:41]
	v_mov_b64_e32 v[52:53], v[40:41]
                                        ; implicit-def: $sgpr44_sgpr45
                                        ; implicit-def: $vgpr2
	s_and_saveexec_b64 s[38:39], vcc
	s_cbranch_execz .LBB95_127
; %bb.112:
	ds_read2_b32 v[2:3], v70 offset0:15 offset1:16
	v_mov_b32_e32 v40, s76
	v_cmp_eq_u32_e32 vcc, v54, v55
	v_add_u32_e32 v42, 16, v71
	s_mov_b64 s[44:45], 0
	s_waitcnt lgkmcnt(0)
	v_cndmask_b32_e32 v40, v40, v2, vcc
	v_cmp_ne_u32_e32 vcc, v54, v55
                                        ; implicit-def: $sgpr46_sgpr47
                                        ; implicit-def: $vgpr2
	s_nop 1
	v_cndmask_b32_e64 v41, 0, 1, vcc
	v_cmp_gt_u32_e32 vcc, s3, v42
	v_mov_b64_e32 v[42:43], 0
	v_mov_b64_e32 v[44:45], v[42:43]
	;; [unrolled: 1-line block ×6, first 2 shown]
	s_and_saveexec_b64 s[40:41], vcc
	s_cbranch_execz .LBB95_126
; %bb.113:
	v_mov_b32_e32 v42, s76
	v_cmp_eq_u32_e32 vcc, v55, v8
	v_add_u32_e32 v2, 17, v71
	v_mov_b64_e32 v[44:45], 0
	v_cndmask_b32_e32 v42, v42, v3, vcc
	v_cmp_ne_u32_e32 vcc, v55, v8
	s_mov_b64 s[46:47], 0
	v_mov_b64_e32 v[46:47], v[44:45]
	v_cndmask_b32_e64 v43, 0, 1, vcc
	v_cmp_gt_u32_e32 vcc, s3, v2
	v_mov_b64_e32 v[48:49], v[44:45]
	v_mov_b64_e32 v[50:51], v[44:45]
	;; [unrolled: 1-line block ×3, first 2 shown]
                                        ; implicit-def: $sgpr48_sgpr49
                                        ; implicit-def: $vgpr2
	s_and_saveexec_b64 s[42:43], vcc
	s_cbranch_execz .LBB95_125
; %bb.114:
	ds_read2_b32 v[2:3], v70 offset0:17 offset1:18
	v_mov_b32_e32 v44, s76
	v_cmp_eq_u32_e32 vcc, v8, v9
	v_add_u32_e32 v46, 18, v71
	s_mov_b64 s[48:49], 0
	s_waitcnt lgkmcnt(0)
	v_cndmask_b32_e32 v44, v44, v2, vcc
	v_cmp_ne_u32_e32 vcc, v8, v9
                                        ; implicit-def: $sgpr50_sgpr51
                                        ; implicit-def: $vgpr2
	s_nop 1
	v_cndmask_b32_e64 v45, 0, 1, vcc
	v_cmp_gt_u32_e32 vcc, s3, v46
	v_mov_b64_e32 v[46:47], 0
	v_mov_b64_e32 v[48:49], v[46:47]
	;; [unrolled: 1-line block ×4, first 2 shown]
	s_and_saveexec_b64 s[44:45], vcc
	s_cbranch_execz .LBB95_124
; %bb.115:
	v_mov_b32_e32 v8, s76
	v_cmp_eq_u32_e32 vcc, v9, v6
	v_add_u32_e32 v2, 19, v71
	v_mov_b64_e32 v[48:49], 0
	v_cndmask_b32_e32 v46, v8, v3, vcc
	v_cmp_ne_u32_e32 vcc, v9, v6
	s_mov_b64 s[50:51], 0
	v_mov_b64_e32 v[50:51], v[48:49]
	v_cndmask_b32_e64 v47, 0, 1, vcc
	v_cmp_gt_u32_e32 vcc, s3, v2
	v_mov_b64_e32 v[52:53], v[48:49]
                                        ; implicit-def: $sgpr56_sgpr57
                                        ; implicit-def: $vgpr2
	s_and_saveexec_b64 s[46:47], vcc
	s_cbranch_execz .LBB95_123
; %bb.116:
	ds_read2_b32 v[2:3], v70 offset0:19 offset1:20
	v_mov_b32_e32 v9, s76
	v_cmp_eq_u32_e32 vcc, v6, v7
	v_add_u32_e32 v8, 20, v71
	v_mov_b64_e32 v[50:51], 0
	s_waitcnt lgkmcnt(0)
	v_cndmask_b32_e32 v48, v9, v2, vcc
	v_cmp_ne_u32_e32 vcc, v6, v7
	s_mov_b64 s[56:57], 0
	v_mov_b64_e32 v[52:53], v[50:51]
	v_cndmask_b32_e64 v49, 0, 1, vcc
	v_cmp_gt_u32_e32 vcc, s3, v8
                                        ; implicit-def: $sgpr58_sgpr59
                                        ; implicit-def: $vgpr2
	s_and_saveexec_b64 s[48:49], vcc
	s_cbranch_execz .LBB95_122
; %bb.117:
	v_mov_b32_e32 v6, s76
	v_cmp_eq_u32_e32 vcc, v7, v4
	v_add_u32_e32 v2, 21, v71
	v_mov_b64_e32 v[52:53], 0
	v_cndmask_b32_e32 v50, v6, v3, vcc
	v_cmp_ne_u32_e32 vcc, v7, v4
                                        ; implicit-def: $sgpr58_sgpr59
	s_nop 1
	v_cndmask_b32_e64 v51, 0, 1, vcc
	v_cmp_gt_u32_e32 vcc, s3, v2
                                        ; implicit-def: $vgpr2
	s_and_saveexec_b64 s[50:51], vcc
	s_cbranch_execz .LBB95_121
; %bb.118:
	ds_read2_b32 v[2:3], v70 offset0:21 offset1:22
	v_mov_b32_e32 v7, s76
	v_cmp_eq_u32_e32 vcc, v4, v5
	v_add_u32_e32 v6, 22, v71
                                        ; implicit-def: $sgpr58_sgpr59
	s_waitcnt lgkmcnt(0)
	v_cndmask_b32_e32 v52, v7, v2, vcc
	v_cmp_ne_u32_e32 vcc, v4, v5
                                        ; implicit-def: $vgpr2
	s_nop 1
	v_cndmask_b32_e64 v53, 0, 1, vcc
	v_cmp_gt_u32_e32 vcc, s3, v6
	s_and_saveexec_b64 s[62:63], vcc
	s_xor_b64 s[62:63], exec, s[62:63]
; %bb.119:
	v_mov_b32_e32 v2, s76
	v_cmp_ne_u32_e32 vcc, v5, v1
	s_mov_b64 s[56:57], exec
	s_and_b64 s[58:59], vcc, exec
	v_cndmask_b32_e32 v2, v3, v2, vcc
; %bb.120:
	s_or_b64 exec, exec, s[62:63]
	s_and_b64 s[58:59], s[58:59], exec
	s_and_b64 s[56:57], s[56:57], exec
.LBB95_121:
	s_or_b64 exec, exec, s[50:51]
	s_and_b64 s[58:59], s[58:59], exec
	s_and_b64 s[50:51], s[56:57], exec
.LBB95_122:
	s_or_b64 exec, exec, s[48:49]
	s_and_b64 s[56:57], s[58:59], exec
	s_and_b64 s[48:49], s[50:51], exec
.LBB95_123:
	s_or_b64 exec, exec, s[46:47]
	s_and_b64 s[50:51], s[56:57], exec
	s_and_b64 s[46:47], s[48:49], exec
.LBB95_124:
	s_or_b64 exec, exec, s[44:45]
	s_and_b64 s[48:49], s[50:51], exec
	s_and_b64 s[44:45], s[46:47], exec
.LBB95_125:
	s_or_b64 exec, exec, s[42:43]
	s_and_b64 s[46:47], s[48:49], exec
	s_and_b64 s[42:43], s[44:45], exec
.LBB95_126:
	s_or_b64 exec, exec, s[40:41]
	s_and_b64 s[44:45], s[46:47], exec
	s_and_b64 s[40:41], s[42:43], exec
.LBB95_127:
	s_or_b64 exec, exec, s[38:39]
	s_and_b64 s[42:43], s[44:45], exec
	s_and_b64 s[38:39], s[40:41], exec
.LBB95_128:
	s_or_b64 exec, exec, s[36:37]
	s_and_b64 s[40:41], s[42:43], exec
	s_and_b64 s[36:37], s[38:39], exec
.LBB95_129:
	s_or_b64 exec, exec, s[34:35]
	s_and_b64 s[38:39], s[40:41], exec
	s_and_b64 s[34:35], s[36:37], exec
.LBB95_130:
	s_or_b64 exec, exec, s[30:31]
	s_and_b64 s[36:37], s[38:39], exec
	s_and_b64 s[30:31], s[34:35], exec
.LBB95_131:
	s_or_b64 exec, exec, s[28:29]
	s_and_b64 s[34:35], s[36:37], exec
	s_and_b64 s[28:29], s[30:31], exec
.LBB95_132:
	s_or_b64 exec, exec, s[26:27]
	s_and_b64 s[30:31], s[34:35], exec
	s_and_b64 s[26:27], s[28:29], exec
.LBB95_133:
	s_or_b64 exec, exec, s[24:25]
	s_and_b64 s[28:29], s[30:31], exec
	s_and_b64 s[24:25], s[26:27], exec
.LBB95_134:
	s_or_b64 exec, exec, s[22:23]
	s_and_b64 s[26:27], s[28:29], exec
	s_and_b64 s[22:23], s[24:25], exec
.LBB95_135:
	s_or_b64 exec, exec, s[20:21]
	s_and_b64 s[24:25], s[26:27], exec
	s_and_b64 s[20:21], s[22:23], exec
.LBB95_136:
	s_or_b64 exec, exec, s[18:19]
	s_and_b64 s[22:23], s[24:25], exec
	s_and_b64 s[18:19], s[20:21], exec
.LBB95_137:
	s_or_b64 exec, exec, s[16:17]
	s_and_b64 s[20:21], s[22:23], exec
	s_and_b64 s[16:17], s[18:19], exec
.LBB95_138:
	s_or_b64 exec, exec, s[14:15]
	s_and_b64 s[18:19], s[20:21], exec
	s_and_b64 s[14:15], s[16:17], exec
.LBB95_139:
	s_or_b64 exec, exec, s[12:13]
	s_and_b64 s[16:17], s[18:19], exec
	s_and_b64 s[12:13], s[14:15], exec
.LBB95_140:
	s_or_b64 exec, exec, s[10:11]
	s_and_b64 s[14:15], s[16:17], exec
	s_and_b64 s[10:11], s[12:13], exec
.LBB95_141:
	s_or_b64 exec, exec, s[8:9]
	s_and_b64 s[8:9], s[14:15], exec
	s_and_b64 s[10:11], s[10:11], exec
.LBB95_142:
	s_or_b64 exec, exec, s[6:7]
	s_mov_b64 s[6:7], 0
	s_and_b64 vcc, exec, s[4:5]
	s_cbranch_vccz .LBB95_148
.LBB95_143:
	v_mov_b32_e32 v11, 0
	v_lshlrev_b32_e32 v10, 2, v0
	v_lshl_add_u64 v[2:3], s[54:55], 0, v[10:11]
	v_add_co_u32_e32 v4, vcc, 0x1000, v2
	global_load_dword v1, v10, s[54:55]
	global_load_dword v8, v10, s[54:55] offset:1024
	global_load_dword v9, v10, s[54:55] offset:2048
	;; [unrolled: 1-line block ×3, first 2 shown]
	v_addc_co_u32_e32 v5, vcc, 0, v3, vcc
	v_add_co_u32_e32 v6, vcc, 0x2000, v2
	s_movk_i32 s6, 0x58
	s_nop 0
	v_addc_co_u32_e32 v7, vcc, 0, v3, vcc
	global_load_dword v14, v[4:5], off
	global_load_dword v15, v[4:5], off offset:1024
	global_load_dword v16, v[4:5], off offset:2048
	;; [unrolled: 1-line block ×3, first 2 shown]
	global_load_dword v18, v[6:7], off
	global_load_dword v19, v[6:7], off offset:1024
	global_load_dword v20, v[6:7], off offset:2048
	;; [unrolled: 1-line block ×3, first 2 shown]
	v_add_co_u32_e32 v4, vcc, 0x3000, v2
	v_mad_u32_u24 v12, v0, s6, v10
	s_nop 0
	v_addc_co_u32_e32 v5, vcc, 0, v3, vcc
	v_add_co_u32_e32 v6, vcc, 0x4000, v2
	s_movk_i32 s7, 0xffa8
	s_nop 0
	v_addc_co_u32_e32 v7, vcc, 0, v3, vcc
	v_add_co_u32_e32 v2, vcc, 0x5000, v2
	global_load_dword v22, v[4:5], off
	global_load_dword v23, v[4:5], off offset:1024
	global_load_dword v24, v[4:5], off offset:2048
	;; [unrolled: 1-line block ×3, first 2 shown]
	global_load_dword v26, v[6:7], off
	global_load_dword v27, v[6:7], off offset:1024
	global_load_dword v28, v[6:7], off offset:2048
	;; [unrolled: 1-line block ×3, first 2 shown]
	v_addc_co_u32_e32 v3, vcc, 0, v3, vcc
	global_load_dword v4, v[2:3], off
	global_load_dword v5, v[2:3], off offset:1024
	global_load_dword v6, v[2:3], off offset:2048
	s_movk_i32 s11, 0xff
	s_movk_i32 s10, 0x1000
	s_mov_b32 s4, 0
	s_movk_i32 s9, 0x2000
	s_movk_i32 s8, 0x3000
	;; [unrolled: 1-line block ×4, first 2 shown]
	v_mad_i32_i24 v32, v0, s7, v12
	v_cmp_ne_u32_e32 vcc, s11, v0
	s_waitcnt vmcnt(21)
	ds_write2st64_b32 v10, v1, v8 offset1:4
	s_waitcnt vmcnt(19)
	ds_write2st64_b32 v10, v9, v13 offset0:8 offset1:12
	s_waitcnt vmcnt(17)
	ds_write2st64_b32 v10, v14, v15 offset0:16 offset1:20
	;; [unrolled: 2-line block ×10, first 2 shown]
	s_waitcnt vmcnt(0)
	ds_write_b32 v10, v6 offset:22528
	s_waitcnt lgkmcnt(0)
	s_barrier
	ds_read_b32 v13, v12
	ds_read2_b32 v[14:15], v12 offset0:1 offset1:2
	ds_read2_b32 v[18:19], v12 offset0:3 offset1:4
	;; [unrolled: 1-line block ×11, first 2 shown]
	s_load_dword s6, s[54:55], 0x5c00
	s_waitcnt lgkmcnt(0)
	ds_write_b32 v32, v13 offset:24576
	s_waitcnt lgkmcnt(0)
	s_barrier
	v_mov_b32_e32 v1, s6
	s_and_saveexec_b64 s[6:7], vcc
	s_cbranch_execz .LBB95_145
; %bb.144:
	ds_read_b32 v1, v10 offset:24580
.LBB95_145:
	s_or_b64 exec, exec, s[6:7]
	v_lshl_add_u64 v[16:17], s[52:53], 0, v[10:11]
	v_add_co_u32_e32 v20, vcc, s10, v16
	s_waitcnt lgkmcnt(0)
	s_nop 0
	v_addc_co_u32_e32 v21, vcc, 0, v17, vcc
	v_add_co_u32_e32 v24, vcc, s9, v16
	s_barrier
	s_nop 0
	v_addc_co_u32_e32 v25, vcc, 0, v17, vcc
	v_add_co_u32_e32 v28, vcc, s8, v16
	s_nop 1
	v_addc_co_u32_e32 v29, vcc, 0, v17, vcc
	v_add_co_u32_e32 v32, vcc, s5, v16
	global_load_dword v11, v10, s[52:53]
	global_load_dword v36, v10, s[52:53] offset:1024
	global_load_dword v37, v10, s[52:53] offset:2048
	;; [unrolled: 1-line block ×3, first 2 shown]
	global_load_dword v41, v[24:25], off offset:-4096
	global_load_dword v42, v[24:25], off
	global_load_dword v43, v[24:25], off offset:1024
	v_addc_co_u32_e32 v33, vcc, 0, v17, vcc
	v_add_co_u32_e32 v16, vcc, s3, v16
	global_load_dword v44, v[20:21], off offset:1024
	global_load_dword v45, v[20:21], off offset:2048
	;; [unrolled: 1-line block ×8, first 2 shown]
	global_load_dword v52, v[32:33], off offset:-4096
	global_load_dword v53, v[32:33], off
	global_load_dword v54, v[32:33], off offset:1024
	global_load_dword v55, v[32:33], off offset:2048
	;; [unrolled: 1-line block ×3, first 2 shown]
	v_addc_co_u32_e32 v17, vcc, 0, v17, vcc
	global_load_dword v20, v[16:17], off
	global_load_dword v21, v[16:17], off offset:1024
	global_load_dword v24, v[16:17], off offset:2048
	s_mov_b32 s5, 1
	v_cmp_eq_u32_e32 vcc, v13, v14
	v_mov_b32_e32 v13, s76
	s_waitcnt vmcnt(21)
	ds_write2st64_b32 v10, v11, v36 offset1:4
	s_waitcnt vmcnt(19)
	ds_write2st64_b32 v10, v37, v40 offset0:8 offset1:12
	s_waitcnt vmcnt(13)
	ds_write2st64_b32 v10, v45, v46 offset0:24 offset1:28
	ds_write2st64_b32 v10, v41, v44 offset0:16 offset1:20
	;; [unrolled: 1-line block ×3, first 2 shown]
	s_waitcnt vmcnt(8)
	ds_write2st64_b32 v10, v50, v51 offset0:40 offset1:44
	ds_write2st64_b32 v10, v48, v49 offset0:56 offset1:60
	s_waitcnt vmcnt(7)
	ds_write2st64_b32 v10, v52, v47 offset0:48 offset1:52
	s_waitcnt vmcnt(5)
	;; [unrolled: 2-line block ×5, first 2 shown]
	ds_write_b32 v10, v24 offset:22528
	s_waitcnt lgkmcnt(0)
	s_barrier
	ds_read2_b32 v[16:17], v12 offset0:1 offset1:2
	ds_read2_b32 v[20:21], v12 offset0:3 offset1:4
	;; [unrolled: 1-line block ×11, first 2 shown]
	v_mov_b64_e32 v[10:11], s[4:5]
	s_and_saveexec_b64 s[4:5], vcc
	s_cbranch_execz .LBB95_147
; %bb.146:
	ds_read_b32 v13, v12
	v_mov_b64_e32 v[10:11], 0
.LBB95_147:
	s_or_b64 exec, exec, s[4:5]
	v_mov_b32_e32 v56, s76
	v_cmp_eq_u32_e32 vcc, v14, v15
	s_waitcnt lgkmcnt(0)
	v_or_b32_e32 v10, v10, v13
	v_cmp_ne_u32_e64 s[8:9], v3, v1
	v_cndmask_b32_e32 v12, v56, v16, vcc
	v_cmp_ne_u32_e32 vcc, v14, v15
	s_mov_b64 s[10:11], -1
                                        ; implicit-def: $sgpr6_sgpr7
	s_nop 0
	v_cndmask_b32_e64 v13, 0, 1, vcc
	v_cmp_eq_u32_e32 vcc, v15, v18
	s_nop 1
	v_cndmask_b32_e32 v14, v56, v17, vcc
	v_cmp_ne_u32_e32 vcc, v15, v18
	s_nop 1
	v_cndmask_b32_e64 v15, 0, 1, vcc
	v_cmp_eq_u32_e32 vcc, v18, v19
	s_nop 1
	v_cndmask_b32_e32 v16, v56, v20, vcc
	v_cmp_ne_u32_e32 vcc, v18, v19
	;; [unrolled: 6-line block ×20, first 2 shown]
	v_cndmask_b32_e64 v2, v55, v56, s[8:9]
	s_nop 0
	v_cndmask_b32_e64 v53, 0, 1, vcc
.LBB95_148:
	v_mov_b64_e32 v[54:55], s[6:7]
	s_and_saveexec_b64 s[4:5], s[10:11]
; %bb.149:
	v_cndmask_b32_e64 v3, 0, 1, s[8:9]
	v_mov_b64_e32 v[54:55], v[2:3]
; %bb.150:
	s_or_b64 exec, exec, s[4:5]
	s_mov_b32 s48, 0
	s_cmp_lg_u32 s2, 0
	v_or_b32_e32 v70, v55, v53
	v_lshrrev_b32_e32 v1, 5, v0
	v_cmp_gt_u32_e32 vcc, 64, v0
	s_barrier
	s_cbranch_scc0 .LBB95_185
; %bb.151:
	s_mov_b32 s49, 1
	v_cmp_gt_u64_e64 s[4:5], s[48:49], v[12:13]
	v_cmp_gt_u64_e64 s[6:7], s[48:49], v[14:15]
	v_cmp_gt_u64_e64 s[8:9], s[48:49], v[16:17]
	v_cndmask_b32_e64 v2, 0, v10, s[4:5]
	v_add_u32_e32 v2, v2, v12
	v_cndmask_b32_e64 v2, 0, v2, s[6:7]
	v_add_u32_e32 v2, v2, v14
	v_cndmask_b32_e64 v2, 0, v2, s[8:9]
	v_add_u32_e32 v2, v2, v16
	v_cmp_gt_u64_e64 s[10:11], s[48:49], v[18:19]
	v_cmp_gt_u64_e64 s[12:13], s[48:49], v[20:21]
	v_cmp_gt_u64_e64 s[14:15], s[48:49], v[22:23]
	v_cndmask_b32_e64 v2, 0, v2, s[10:11]
	v_add_u32_e32 v2, v2, v18
	v_cndmask_b32_e64 v2, 0, v2, s[12:13]
	v_add_u32_e32 v2, v2, v20
	v_cndmask_b32_e64 v2, 0, v2, s[14:15]
	v_add_u32_e32 v2, v2, v22
	;; [unrolled: 9-line block ×7, first 2 shown]
	v_cmp_gt_u64_e64 s[48:49], s[48:49], v[54:55]
	s_nop 1
	v_cndmask_b32_e64 v2, 0, v2, s[48:49]
	v_add_u32_e32 v60, v2, v54
	v_or3_b32 v2, v70, v51, v49
	v_or3_b32 v2, v2, v47, v45
	;; [unrolled: 1-line block ×10, first 2 shown]
	v_and_b32_e32 v2, 1, v2
	v_cmp_eq_u32_e64 s[48:49], 1, v2
	v_add_lshl_u32 v2, v1, v0, 3
	s_nop 0
	v_cndmask_b32_e64 v61, v11, 1, s[48:49]
	ds_write_b32 v2, v60
	ds_write_b8 v2, v61 offset:4
	s_waitcnt lgkmcnt(0)
	s_barrier
	s_and_saveexec_b64 s[68:69], vcc
	s_cbranch_execz .LBB95_163
; %bb.152:
	v_lshlrev_b32_e32 v2, 2, v0
	v_lshrrev_b32_e32 v3, 3, v0
	v_add_lshl_u32 v6, v3, v2, 3
	ds_read2_b32 v[2:3], v6 offset0:2 offset1:4
	ds_read_b64 v[4:5], v6
	ds_read_u8 v9, v6 offset:12
	ds_read_u8 v56, v6 offset:20
	ds_read_b32 v7, v6 offset:24
	ds_read_u8 v57, v6 offset:28
	s_waitcnt lgkmcnt(4)
	v_and_b32_e32 v8, 1, v5
	s_waitcnt lgkmcnt(3)
	v_cmp_eq_u16_e64 s[48:49], 0, v9
	v_and_b32_e32 v9, 1, v9
	s_waitcnt lgkmcnt(2)
	v_cmp_eq_u16_e64 s[50:51], 0, v56
	v_cndmask_b32_e64 v58, 0, v4, s[48:49]
	v_add_u32_e32 v58, v58, v2
	v_cmp_eq_u32_e64 s[54:55], 1, v9
	v_cndmask_b32_e64 v9, 0, v58, s[50:51]
	v_add_u32_e32 v9, v9, v3
	s_waitcnt lgkmcnt(0)
	v_cmp_eq_u16_e64 s[52:53], 0, v57
	v_and_b32_e32 v56, 1, v56
	v_cmp_eq_u32_e64 s[56:57], 1, v56
	v_cndmask_b32_e64 v9, 0, v9, s[52:53]
	v_add_u32_e32 v56, v9, v7
	v_and_b32_e32 v9, 1, v57
	v_cmp_eq_u32_e64 s[58:59], 1, v9
	s_or_b64 s[62:63], s[58:59], s[56:57]
	s_or_b64 s[62:63], s[62:63], s[54:55]
	v_mbcnt_lo_u32_b32 v57, -1, 0
	v_cndmask_b32_e64 v58, v8, 1, s[62:63]
	v_and_b32_e32 v9, 0xffffff00, v5
	v_mbcnt_hi_u32_b32 v57, -1, v57
	v_and_b32_e32 v63, 15, v57
	v_or_b32_sdwa v59, v9, v58 dst_sel:DWORD dst_unused:UNUSED_PAD src0_sel:DWORD src1_sel:WORD_0
	v_mov_b32_dpp v62, v56 row_shr:1 row_mask:0xf bank_mask:0xf
	v_cmp_ne_u32_e64 s[62:63], 0, v63
	v_mov_b32_dpp v64, v59 row_shr:1 row_mask:0xf bank_mask:0xf
	s_and_saveexec_b64 s[70:71], s[62:63]
; %bb.153:
	v_and_b32_e32 v59, 1, v58
	v_and_b32_e32 v64, 1, v64
	v_cmp_eq_u32_e64 s[62:63], 1, v59
	s_nop 1
	v_cndmask_b32_e64 v64, v64, 1, s[62:63]
	v_cmp_eq_u16_e64 s[62:63], 0, v58
	v_or_b32_sdwa v59, v9, v64 dst_sel:DWORD dst_unused:UNUSED_PAD src0_sel:DWORD src1_sel:WORD_0
	s_nop 0
	v_cndmask_b32_e64 v58, 0, v62, s[62:63]
	v_add_u32_e32 v56, v58, v56
	v_mov_b32_e32 v58, v64
; %bb.154:
	s_or_b64 exec, exec, s[70:71]
	v_mov_b32_dpp v64, v56 row_shr:2 row_mask:0xf bank_mask:0xf
	v_mov_b32_dpp v65, v59 row_shr:2 row_mask:0xf bank_mask:0xf
	v_cmp_lt_u32_e64 s[62:63], 1, v63
	v_mov_b32_e32 v62, v59
	s_and_saveexec_b64 s[70:71], s[62:63]
; %bb.155:
	v_and_b32_e32 v58, 1, v59
	v_and_b32_e32 v62, 1, v65
	v_cmp_eq_u32_e64 s[62:63], 1, v58
	s_nop 1
	v_cndmask_b32_e64 v58, v62, 1, s[62:63]
	v_mov_b32_e32 v62, 0
	v_cmp_eq_u16_sdwa s[62:63], v59, v62 src0_sel:BYTE_0 src1_sel:DWORD
	v_mov_b32_e32 v62, v58
	s_nop 0
	v_cndmask_b32_e64 v59, 0, v64, s[62:63]
	v_add_u32_e32 v56, v59, v56
	v_or_b32_sdwa v59, v9, v58 dst_sel:DWORD dst_unused:UNUSED_PAD src0_sel:DWORD src1_sel:WORD_0
; %bb.156:
	s_or_b64 exec, exec, s[70:71]
	v_mov_b32_dpp v64, v56 row_shr:4 row_mask:0xf bank_mask:0xf
	v_mov_b32_dpp v65, v59 row_shr:4 row_mask:0xf bank_mask:0xf
	v_cmp_lt_u32_e64 s[62:63], 3, v63
	s_and_saveexec_b64 s[70:71], s[62:63]
; %bb.157:
	v_and_b32_e32 v58, 1, v62
	v_and_b32_e32 v59, 1, v65
	v_cmp_eq_u32_e64 s[62:63], 1, v58
	s_nop 1
	v_cndmask_b32_e64 v58, v59, 1, s[62:63]
	v_mov_b32_e32 v59, 0
	v_cmp_eq_u16_sdwa s[62:63], v62, v59 src0_sel:BYTE_0 src1_sel:DWORD
	v_mov_b32_e32 v62, v58
	s_nop 0
	v_cndmask_b32_e64 v59, 0, v64, s[62:63]
	v_add_u32_e32 v56, v59, v56
	v_or_b32_sdwa v59, v9, v58 dst_sel:DWORD dst_unused:UNUSED_PAD src0_sel:DWORD src1_sel:WORD_0
; %bb.158:
	s_or_b64 exec, exec, s[70:71]
	v_mov_b32_dpp v64, v56 row_shr:8 row_mask:0xf bank_mask:0xf
	v_mov_b32_dpp v65, v59 row_shr:8 row_mask:0xf bank_mask:0xf
	v_cmp_lt_u32_e64 s[62:63], 7, v63
	s_and_saveexec_b64 s[70:71], s[62:63]
; %bb.159:
	v_and_b32_e32 v58, 1, v62
	v_and_b32_e32 v59, 1, v65
	v_cmp_eq_u32_e64 s[62:63], 1, v58
	s_nop 1
	v_cndmask_b32_e64 v58, v59, 1, s[62:63]
	v_mov_b32_e32 v59, 0
	v_cmp_eq_u16_sdwa s[62:63], v62, v59 src0_sel:BYTE_0 src1_sel:DWORD
	v_mov_b32_e32 v62, v58
	s_nop 0
	v_cndmask_b32_e64 v59, 0, v64, s[62:63]
	v_add_u32_e32 v56, v59, v56
	v_or_b32_sdwa v59, v9, v58 dst_sel:DWORD dst_unused:UNUSED_PAD src0_sel:DWORD src1_sel:WORD_0
; %bb.160:
	s_or_b64 exec, exec, s[70:71]
	v_and_b32_e32 v65, 16, v57
	v_mov_b32_dpp v63, v56 row_bcast:15 row_mask:0xf bank_mask:0xf
	v_mov_b32_dpp v64, v59 row_bcast:15 row_mask:0xf bank_mask:0xf
	v_cmp_ne_u32_e64 s[62:63], 0, v65
	s_and_saveexec_b64 s[70:71], s[62:63]
; %bb.161:
	v_and_b32_e32 v58, 1, v62
	v_and_b32_e32 v59, 1, v64
	v_cmp_eq_u32_e64 s[62:63], 1, v58
	s_nop 1
	v_cndmask_b32_e64 v58, v59, 1, s[62:63]
	v_mov_b32_e32 v59, 0
	v_cmp_eq_u16_sdwa s[62:63], v62, v59 src0_sel:BYTE_0 src1_sel:DWORD
	v_mov_b32_e32 v62, v58
	s_nop 0
	v_cndmask_b32_e64 v59, 0, v63, s[62:63]
	v_add_u32_e32 v56, v59, v56
	v_or_b32_sdwa v59, v9, v58 dst_sel:DWORD dst_unused:UNUSED_PAD src0_sel:DWORD src1_sel:WORD_0
; %bb.162:
	s_or_b64 exec, exec, s[70:71]
	s_nop 0
	v_mov_b32_dpp v59, v59 row_bcast:31 row_mask:0xf bank_mask:0xf
	v_and_b32_e32 v64, 1, v62
	v_and_b32_e32 v59, 1, v59
	v_cmp_eq_u32_e64 s[62:63], 1, v64
	v_mov_b32_e32 v64, 0
	v_cmp_eq_u16_sdwa s[70:71], v62, v64 src0_sel:BYTE_0 src1_sel:DWORD
	v_cndmask_b32_e64 v59, v59, 1, s[62:63]
	v_cmp_lt_u32_e64 s[62:63], 31, v57
	v_mov_b32_dpp v63, v56 row_bcast:31 row_mask:0xf bank_mask:0xf
	v_and_b32_e32 v62, 64, v57
	v_cndmask_b32_e64 v58, v58, v59, s[62:63]
	s_and_b64 s[62:63], s[62:63], s[70:71]
	v_cndmask_b32_e64 v59, 0, v63, s[62:63]
	v_add_u32_e32 v56, v59, v56
	v_add_u32_e32 v59, -1, v57
	v_cmp_lt_i32_e64 s[62:63], v59, v62
	v_or_b32_sdwa v9, v9, v58 dst_sel:DWORD dst_unused:UNUSED_PAD src0_sel:DWORD src1_sel:WORD_0
	s_nop 0
	v_cndmask_b32_e64 v57, v59, v57, s[62:63]
	v_lshlrev_b32_e32 v57, 2, v57
	ds_bpermute_b32 v56, v57, v56
	ds_bpermute_b32 v9, v57, v9
	v_cmp_eq_u16_sdwa s[62:63], v5, v64 src0_sel:BYTE_0 src1_sel:DWORD
	s_waitcnt lgkmcnt(1)
	s_nop 0
	v_cndmask_b32_e64 v5, 0, v56, s[62:63]
	v_add_u32_e32 v4, v5, v4
	s_waitcnt lgkmcnt(0)
	v_and_b32_e32 v5, 1, v9
	v_cmp_eq_u32_e64 s[62:63], 1, v8
	s_nop 1
	v_cndmask_b32_e64 v5, v5, 1, s[62:63]
	v_cmp_eq_u32_e64 s[62:63], 0, v0
	s_nop 1
	v_cndmask_b32_e64 v4, v4, v60, s[62:63]
	v_cndmask_b32_e64 v8, 0, v4, s[48:49]
	;; [unrolled: 1-line block ×3, first 2 shown]
	v_add_u32_e32 v2, v8, v2
	ds_write_b8 v6, v5 offset:4
	v_cndmask_b32_e64 v5, v5, 1, s[54:55]
	ds_write2_b32 v6, v4, v2 offset1:2
	ds_write_b8 v6, v5 offset:12
	v_cndmask_b32_e64 v2, 0, v2, s[50:51]
	v_add_u32_e32 v2, v2, v3
	v_cndmask_b32_e64 v4, 0, v2, s[52:53]
	v_cndmask_b32_e64 v3, v5, 1, s[56:57]
	v_add_u32_e32 v4, v4, v7
	ds_write_b8 v6, v3 offset:20
	v_cndmask_b32_e64 v3, v3, 1, s[58:59]
	ds_write2_b32 v6, v2, v4 offset0:4 offset1:6
	ds_write_b8 v6, v3 offset:28
.LBB95_163:
	s_or_b64 exec, exec, s[68:69]
	v_cmp_eq_u32_e64 s[48:49], 0, v0
	v_cmp_ne_u32_e64 s[50:51], 0, v0
	s_waitcnt lgkmcnt(0)
	s_barrier
	s_and_saveexec_b64 s[52:53], s[50:51]
	s_cbranch_execz .LBB95_165
; %bb.164:
	v_add_u32_e32 v2, -1, v0
	v_lshrrev_b32_e32 v3, 5, v2
	v_add_lshl_u32 v2, v3, v2, 3
	ds_read_b32 v60, v2
	ds_read_u8 v61, v2 offset:4
.LBB95_165:
	s_or_b64 exec, exec, s[52:53]
	s_and_saveexec_b64 s[54:55], vcc
	s_cbranch_execz .LBB95_184
; %bb.166:
	v_mov_b32_e32 v5, 0
	ds_read_b64 v[2:3], v5 offset:2096
	v_mbcnt_lo_u32_b32 v4, -1, 0
	v_mbcnt_hi_u32_b32 v72, -1, v4
	s_mov_b32 s57, 0
	v_cmp_eq_u32_e64 s[50:51], 0, v72
	s_waitcnt lgkmcnt(0)
	v_readfirstlane_b32 s3, v3
	s_and_saveexec_b64 s[52:53], s[50:51]
	s_cbranch_execz .LBB95_168
; %bb.167:
	s_add_i32 s56, s2, 64
	s_lshl_b64 s[58:59], s[56:57], 4
	s_add_u32 s58, s64, s58
	s_addc_u32 s59, s65, s59
	s_and_b32 s63, s3, 0xff000000
	s_mov_b32 s62, s57
	s_and_b32 s69, s3, 0xff0000
	s_mov_b32 s68, s57
	s_or_b64 s[62:63], s[68:69], s[62:63]
	s_and_b32 s69, s3, 0xff00
	s_or_b64 s[62:63], s[62:63], s[68:69]
	s_and_b32 s69, s3, 0xff
	s_or_b64 s[56:57], s[62:63], s[68:69]
	v_mov_b32_e32 v3, s57
	v_mov_b32_e32 v4, 1
	v_mov_b64_e32 v[6:7], s[58:59]
	;;#ASMSTART
	global_store_dwordx4 v[6:7], v[2:5] off sc1	
s_waitcnt vmcnt(0)
	;;#ASMEND
.LBB95_168:
	s_or_b64 exec, exec, s[52:53]
	v_xad_u32 v56, v72, -1, s2
	v_add_u32_e32 v4, 64, v56
	v_lshl_add_u64 v[58:59], v[4:5], 4, s[64:65]
	;;#ASMSTART
	global_load_dwordx4 v[6:9], v[58:59] off sc1	
s_waitcnt vmcnt(0)
	;;#ASMEND
	s_nop 0
	v_cmp_eq_u16_sdwa s[56:57], v8, v5 src0_sel:BYTE_0 src1_sel:DWORD
	s_and_saveexec_b64 s[52:53], s[56:57]
	s_cbranch_execz .LBB95_172
; %bb.169:
	s_mov_b64 s[56:57], 0
	v_mov_b32_e32 v3, 0
.LBB95_170:                             ; =>This Inner Loop Header: Depth=1
	;;#ASMSTART
	global_load_dwordx4 v[6:9], v[58:59] off sc1	
s_waitcnt vmcnt(0)
	;;#ASMEND
	s_nop 0
	v_cmp_ne_u16_sdwa s[58:59], v8, v3 src0_sel:BYTE_0 src1_sel:DWORD
	s_or_b64 s[56:57], s[58:59], s[56:57]
	s_andn2_b64 exec, exec, s[56:57]
	s_cbranch_execnz .LBB95_170
; %bb.171:
	s_or_b64 exec, exec, s[56:57]
.LBB95_172:
	s_or_b64 exec, exec, s[52:53]
	v_mov_b32_e32 v3, 2
	v_cmp_eq_u16_sdwa s[52:53], v8, v3 src0_sel:BYTE_0 src1_sel:DWORD
	v_lshlrev_b64 v[4:5], v72, -1
	v_and_b32_e32 v74, 63, v72
	v_and_b32_e32 v9, s53, v5
	v_or_b32_e32 v9, 0x80000000, v9
	v_and_b32_e32 v57, s52, v4
	v_ffbl_b32_e32 v9, v9
	v_add_u32_e32 v9, 32, v9
	v_ffbl_b32_e32 v57, v57
	v_cmp_ne_u32_e32 vcc, 63, v74
	v_min_u32_e32 v9, v57, v9
	v_and_b32_e32 v59, 0xff, v7
	v_addc_co_u32_e32 v57, vcc, 0, v72, vcc
	v_lshlrev_b32_e32 v62, 2, v57
	ds_bpermute_b32 v57, v62, v59
	ds_bpermute_b32 v64, v62, v6
	s_mov_b32 s56, 0
	v_and_b32_e32 v7, 1, v7
	v_mov_b32_e32 v58, v6
	s_mov_b32 s57, 1
	s_waitcnt lgkmcnt(1)
	v_and_b32_e32 v57, 1, v57
	v_cmp_eq_u32_e32 vcc, 1, v7
	v_add_u32_e32 v63, 1, v72
	v_add_u32_e32 v65, 2, v72
	v_cndmask_b32_e64 v7, v57, 1, vcc
	v_cmp_gt_u64_e32 vcc, s[56:57], v[58:59]
	v_and_b32_e32 v57, 0xffff, v7
	v_add_u32_e32 v67, 4, v72
	s_waitcnt lgkmcnt(0)
	v_cndmask_b32_e32 v58, 0, v64, vcc
	v_cmp_gt_u32_e32 vcc, v63, v9
	v_add_u32_e32 v69, 8, v72
	v_add_u32_e32 v73, 16, v72
	v_cndmask_b32_e32 v7, v7, v59, vcc
	v_cndmask_b32_e64 v58, v58, 0, vcc
	v_cndmask_b32_e32 v57, v57, v59, vcc
	v_cmp_gt_u32_e32 vcc, 62, v74
	v_add_u32_e32 v6, v58, v6
	v_and_b32_e32 v66, 1, v7
	v_cndmask_b32_e64 v59, 0, 1, vcc
	v_lshlrev_b32_e32 v59, 1, v59
	v_add_lshl_u32 v64, v59, v72, 2
	ds_bpermute_b32 v59, v64, v57
	ds_bpermute_b32 v58, v64, v6
	v_cmp_eq_u32_e32 vcc, 1, v66
	v_cmp_gt_u32_e64 s[52:53], 32, v74
	s_waitcnt lgkmcnt(1)
	v_and_b32_e32 v59, 1, v59
	v_cndmask_b32_e64 v59, v59, 1, vcc
	v_cmp_eq_u16_e32 vcc, 0, v7
	v_and_b32_e32 v66, 0xffff, v59
	s_waitcnt lgkmcnt(0)
	v_cndmask_b32_e32 v58, 0, v58, vcc
	v_cmp_gt_u32_e32 vcc, v65, v9
	s_nop 1
	v_cndmask_b32_e32 v7, v59, v7, vcc
	v_cndmask_b32_e64 v58, v58, 0, vcc
	v_cndmask_b32_e32 v57, v66, v57, vcc
	v_cmp_gt_u32_e32 vcc, 60, v74
	v_add_u32_e32 v6, v58, v6
	v_and_b32_e32 v68, 1, v7
	v_cndmask_b32_e64 v59, 0, 1, vcc
	v_lshlrev_b32_e32 v59, 2, v59
	v_add_lshl_u32 v66, v59, v72, 2
	ds_bpermute_b32 v59, v66, v57
	ds_bpermute_b32 v58, v66, v6
	v_cmp_eq_u32_e32 vcc, 1, v68
	s_waitcnt lgkmcnt(1)
	v_and_b32_e32 v59, 1, v59
	v_cndmask_b32_e64 v59, v59, 1, vcc
	v_cmp_eq_u16_e32 vcc, 0, v7
	v_and_b32_e32 v68, 0xffff, v59
	s_waitcnt lgkmcnt(0)
	v_cndmask_b32_e32 v58, 0, v58, vcc
	v_cmp_gt_u32_e32 vcc, v67, v9
	s_nop 1
	v_cndmask_b32_e32 v7, v59, v7, vcc
	v_cndmask_b32_e64 v58, v58, 0, vcc
	v_cndmask_b32_e32 v57, v68, v57, vcc
	v_cmp_gt_u32_e32 vcc, 56, v74
	v_add_u32_e32 v6, v58, v6
	v_and_b32_e32 v71, 1, v7
	v_cndmask_b32_e64 v59, 0, 1, vcc
	v_lshlrev_b32_e32 v59, 3, v59
	v_add_lshl_u32 v68, v59, v72, 2
	ds_bpermute_b32 v59, v68, v57
	ds_bpermute_b32 v58, v68, v6
	v_cmp_eq_u32_e32 vcc, 1, v71
	;; [unrolled: 21-line block ×3, first 2 shown]
	s_waitcnt lgkmcnt(1)
	v_and_b32_e32 v57, 1, v57
	v_cndmask_b32_e64 v75, v57, 1, vcc
	v_mov_b32_e32 v57, 0
	v_cmp_eq_u16_sdwa vcc, v7, v57 src0_sel:BYTE_0 src1_sel:DWORD
	v_and_b32_e32 v76, 0xffff, v75
	s_waitcnt lgkmcnt(0)
	v_cndmask_b32_e32 v58, 0, v58, vcc
	v_cmp_gt_u32_e32 vcc, v73, v9
	s_nop 1
	v_cndmask_b32_e64 v58, v58, 0, vcc
	v_add_u32_e32 v6, v58, v6
	v_cndmask_b32_e64 v58, 0, 1, s[52:53]
	v_lshlrev_b32_e32 v58, 5, v58
	v_cndmask_b32_e32 v7, v75, v7, vcc
	v_add_lshl_u32 v75, v58, v72, 2
	v_cndmask_b32_e32 v59, v76, v59, vcc
	ds_bpermute_b32 v58, v75, v6
	ds_bpermute_b32 v59, v75, v59
	v_add_u32_e32 v76, 32, v72
	v_cmp_eq_u16_sdwa vcc, v7, v57 src0_sel:BYTE_0 src1_sel:DWORD
	v_and_b32_e32 v72, 1, v7
	s_waitcnt lgkmcnt(0)
	v_and_b32_e32 v59, 1, v59
	v_cndmask_b32_e32 v58, 0, v58, vcc
	v_cmp_eq_u32_e32 vcc, 1, v72
	s_nop 1
	v_cndmask_b32_e64 v59, v59, 1, vcc
	v_cmp_gt_u32_e32 vcc, v76, v9
	s_nop 1
	v_cndmask_b32_e64 v9, v58, 0, vcc
	v_cndmask_b32_e32 v7, v59, v7, vcc
	v_add_u32_e32 v6, v9, v6
	s_branch .LBB95_174
.LBB95_173:                             ;   in Loop: Header=BB95_174 Depth=1
	s_or_b64 exec, exec, s[52:53]
	v_cmp_eq_u16_sdwa s[52:53], v8, v3 src0_sel:BYTE_0 src1_sel:DWORD
	v_and_b32_e32 v59, 0xff, v7
	ds_bpermute_b32 v78, v62, v59
	v_and_b32_e32 v9, s53, v5
	v_or_b32_e32 v9, 0x80000000, v9
	v_and_b32_e32 v77, s52, v4
	v_ffbl_b32_e32 v9, v9
	v_add_u32_e32 v9, 32, v9
	v_ffbl_b32_e32 v77, v77
	v_min_u32_e32 v9, v77, v9
	ds_bpermute_b32 v77, v62, v6
	v_and_b32_e32 v7, 1, v7
	v_mov_b32_e32 v58, v6
	s_waitcnt lgkmcnt(1)
	v_and_b32_e32 v78, 1, v78
	v_cmp_eq_u32_e32 vcc, 1, v7
	v_subrev_u32_e32 v56, 64, v56
	s_nop 0
	v_cndmask_b32_e64 v7, v78, 1, vcc
	v_cmp_gt_u64_e32 vcc, s[56:57], v[58:59]
	v_and_b32_e32 v78, 0xffff, v7
	s_waitcnt lgkmcnt(0)
	v_cndmask_b32_e32 v58, 0, v77, vcc
	v_cmp_gt_u32_e32 vcc, v63, v9
	s_nop 1
	v_cndmask_b32_e32 v7, v7, v59, vcc
	v_cndmask_b32_e32 v59, v78, v59, vcc
	ds_bpermute_b32 v77, v64, v59
	v_cndmask_b32_e64 v58, v58, 0, vcc
	v_add_u32_e32 v6, v58, v6
	ds_bpermute_b32 v58, v64, v6
	v_and_b32_e32 v78, 1, v7
	s_waitcnt lgkmcnt(1)
	v_and_b32_e32 v77, 1, v77
	v_cmp_eq_u32_e32 vcc, 1, v78
	s_nop 1
	v_cndmask_b32_e64 v77, v77, 1, vcc
	v_cmp_eq_u16_e32 vcc, 0, v7
	v_and_b32_e32 v78, 0xffff, v77
	s_waitcnt lgkmcnt(0)
	v_cndmask_b32_e32 v58, 0, v58, vcc
	v_cmp_gt_u32_e32 vcc, v65, v9
	s_nop 1
	v_cndmask_b32_e32 v59, v78, v59, vcc
	v_cndmask_b32_e32 v7, v77, v7, vcc
	ds_bpermute_b32 v77, v66, v59
	v_cndmask_b32_e64 v58, v58, 0, vcc
	v_add_u32_e32 v6, v58, v6
	ds_bpermute_b32 v58, v66, v6
	v_and_b32_e32 v78, 1, v7
	s_waitcnt lgkmcnt(1)
	v_and_b32_e32 v77, 1, v77
	v_cmp_eq_u32_e32 vcc, 1, v78
	s_nop 1
	v_cndmask_b32_e64 v77, v77, 1, vcc
	v_cmp_eq_u16_e32 vcc, 0, v7
	;; [unrolled: 18-line block ×3, first 2 shown]
	v_and_b32_e32 v78, 0xffff, v77
	s_waitcnt lgkmcnt(0)
	v_cndmask_b32_e32 v58, 0, v58, vcc
	v_cmp_gt_u32_e32 vcc, v69, v9
	s_nop 1
	v_cndmask_b32_e32 v59, v78, v59, vcc
	v_cndmask_b32_e32 v7, v77, v7, vcc
	ds_bpermute_b32 v77, v71, v59
	v_cndmask_b32_e64 v58, v58, 0, vcc
	v_add_u32_e32 v6, v58, v6
	ds_bpermute_b32 v58, v71, v6
	v_and_b32_e32 v78, 1, v7
	s_waitcnt lgkmcnt(1)
	v_and_b32_e32 v77, 1, v77
	v_cmp_eq_u32_e32 vcc, 1, v78
	s_nop 1
	v_cndmask_b32_e64 v77, v77, 1, vcc
	v_cmp_eq_u16_sdwa vcc, v7, v57 src0_sel:BYTE_0 src1_sel:DWORD
	s_waitcnt lgkmcnt(0)
	s_nop 0
	v_cndmask_b32_e32 v58, 0, v58, vcc
	v_cmp_gt_u32_e32 vcc, v73, v9
	s_nop 1
	v_cndmask_b32_e64 v58, v58, 0, vcc
	v_cndmask_b32_e32 v7, v77, v7, vcc
	v_add_u32_e32 v6, v58, v6
	v_and_b32_e32 v77, 0xffff, v77
	ds_bpermute_b32 v58, v75, v6
	v_cndmask_b32_e32 v59, v77, v59, vcc
	ds_bpermute_b32 v59, v75, v59
	v_cmp_eq_u16_sdwa vcc, v7, v57 src0_sel:BYTE_0 src1_sel:DWORD
	v_and_b32_e32 v77, 1, v7
	s_waitcnt lgkmcnt(1)
	v_cndmask_b32_e32 v58, 0, v58, vcc
	v_cmp_eq_u32_e32 vcc, 1, v77
	s_waitcnt lgkmcnt(0)
	s_nop 0
	v_cndmask_b32_e64 v59, v59, 1, vcc
	v_cmp_gt_u32_e32 vcc, v76, v9
	s_nop 1
	v_cndmask_b32_e64 v9, v58, 0, vcc
	v_cndmask_b32_e32 v7, v59, v7, vcc
	v_add_u32_e32 v6, v9, v6
	v_cmp_eq_u16_sdwa vcc, v72, v57 src0_sel:BYTE_0 src1_sel:DWORD
	v_and_b32_e32 v9, 1, v72
	v_and_b32_e32 v7, 1, v7
	v_cndmask_b32_e32 v6, 0, v6, vcc
	v_cmp_eq_u32_e32 vcc, 1, v9
	v_add_u32_e32 v6, v6, v74
	s_nop 0
	v_cndmask_b32_e64 v7, v7, 1, vcc
.LBB95_174:                             ; =>This Loop Header: Depth=1
                                        ;     Child Loop BB95_177 Depth 2
	v_cmp_ne_u16_sdwa s[52:53], v8, v3 src0_sel:BYTE_0 src1_sel:DWORD
	v_mov_b32_e32 v72, v7
	v_mov_b32_e32 v74, v6
	v_cndmask_b32_e64 v7, 0, 1, s[52:53]
	;;#ASMSTART
	;;#ASMEND
	s_nop 0
	v_cmp_ne_u32_e32 vcc, 0, v7
	s_cmp_lg_u64 vcc, exec
	s_cbranch_scc1 .LBB95_179
; %bb.175:                              ;   in Loop: Header=BB95_174 Depth=1
	v_lshl_add_u64 v[58:59], v[56:57], 4, s[64:65]
	;;#ASMSTART
	global_load_dwordx4 v[6:9], v[58:59] off sc1	
s_waitcnt vmcnt(0)
	;;#ASMEND
	s_nop 0
	v_cmp_eq_u16_sdwa s[58:59], v8, v57 src0_sel:BYTE_0 src1_sel:DWORD
	s_and_saveexec_b64 s[52:53], s[58:59]
	s_cbranch_execz .LBB95_173
; %bb.176:                              ;   in Loop: Header=BB95_174 Depth=1
	s_mov_b64 s[58:59], 0
.LBB95_177:                             ;   Parent Loop BB95_174 Depth=1
                                        ; =>  This Inner Loop Header: Depth=2
	;;#ASMSTART
	global_load_dwordx4 v[6:9], v[58:59] off sc1	
s_waitcnt vmcnt(0)
	;;#ASMEND
	s_nop 0
	v_cmp_ne_u16_sdwa s[62:63], v8, v57 src0_sel:BYTE_0 src1_sel:DWORD
	s_or_b64 s[58:59], s[62:63], s[58:59]
	s_andn2_b64 exec, exec, s[58:59]
	s_cbranch_execnz .LBB95_177
; %bb.178:                              ;   in Loop: Header=BB95_174 Depth=1
	s_or_b64 exec, exec, s[58:59]
	s_branch .LBB95_173
.LBB95_179:                             ;   in Loop: Header=BB95_174 Depth=1
                                        ; implicit-def: $vgpr7
                                        ; implicit-def: $vgpr6
                                        ; implicit-def: $vgpr8
	s_cbranch_execz .LBB95_174
; %bb.180:
	s_and_saveexec_b64 s[52:53], s[50:51]
	s_cbranch_execz .LBB95_182
; %bb.181:
	s_and_b32 s50, s3, 0xff
	s_cmp_eq_u32 s50, 0
	s_cselect_b64 vcc, -1, 0
	s_bitcmp1_b32 s3, 0
	s_mov_b32 s51, 0
	s_cselect_b64 s[56:57], -1, 0
	s_add_i32 s50, s2, 64
	s_lshl_b64 s[2:3], s[50:51], 4
	v_cndmask_b32_e32 v3, 0, v74, vcc
	s_add_u32 s2, s64, s2
	v_add_u32_e32 v2, v3, v2
	v_and_b32_e32 v3, 1, v72
	s_addc_u32 s3, s65, s3
	v_mov_b32_e32 v5, 0
	v_cndmask_b32_e64 v3, v3, 1, s[56:57]
	v_mov_b32_e32 v4, 2
	v_mov_b64_e32 v[6:7], s[2:3]
	;;#ASMSTART
	global_store_dwordx4 v[6:7], v[2:5] off sc1	
s_waitcnt vmcnt(0)
	;;#ASMEND
.LBB95_182:
	s_or_b64 exec, exec, s[52:53]
	s_and_b64 exec, exec, s[48:49]
	s_cbranch_execz .LBB95_184
; %bb.183:
	v_mov_b32_e32 v2, 0
	ds_write_b32 v2, v74
	ds_write_b8 v2, v72 offset:4
.LBB95_184:
	s_or_b64 exec, exec, s[54:55]
	v_mov_b32_e32 v4, 0
	s_waitcnt lgkmcnt(0)
	s_barrier
	ds_read_b32 v2, v4
	v_cmp_eq_u16_sdwa vcc, v61, v4 src0_sel:BYTE_0 src1_sel:DWORD
	v_and_b32_e32 v5, 0xff, v11
	s_waitcnt lgkmcnt(0)
	v_cndmask_b32_e32 v3, 0, v2, vcc
	v_add_u32_e32 v3, v3, v60
	v_cndmask_b32_e64 v2, v3, v2, s[48:49]
	v_cmp_eq_u64_e32 vcc, 0, v[4:5]
	s_nop 1
	v_cndmask_b32_e32 v3, 0, v2, vcc
	v_add_u32_e32 v3, v3, v10
	v_cndmask_b32_e64 v4, 0, v3, s[4:5]
	v_add_u32_e32 v4, v4, v12
	v_cndmask_b32_e64 v5, 0, v4, s[6:7]
	v_add_u32_e32 v5, v5, v14
	v_cndmask_b32_e64 v6, 0, v5, s[8:9]
	v_add_u32_e32 v6, v6, v16
	v_cndmask_b32_e64 v7, 0, v6, s[10:11]
	v_add_u32_e32 v7, v7, v18
	v_cndmask_b32_e64 v8, 0, v7, s[12:13]
	v_add_u32_e32 v8, v8, v20
	v_cndmask_b32_e64 v9, 0, v8, s[14:15]
	v_add_u32_e32 v9, v9, v22
	v_cndmask_b32_e64 v56, 0, v9, s[16:17]
	v_add_u32_e32 v56, v56, v24
	v_cndmask_b32_e64 v57, 0, v56, s[18:19]
	v_add_u32_e32 v57, v57, v26
	v_cndmask_b32_e64 v58, 0, v57, s[20:21]
	v_add_u32_e32 v58, v58, v28
	v_cndmask_b32_e64 v59, 0, v58, s[22:23]
	v_add_u32_e32 v59, v59, v30
	v_cndmask_b32_e64 v60, 0, v59, s[24:25]
	v_add_u32_e32 v60, v60, v32
	v_cndmask_b32_e64 v61, 0, v60, s[26:27]
	v_add_u32_e32 v61, v61, v34
	v_cndmask_b32_e64 v62, 0, v61, s[28:29]
	v_add_u32_e32 v62, v62, v36
	v_cndmask_b32_e64 v63, 0, v62, s[30:31]
	v_add_u32_e32 v63, v63, v38
	v_cndmask_b32_e64 v64, 0, v63, s[34:35]
	v_add_u32_e32 v64, v64, v40
	v_cndmask_b32_e64 v65, 0, v64, s[36:37]
	v_add_u32_e32 v65, v65, v42
	v_cndmask_b32_e64 v66, 0, v65, s[38:39]
	v_add_u32_e32 v66, v66, v44
	v_cndmask_b32_e64 v67, 0, v66, s[40:41]
	v_add_u32_e32 v67, v67, v46
	v_cndmask_b32_e64 v68, 0, v67, s[42:43]
	v_add_u32_e32 v68, v68, v48
	v_cndmask_b32_e64 v69, 0, v68, s[44:45]
	v_add_u32_e32 v69, v69, v50
	v_cndmask_b32_e64 v71, 0, v69, s[46:47]
	v_add_u32_e32 v71, v71, v52
	s_branch .LBB95_205
.LBB95_185:
                                        ; implicit-def: $vgpr71
                                        ; implicit-def: $vgpr68_vgpr69
                                        ; implicit-def: $vgpr66_vgpr67
                                        ; implicit-def: $vgpr64_vgpr65
                                        ; implicit-def: $vgpr62_vgpr63
                                        ; implicit-def: $vgpr60_vgpr61
                                        ; implicit-def: $vgpr58_vgpr59
                                        ; implicit-def: $vgpr56_vgpr57
                                        ; implicit-def: $vgpr8_vgpr9
                                        ; implicit-def: $vgpr6_vgpr7
                                        ; implicit-def: $vgpr4_vgpr5
                                        ; implicit-def: $vgpr2_vgpr3
	s_cbranch_execz .LBB95_205
; %bb.186:
	s_cmp_eq_u64 s[74:75], 0
	s_cbranch_scc1 .LBB95_188
; %bb.187:
	s_load_dword s76, s[74:75], 0x0
.LBB95_188:
	s_mov_b32 s2, 0
	s_mov_b32 s3, 1
	v_cmp_gt_u64_e32 vcc, s[2:3], v[12:13]
	v_cmp_gt_u64_e64 s[4:5], s[2:3], v[14:15]
	v_cmp_gt_u64_e64 s[6:7], s[2:3], v[16:17]
	v_cndmask_b32_e32 v2, 0, v10, vcc
	v_add_u32_e32 v2, v2, v12
	v_cndmask_b32_e64 v2, 0, v2, s[4:5]
	v_add_u32_e32 v2, v2, v14
	v_cndmask_b32_e64 v2, 0, v2, s[6:7]
	v_add_u32_e32 v2, v2, v16
	v_cmp_gt_u64_e64 s[8:9], s[2:3], v[18:19]
	v_cmp_gt_u64_e64 s[10:11], s[2:3], v[20:21]
	v_cmp_gt_u64_e64 s[12:13], s[2:3], v[22:23]
	v_cndmask_b32_e64 v2, 0, v2, s[8:9]
	v_add_u32_e32 v2, v2, v18
	v_cndmask_b32_e64 v2, 0, v2, s[10:11]
	v_add_u32_e32 v2, v2, v20
	v_cndmask_b32_e64 v2, 0, v2, s[12:13]
	v_add_u32_e32 v2, v2, v22
	v_cmp_gt_u64_e64 s[14:15], s[2:3], v[24:25]
	v_cmp_gt_u64_e64 s[16:17], s[2:3], v[26:27]
	v_cmp_gt_u64_e64 s[18:19], s[2:3], v[28:29]
	v_cndmask_b32_e64 v2, 0, v2, s[14:15]
	;; [unrolled: 9-line block ×6, first 2 shown]
	v_add_u32_e32 v2, v2, v48
	v_cndmask_b32_e64 v2, 0, v2, s[42:43]
	v_add_u32_e32 v2, v2, v50
	v_cndmask_b32_e64 v2, 0, v2, s[44:45]
	v_add_u32_e32 v2, v2, v52
	v_cmp_gt_u64_e64 s[2:3], s[2:3], v[54:55]
	v_add_lshl_u32 v1, v1, v0, 3
	s_nop 0
	v_cndmask_b32_e64 v2, 0, v2, s[2:3]
	v_add_u32_e32 v6, v2, v54
	v_or3_b32 v2, v70, v51, v49
	v_or3_b32 v2, v2, v47, v45
	;; [unrolled: 1-line block ×10, first 2 shown]
	v_and_b32_e32 v2, 1, v2
	v_cmp_eq_u32_e64 s[2:3], 1, v2
	s_nop 1
	v_cndmask_b32_e64 v7, v11, 1, s[2:3]
	v_cmp_gt_u32_e64 s[2:3], 64, v0
	ds_write_b32 v1, v6
	ds_write_b8 v1, v7 offset:4
	s_waitcnt lgkmcnt(0)
	s_barrier
	s_and_saveexec_b64 s[58:59], s[2:3]
	s_cbranch_execz .LBB95_200
; %bb.189:
	v_lshlrev_b32_e32 v1, 2, v0
	v_lshrrev_b32_e32 v2, 3, v0
	v_add_lshl_u32 v1, v2, v1, 3
	ds_read2_b32 v[2:3], v1 offset0:2 offset1:4
	ds_read_b64 v[4:5], v1
	ds_read_u8 v13, v1 offset:12
	ds_read_u8 v15, v1 offset:20
	ds_read_b32 v8, v1 offset:24
	ds_read_u8 v17, v1 offset:28
	s_waitcnt lgkmcnt(4)
	v_and_b32_e32 v9, 1, v5
	s_waitcnt lgkmcnt(3)
	v_cmp_eq_u16_e64 s[46:47], 0, v13
	v_and_b32_e32 v13, 1, v13
	s_waitcnt lgkmcnt(2)
	v_cmp_eq_u16_e64 s[48:49], 0, v15
	v_cndmask_b32_e64 v19, 0, v4, s[46:47]
	v_add_u32_e32 v19, v19, v2
	v_cmp_eq_u32_e64 s[52:53], 1, v13
	v_cndmask_b32_e64 v13, 0, v19, s[48:49]
	v_add_u32_e32 v13, v13, v3
	s_waitcnt lgkmcnt(0)
	v_cmp_eq_u16_e64 s[50:51], 0, v17
	v_and_b32_e32 v15, 1, v15
	v_cmp_eq_u32_e64 s[54:55], 1, v15
	v_cndmask_b32_e64 v13, 0, v13, s[50:51]
	v_add_u32_e32 v15, v13, v8
	v_and_b32_e32 v13, 1, v17
	v_cmp_eq_u32_e64 s[56:57], 1, v13
	s_or_b64 s[2:3], s[56:57], s[54:55]
	s_or_b64 s[2:3], s[2:3], s[52:53]
	v_mbcnt_lo_u32_b32 v17, -1, 0
	v_cndmask_b32_e64 v19, v9, 1, s[2:3]
	v_and_b32_e32 v13, 0xffffff00, v5
	v_mbcnt_hi_u32_b32 v17, -1, v17
	v_and_b32_e32 v25, 15, v17
	v_or_b32_sdwa v21, v13, v19 dst_sel:DWORD dst_unused:UNUSED_PAD src0_sel:DWORD src1_sel:WORD_0
	v_mov_b32_dpp v23, v15 row_shr:1 row_mask:0xf bank_mask:0xf
	v_cmp_ne_u32_e64 s[2:3], 0, v25
	v_mov_b32_dpp v27, v21 row_shr:1 row_mask:0xf bank_mask:0xf
	s_and_saveexec_b64 s[62:63], s[2:3]
; %bb.190:
	v_and_b32_e32 v21, 1, v19
	v_and_b32_e32 v27, 1, v27
	v_cmp_eq_u32_e64 s[2:3], 1, v21
	s_nop 1
	v_cndmask_b32_e64 v27, v27, 1, s[2:3]
	v_cmp_eq_u16_e64 s[2:3], 0, v19
	v_or_b32_sdwa v21, v13, v27 dst_sel:DWORD dst_unused:UNUSED_PAD src0_sel:DWORD src1_sel:WORD_0
	s_nop 0
	v_cndmask_b32_e64 v19, 0, v23, s[2:3]
	v_add_u32_e32 v15, v19, v15
	v_mov_b32_e32 v19, v27
; %bb.191:
	s_or_b64 exec, exec, s[62:63]
	v_mov_b32_dpp v27, v15 row_shr:2 row_mask:0xf bank_mask:0xf
	v_mov_b32_dpp v29, v21 row_shr:2 row_mask:0xf bank_mask:0xf
	v_cmp_lt_u32_e64 s[2:3], 1, v25
	v_mov_b32_e32 v23, v21
	s_and_saveexec_b64 s[62:63], s[2:3]
; %bb.192:
	v_and_b32_e32 v19, 1, v21
	v_and_b32_e32 v23, 1, v29
	v_cmp_eq_u32_e64 s[2:3], 1, v19
	s_nop 1
	v_cndmask_b32_e64 v19, v23, 1, s[2:3]
	v_mov_b32_e32 v23, 0
	v_cmp_eq_u16_sdwa s[2:3], v21, v23 src0_sel:BYTE_0 src1_sel:DWORD
	v_mov_b32_e32 v23, v19
	s_nop 0
	v_cndmask_b32_e64 v21, 0, v27, s[2:3]
	v_add_u32_e32 v15, v21, v15
	v_or_b32_sdwa v21, v13, v19 dst_sel:DWORD dst_unused:UNUSED_PAD src0_sel:DWORD src1_sel:WORD_0
; %bb.193:
	s_or_b64 exec, exec, s[62:63]
	v_mov_b32_dpp v27, v15 row_shr:4 row_mask:0xf bank_mask:0xf
	v_mov_b32_dpp v29, v21 row_shr:4 row_mask:0xf bank_mask:0xf
	v_cmp_lt_u32_e64 s[2:3], 3, v25
	s_and_saveexec_b64 s[62:63], s[2:3]
; %bb.194:
	v_and_b32_e32 v19, 1, v23
	v_and_b32_e32 v21, 1, v29
	v_cmp_eq_u32_e64 s[2:3], 1, v19
	s_nop 1
	v_cndmask_b32_e64 v19, v21, 1, s[2:3]
	v_mov_b32_e32 v21, 0
	v_cmp_eq_u16_sdwa s[2:3], v23, v21 src0_sel:BYTE_0 src1_sel:DWORD
	v_mov_b32_e32 v23, v19
	s_nop 0
	v_cndmask_b32_e64 v21, 0, v27, s[2:3]
	v_add_u32_e32 v15, v21, v15
	v_or_b32_sdwa v21, v13, v19 dst_sel:DWORD dst_unused:UNUSED_PAD src0_sel:DWORD src1_sel:WORD_0
; %bb.195:
	s_or_b64 exec, exec, s[62:63]
	v_mov_b32_dpp v27, v15 row_shr:8 row_mask:0xf bank_mask:0xf
	v_mov_b32_dpp v29, v21 row_shr:8 row_mask:0xf bank_mask:0xf
	v_cmp_lt_u32_e64 s[2:3], 7, v25
	s_and_saveexec_b64 s[62:63], s[2:3]
; %bb.196:
	v_and_b32_e32 v19, 1, v23
	v_and_b32_e32 v21, 1, v29
	v_cmp_eq_u32_e64 s[2:3], 1, v19
	s_nop 1
	v_cndmask_b32_e64 v19, v21, 1, s[2:3]
	v_mov_b32_e32 v21, 0
	v_cmp_eq_u16_sdwa s[2:3], v23, v21 src0_sel:BYTE_0 src1_sel:DWORD
	v_mov_b32_e32 v23, v19
	s_nop 0
	v_cndmask_b32_e64 v21, 0, v27, s[2:3]
	v_add_u32_e32 v15, v21, v15
	v_or_b32_sdwa v21, v13, v19 dst_sel:DWORD dst_unused:UNUSED_PAD src0_sel:DWORD src1_sel:WORD_0
; %bb.197:
	s_or_b64 exec, exec, s[62:63]
	v_and_b32_e32 v29, 16, v17
	v_mov_b32_dpp v25, v15 row_bcast:15 row_mask:0xf bank_mask:0xf
	v_mov_b32_dpp v27, v21 row_bcast:15 row_mask:0xf bank_mask:0xf
	v_cmp_ne_u32_e64 s[2:3], 0, v29
	s_and_saveexec_b64 s[62:63], s[2:3]
; %bb.198:
	v_and_b32_e32 v19, 1, v23
	v_and_b32_e32 v21, 1, v27
	v_cmp_eq_u32_e64 s[2:3], 1, v19
	s_nop 1
	v_cndmask_b32_e64 v19, v21, 1, s[2:3]
	v_mov_b32_e32 v21, 0
	v_cmp_eq_u16_sdwa s[2:3], v23, v21 src0_sel:BYTE_0 src1_sel:DWORD
	v_mov_b32_e32 v23, v19
	s_nop 0
	v_cndmask_b32_e64 v21, 0, v25, s[2:3]
	v_add_u32_e32 v15, v21, v15
	v_or_b32_sdwa v21, v13, v19 dst_sel:DWORD dst_unused:UNUSED_PAD src0_sel:DWORD src1_sel:WORD_0
; %bb.199:
	s_or_b64 exec, exec, s[62:63]
	s_nop 0
	v_mov_b32_dpp v21, v21 row_bcast:31 row_mask:0xf bank_mask:0xf
	v_and_b32_e32 v27, 1, v23
	v_and_b32_e32 v21, 1, v21
	v_cmp_eq_u32_e64 s[2:3], 1, v27
	v_mov_b32_e32 v27, 0
	v_cmp_eq_u16_sdwa s[62:63], v23, v27 src0_sel:BYTE_0 src1_sel:DWORD
	v_cndmask_b32_e64 v21, v21, 1, s[2:3]
	v_cmp_lt_u32_e64 s[2:3], 31, v17
	v_mov_b32_dpp v25, v15 row_bcast:31 row_mask:0xf bank_mask:0xf
	v_and_b32_e32 v23, 64, v17
	v_cndmask_b32_e64 v19, v19, v21, s[2:3]
	s_and_b64 s[2:3], s[2:3], s[62:63]
	v_cndmask_b32_e64 v21, 0, v25, s[2:3]
	v_add_u32_e32 v15, v21, v15
	v_add_u32_e32 v21, -1, v17
	v_cmp_lt_i32_e64 s[2:3], v21, v23
	v_or_b32_sdwa v13, v13, v19 dst_sel:DWORD dst_unused:UNUSED_PAD src0_sel:DWORD src1_sel:WORD_0
	s_nop 0
	v_cndmask_b32_e64 v17, v21, v17, s[2:3]
	v_lshlrev_b32_e32 v17, 2, v17
	ds_bpermute_b32 v15, v17, v15
	ds_bpermute_b32 v13, v17, v13
	v_cmp_eq_u16_sdwa s[2:3], v5, v27 src0_sel:BYTE_0 src1_sel:DWORD
	s_waitcnt lgkmcnt(1)
	s_nop 0
	v_cndmask_b32_e64 v5, 0, v15, s[2:3]
	v_add_u32_e32 v4, v5, v4
	s_waitcnt lgkmcnt(0)
	v_and_b32_e32 v5, 1, v13
	v_cmp_eq_u32_e64 s[2:3], 1, v9
	s_nop 1
	v_cndmask_b32_e64 v5, v5, 1, s[2:3]
	v_cmp_eq_u32_e64 s[2:3], 0, v0
	s_nop 1
	v_cndmask_b32_e64 v4, v4, v6, s[2:3]
	v_cndmask_b32_e64 v6, 0, v4, s[46:47]
	;; [unrolled: 1-line block ×3, first 2 shown]
	v_add_u32_e32 v2, v6, v2
	ds_write_b8 v1, v5 offset:4
	v_cndmask_b32_e64 v5, v5, 1, s[52:53]
	ds_write2_b32 v1, v4, v2 offset1:2
	ds_write_b8 v1, v5 offset:12
	v_cndmask_b32_e64 v2, 0, v2, s[48:49]
	v_add_u32_e32 v2, v2, v3
	v_cndmask_b32_e64 v4, 0, v2, s[50:51]
	v_cndmask_b32_e64 v3, v5, 1, s[54:55]
	v_add_u32_e32 v4, v4, v8
	ds_write_b8 v1, v3 offset:20
	v_cndmask_b32_e64 v3, v3, 1, s[56:57]
	ds_write2_b32 v1, v2, v4 offset0:4 offset1:6
	ds_write_b8 v1, v3 offset:28
.LBB95_200:
	s_or_b64 exec, exec, s[58:59]
	v_cmp_eq_u32_e64 s[46:47], 0, v0
	v_cmp_ne_u32_e64 s[2:3], 0, v0
	v_mov_b32_e32 v2, s76
	s_waitcnt lgkmcnt(0)
	s_barrier
	s_and_saveexec_b64 s[48:49], s[2:3]
	s_cbranch_execz .LBB95_202
; %bb.201:
	v_add_u32_e32 v1, -1, v0
	v_lshrrev_b32_e32 v2, 5, v1
	v_add_lshl_u32 v1, v2, v1, 3
	ds_read_u8 v2, v1 offset:4
	ds_read_b32 v1, v1
	v_mov_b32_e32 v3, s76
	s_waitcnt lgkmcnt(1)
	v_cmp_eq_u16_e64 s[2:3], 0, v2
	s_nop 1
	v_cndmask_b32_e64 v2, 0, v3, s[2:3]
	s_waitcnt lgkmcnt(0)
	v_add_u32_e32 v2, v2, v1
.LBB95_202:
	s_or_b64 exec, exec, s[48:49]
	v_and_b32_e32 v55, 0xff, v11
	v_mov_b32_e32 v54, 0
	v_cmp_eq_u64_e64 s[2:3], 0, v[54:55]
	s_nop 1
	v_cndmask_b32_e64 v1, 0, v2, s[2:3]
	v_add_u32_e32 v3, v1, v10
	v_cndmask_b32_e32 v1, 0, v3, vcc
	v_add_u32_e32 v4, v1, v12
	v_cndmask_b32_e64 v1, 0, v4, s[4:5]
	v_add_u32_e32 v5, v1, v14
	v_cndmask_b32_e64 v1, 0, v5, s[6:7]
	;; [unrolled: 2-line block ×20, first 2 shown]
	s_and_saveexec_b64 s[2:3], s[46:47]
	s_cbranch_execz .LBB95_204
; %bb.203:
	ds_read_u8 v10, v54 offset:2100
	ds_read_b32 v12, v54 offset:2096
	v_mov_b32_e32 v13, v54
	s_waitcnt lgkmcnt(1)
	v_cmp_eq_u16_e32 vcc, 0, v10
	s_and_b64 s[4:5], vcc, exec
	s_cselect_b32 s5, s76, 0
	s_add_u32 s4, s64, 0x400
	v_and_b32_e32 v11, 0xffff, v10
	s_waitcnt lgkmcnt(0)
	v_add_u32_e32 v10, s5, v12
	s_addc_u32 s5, s65, 0
	v_mov_b32_e32 v12, 2
	v_mov_b64_e32 v[14:15], s[4:5]
	;;#ASMSTART
	global_store_dwordx4 v[14:15], v[10:13] off sc1	
s_waitcnt vmcnt(0)
	;;#ASMEND
.LBB95_204:
	s_or_b64 exec, exec, s[2:3]
	v_add_u32_e32 v71, v1, v52
.LBB95_205:
	s_load_dwordx2 s[0:1], s[0:1], 0x18
	s_lshl_b64 s[2:3], s[72:73], 3
	v_lshlrev_b32_e32 v10, 3, v0
	s_waitcnt lgkmcnt(0)
	s_add_u32 s0, s0, s2
	s_addc_u32 s1, s1, s3
	s_and_b64 vcc, exec, s[60:61]
	s_cbranch_vccz .LBB95_251
; %bb.206:
	s_movk_i32 s2, 0x5c
	v_mul_i32_i24_e32 v36, 0xffffffa8, v0
	v_mul_u32_u24_e32 v1, 0x5c, v0
	v_mad_u32_u24 v11, v0, s2, v36
	s_barrier
	ds_write2_b32 v1, v2, v3 offset1:1
	ds_write2_b32 v1, v4, v5 offset0:2 offset1:3
	ds_write2_b32 v1, v6, v7 offset0:4 offset1:5
	;; [unrolled: 1-line block ×10, first 2 shown]
	ds_write_b32 v1, v71 offset:88
	s_waitcnt lgkmcnt(0)
	s_barrier
	ds_read2st64_b32 v[34:35], v11 offset0:4 offset1:8
	ds_read2st64_b32 v[32:33], v11 offset0:12 offset1:16
	;; [unrolled: 1-line block ×11, first 2 shown]
	s_add_i32 s33, s33, s66
	v_mov_b32_e32 v11, 0
	v_lshl_add_u64 v[14:15], s[0:1], 0, v[10:11]
	v_cmp_gt_u32_e32 vcc, s33, v0
	s_and_saveexec_b64 s[2:3], vcc
	s_cbranch_execz .LBB95_208
; %bb.207:
	v_add_u32_e32 v1, v1, v36
	ds_read_b32 v36, v1
	s_waitcnt lgkmcnt(0)
	v_ashrrev_i32_e32 v37, 31, v36
	global_store_dwordx2 v[14:15], v[36:37], off
.LBB95_208:
	s_or_b64 exec, exec, s[2:3]
	v_or_b32_e32 v1, 0x100, v0
	v_cmp_gt_u32_e32 vcc, s33, v1
	s_and_saveexec_b64 s[2:3], vcc
	s_cbranch_execz .LBB95_210
; %bb.209:
	s_waitcnt lgkmcnt(10)
	v_ashrrev_i32_e32 v37, 31, v34
	v_mov_b32_e32 v36, v34
	global_store_dwordx2 v[14:15], v[36:37], off offset:2048
.LBB95_210:
	s_or_b64 exec, exec, s[2:3]
	v_or_b32_e32 v1, 0x200, v0
	v_cmp_gt_u32_e32 vcc, s33, v1
	s_and_saveexec_b64 s[2:3], vcc
	s_cbranch_execz .LBB95_212
; %bb.211:
	s_waitcnt lgkmcnt(10)
	v_add_co_u32_e32 v34, vcc, 0x1000, v14
	v_ashrrev_i32_e32 v37, 31, v35
	v_mov_b32_e32 v36, v35
	v_addc_co_u32_e32 v35, vcc, 0, v15, vcc
	global_store_dwordx2 v[34:35], v[36:37], off
.LBB95_212:
	s_or_b64 exec, exec, s[2:3]
	v_or_b32_e32 v1, 0x300, v0
	v_cmp_gt_u32_e32 vcc, s33, v1
	s_and_saveexec_b64 s[2:3], vcc
	s_cbranch_execz .LBB95_214
; %bb.213:
	v_add_co_u32_e32 v36, vcc, 0x1000, v14
	s_waitcnt lgkmcnt(9)
	v_ashrrev_i32_e32 v35, 31, v32
	v_mov_b32_e32 v34, v32
	v_addc_co_u32_e32 v37, vcc, 0, v15, vcc
	global_store_dwordx2 v[36:37], v[34:35], off offset:2048
.LBB95_214:
	s_or_b64 exec, exec, s[2:3]
	v_or_b32_e32 v1, 0x400, v0
	v_cmp_gt_u32_e32 vcc, s33, v1
	s_and_saveexec_b64 s[2:3], vcc
	s_cbranch_execz .LBB95_216
; %bb.215:
	s_waitcnt lgkmcnt(9)
	v_add_co_u32_e32 v32, vcc, 0x2000, v14
	v_ashrrev_i32_e32 v35, 31, v33
	v_mov_b32_e32 v34, v33
	v_addc_co_u32_e32 v33, vcc, 0, v15, vcc
	global_store_dwordx2 v[32:33], v[34:35], off
.LBB95_216:
	s_or_b64 exec, exec, s[2:3]
	v_or_b32_e32 v1, 0x500, v0
	v_cmp_gt_u32_e32 vcc, s33, v1
	s_and_saveexec_b64 s[2:3], vcc
	s_cbranch_execz .LBB95_218
; %bb.217:
	s_waitcnt lgkmcnt(10)
	v_add_co_u32_e32 v34, vcc, 0x2000, v14
	s_waitcnt lgkmcnt(8)
	v_ashrrev_i32_e32 v33, 31, v30
	v_mov_b32_e32 v32, v30
	v_addc_co_u32_e32 v35, vcc, 0, v15, vcc
	global_store_dwordx2 v[34:35], v[32:33], off offset:2048
.LBB95_218:
	s_or_b64 exec, exec, s[2:3]
	v_or_b32_e32 v1, 0x600, v0
	v_cmp_gt_u32_e32 vcc, s33, v1
	s_and_saveexec_b64 s[2:3], vcc
	s_cbranch_execz .LBB95_220
; %bb.219:
	s_waitcnt lgkmcnt(8)
	v_add_co_u32_e32 v30, vcc, 0x3000, v14
	v_ashrrev_i32_e32 v33, 31, v31
	v_mov_b32_e32 v32, v31
	v_addc_co_u32_e32 v31, vcc, 0, v15, vcc
	global_store_dwordx2 v[30:31], v[32:33], off
.LBB95_220:
	s_or_b64 exec, exec, s[2:3]
	v_or_b32_e32 v1, 0x700, v0
	v_cmp_gt_u32_e32 vcc, s33, v1
	s_and_saveexec_b64 s[2:3], vcc
	s_cbranch_execz .LBB95_222
; %bb.221:
	s_waitcnt lgkmcnt(9)
	v_add_co_u32_e32 v32, vcc, 0x3000, v14
	s_waitcnt lgkmcnt(7)
	v_ashrrev_i32_e32 v31, 31, v28
	v_mov_b32_e32 v30, v28
	v_addc_co_u32_e32 v33, vcc, 0, v15, vcc
	global_store_dwordx2 v[32:33], v[30:31], off offset:2048
.LBB95_222:
	;; [unrolled: 27-line block ×8, first 2 shown]
	s_or_b64 exec, exec, s[2:3]
	v_or_b32_e32 v1, 0x1400, v0
	v_cmp_gt_u32_e32 vcc, s33, v1
	s_and_saveexec_b64 s[2:3], vcc
	s_cbranch_execz .LBB95_248
; %bb.247:
	s_waitcnt lgkmcnt(1)
	v_add_co_u32_e32 v16, vcc, 0xa000, v14
	v_ashrrev_i32_e32 v19, 31, v17
	v_mov_b32_e32 v18, v17
	v_addc_co_u32_e32 v17, vcc, 0, v15, vcc
	global_store_dwordx2 v[16:17], v[18:19], off
.LBB95_248:
	s_or_b64 exec, exec, s[2:3]
	v_or_b32_e32 v1, 0x1500, v0
	v_cmp_gt_u32_e32 vcc, s33, v1
	s_and_saveexec_b64 s[2:3], vcc
	s_cbranch_execz .LBB95_250
; %bb.249:
	v_add_co_u32_e32 v14, vcc, 0xa000, v14
	s_waitcnt lgkmcnt(0)
	v_ashrrev_i32_e32 v17, 31, v12
	v_mov_b32_e32 v16, v12
	v_addc_co_u32_e32 v15, vcc, 0, v15, vcc
	global_store_dwordx2 v[14:15], v[16:17], off offset:2048
.LBB95_250:
	s_or_b64 exec, exec, s[2:3]
	v_mov_b32_e32 v1, v11
	v_or_b32_e32 v11, 0x1600, v0
	v_cmp_gt_u32_e64 s[2:3], s33, v11
	s_branch .LBB95_253
.LBB95_251:
	s_mov_b64 s[2:3], 0
                                        ; implicit-def: $vgpr13
	s_cbranch_execz .LBB95_253
; %bb.252:
	v_mul_u32_u24_e32 v1, 0x5c, v0
	s_waitcnt lgkmcnt(0)
	s_barrier
	s_movk_i32 s4, 0x5c
	ds_write2_b32 v1, v2, v3 offset1:1
	ds_write2_b32 v1, v4, v5 offset0:2 offset1:3
	ds_write2_b32 v1, v6, v7 offset0:4 offset1:5
	;; [unrolled: 1-line block ×10, first 2 shown]
	ds_write_b32 v1, v71 offset:88
	v_mul_i32_i24_e32 v1, 0xffffffa8, v0
	v_mad_u32_u24 v11, v0, s4, v1
	s_waitcnt lgkmcnt(0)
	s_barrier
	ds_read2st64_b32 v[2:3], v11 offset1:4
	ds_read2st64_b32 v[6:7], v11 offset0:8 offset1:12
	ds_read2st64_b32 v[12:13], v11 offset0:24 offset1:28
	v_mov_b32_e32 v1, 0
	s_movk_i32 s4, 0x1000
	s_waitcnt lgkmcnt(2)
	v_ashrrev_i32_e32 v5, 31, v2
	v_mov_b32_e32 v4, v2
	v_ashrrev_i32_e32 v9, 31, v3
	v_mov_b32_e32 v8, v3
	ds_read2st64_b32 v[2:3], v11 offset0:16 offset1:20
	s_waitcnt lgkmcnt(2)
	v_ashrrev_i32_e32 v15, 31, v6
	v_mov_b32_e32 v14, v6
	v_ashrrev_i32_e32 v17, 31, v7
	v_mov_b32_e32 v16, v7
	s_waitcnt lgkmcnt(0)
	v_ashrrev_i32_e32 v7, 31, v2
	v_mov_b32_e32 v6, v2
	v_ashrrev_i32_e32 v19, 31, v3
	v_mov_b32_e32 v18, v3
	ds_read2st64_b32 v[2:3], v11 offset0:32 offset1:36
	v_ashrrev_i32_e32 v21, 31, v12
	v_mov_b32_e32 v20, v12
	v_ashrrev_i32_e32 v23, 31, v13
	v_mov_b32_e32 v22, v13
	ds_read2st64_b32 v[12:13], v11 offset0:40 offset1:44
	s_waitcnt lgkmcnt(1)
	v_ashrrev_i32_e32 v25, 31, v2
	v_mov_b32_e32 v24, v2
	v_ashrrev_i32_e32 v27, 31, v3
	v_mov_b32_e32 v26, v3
	ds_read2st64_b32 v[2:3], v11 offset0:48 offset1:52
	s_waitcnt lgkmcnt(1)
	;; [unrolled: 6-line block ×6, first 2 shown]
	v_ashrrev_i32_e32 v47, 31, v13
	v_mov_b32_e32 v46, v13
	ds_read_b32 v13, v11 offset:22528
	v_mov_b32_e32 v11, v1
	s_waitcnt lgkmcnt(1)
	v_ashrrev_i32_e32 v49, 31, v2
	v_mov_b32_e32 v48, v2
	v_ashrrev_i32_e32 v51, 31, v3
	v_mov_b32_e32 v50, v3
	v_lshl_add_u64 v[2:3], s[0:1], 0, v[10:11]
	global_store_dwordx2 v10, v[4:5], s[0:1]
	global_store_dwordx2 v10, v[8:9], s[0:1] offset:2048
	v_add_co_u32_e32 v4, vcc, s4, v2
	s_movk_i32 s4, 0x2000
	s_nop 0
	v_addc_co_u32_e32 v5, vcc, 0, v3, vcc
	v_add_co_u32_e32 v8, vcc, s4, v2
	s_movk_i32 s4, 0x3000
	s_nop 0
	v_addc_co_u32_e32 v9, vcc, 0, v3, vcc
	global_store_dwordx2 v[8:9], v[14:15], off offset:-4096
	global_store_dwordx2 v[4:5], v[16:17], off offset:2048
	global_store_dwordx2 v[8:9], v[6:7], off
	global_store_dwordx2 v[8:9], v[18:19], off offset:2048
	v_add_co_u32_e32 v4, vcc, s4, v2
	s_movk_i32 s4, 0x4000
	s_nop 0
	v_addc_co_u32_e32 v5, vcc, 0, v3, vcc
	v_add_co_u32_e32 v6, vcc, s4, v2
	s_movk_i32 s4, 0x5000
	s_nop 0
	v_addc_co_u32_e32 v7, vcc, 0, v3, vcc
	global_store_dwordx2 v[6:7], v[20:21], off offset:-4096
	global_store_dwordx2 v[4:5], v[22:23], off offset:2048
	global_store_dwordx2 v[6:7], v[24:25], off
	global_store_dwordx2 v[6:7], v[26:27], off offset:2048
	v_add_co_u32_e32 v4, vcc, s4, v2
	s_movk_i32 s4, 0x6000
	s_nop 0
	v_addc_co_u32_e32 v5, vcc, 0, v3, vcc
	v_add_co_u32_e32 v6, vcc, s4, v2
	s_movk_i32 s4, 0x7000
	s_nop 0
	v_addc_co_u32_e32 v7, vcc, 0, v3, vcc
	global_store_dwordx2 v[6:7], v[28:29], off offset:-4096
	global_store_dwordx2 v[4:5], v[30:31], off offset:2048
	global_store_dwordx2 v[6:7], v[32:33], off
	global_store_dwordx2 v[6:7], v[34:35], off offset:2048
	v_add_co_u32_e32 v4, vcc, s4, v2
	s_mov_b32 s4, 0x8000
	s_nop 0
	v_addc_co_u32_e32 v5, vcc, 0, v3, vcc
	v_add_co_u32_e32 v6, vcc, s4, v2
	v_ashrrev_i32_e32 v45, 31, v12
	s_nop 0
	v_addc_co_u32_e32 v7, vcc, 0, v3, vcc
	global_store_dwordx2 v[6:7], v[36:37], off offset:-4096
	global_store_dwordx2 v[4:5], v[38:39], off offset:2048
	global_store_dwordx2 v[6:7], v[40:41], off
	global_store_dwordx2 v[6:7], v[42:43], off offset:2048
	v_add_co_u32_e32 v4, vcc, 0x9000, v2
	v_mov_b32_e32 v44, v12
	s_nop 0
	v_addc_co_u32_e32 v5, vcc, 0, v3, vcc
	v_add_co_u32_e32 v2, vcc, 0xa000, v2
	s_or_b64 s[2:3], s[2:3], exec
	s_nop 0
	v_addc_co_u32_e32 v3, vcc, 0, v3, vcc
	global_store_dwordx2 v[4:5], v[44:45], off
	global_store_dwordx2 v[4:5], v[46:47], off offset:2048
	global_store_dwordx2 v[2:3], v[48:49], off
	global_store_dwordx2 v[2:3], v[50:51], off offset:2048
.LBB95_253:
	s_and_saveexec_b64 s[4:5], s[2:3]
	s_cbranch_execz .LBB95_255
; %bb.254:
	v_lshl_add_u64 v[0:1], v[0:1], 3, s[0:1]
	v_add_co_u32_e32 v0, vcc, 0xb000, v0
	s_waitcnt lgkmcnt(0)
	v_ashrrev_i32_e32 v3, 31, v13
	v_mov_b32_e32 v2, v13
	v_addc_co_u32_e32 v1, vcc, 0, v1, vcc
	global_store_dwordx2 v[0:1], v[2:3], off
	s_endpgm
.LBB95_255:
	s_endpgm
	.section	.rodata,"a",@progbits
	.p2align	6, 0x0
	.amdhsa_kernel _ZN7rocprim6detail25device_scan_by_key_kernelILNS0_25lookback_scan_determinismE0ELb1ENS0_26wrapped_scan_by_key_configINS_14default_configEiiEEPiN6hipcub22TransformInputIteratorIiNS7_6CastOpIiEES6_lEEPliNS7_8EqualityENS7_3SumENS0_19lookback_scan_stateINS_5tupleIJibEEELb0ELb1EEEiEEvT2_T3_T4_T5_T6_T7_T8_mmmPKNSG_IJT9_bEEE
		.amdhsa_group_segment_fixed_size 25600
		.amdhsa_private_segment_fixed_size 0
		.amdhsa_kernarg_size 80
		.amdhsa_user_sgpr_count 2
		.amdhsa_user_sgpr_dispatch_ptr 0
		.amdhsa_user_sgpr_queue_ptr 0
		.amdhsa_user_sgpr_kernarg_segment_ptr 1
		.amdhsa_user_sgpr_dispatch_id 0
		.amdhsa_user_sgpr_kernarg_preload_length 0
		.amdhsa_user_sgpr_kernarg_preload_offset 0
		.amdhsa_user_sgpr_private_segment_size 0
		.amdhsa_uses_dynamic_stack 0
		.amdhsa_enable_private_segment 0
		.amdhsa_system_sgpr_workgroup_id_x 1
		.amdhsa_system_sgpr_workgroup_id_y 0
		.amdhsa_system_sgpr_workgroup_id_z 0
		.amdhsa_system_sgpr_workgroup_info 0
		.amdhsa_system_vgpr_workitem_id 0
		.amdhsa_next_free_vgpr 79
		.amdhsa_next_free_sgpr 77
		.amdhsa_accum_offset 80
		.amdhsa_reserve_vcc 1
		.amdhsa_float_round_mode_32 0
		.amdhsa_float_round_mode_16_64 0
		.amdhsa_float_denorm_mode_32 3
		.amdhsa_float_denorm_mode_16_64 3
		.amdhsa_dx10_clamp 1
		.amdhsa_ieee_mode 1
		.amdhsa_fp16_overflow 0
		.amdhsa_tg_split 0
		.amdhsa_exception_fp_ieee_invalid_op 0
		.amdhsa_exception_fp_denorm_src 0
		.amdhsa_exception_fp_ieee_div_zero 0
		.amdhsa_exception_fp_ieee_overflow 0
		.amdhsa_exception_fp_ieee_underflow 0
		.amdhsa_exception_fp_ieee_inexact 0
		.amdhsa_exception_int_div_zero 0
	.end_amdhsa_kernel
	.section	.text._ZN7rocprim6detail25device_scan_by_key_kernelILNS0_25lookback_scan_determinismE0ELb1ENS0_26wrapped_scan_by_key_configINS_14default_configEiiEEPiN6hipcub22TransformInputIteratorIiNS7_6CastOpIiEES6_lEEPliNS7_8EqualityENS7_3SumENS0_19lookback_scan_stateINS_5tupleIJibEEELb0ELb1EEEiEEvT2_T3_T4_T5_T6_T7_T8_mmmPKNSG_IJT9_bEEE,"axG",@progbits,_ZN7rocprim6detail25device_scan_by_key_kernelILNS0_25lookback_scan_determinismE0ELb1ENS0_26wrapped_scan_by_key_configINS_14default_configEiiEEPiN6hipcub22TransformInputIteratorIiNS7_6CastOpIiEES6_lEEPliNS7_8EqualityENS7_3SumENS0_19lookback_scan_stateINS_5tupleIJibEEELb0ELb1EEEiEEvT2_T3_T4_T5_T6_T7_T8_mmmPKNSG_IJT9_bEEE,comdat
.Lfunc_end95:
	.size	_ZN7rocprim6detail25device_scan_by_key_kernelILNS0_25lookback_scan_determinismE0ELb1ENS0_26wrapped_scan_by_key_configINS_14default_configEiiEEPiN6hipcub22TransformInputIteratorIiNS7_6CastOpIiEES6_lEEPliNS7_8EqualityENS7_3SumENS0_19lookback_scan_stateINS_5tupleIJibEEELb0ELb1EEEiEEvT2_T3_T4_T5_T6_T7_T8_mmmPKNSG_IJT9_bEEE, .Lfunc_end95-_ZN7rocprim6detail25device_scan_by_key_kernelILNS0_25lookback_scan_determinismE0ELb1ENS0_26wrapped_scan_by_key_configINS_14default_configEiiEEPiN6hipcub22TransformInputIteratorIiNS7_6CastOpIiEES6_lEEPliNS7_8EqualityENS7_3SumENS0_19lookback_scan_stateINS_5tupleIJibEEELb0ELb1EEEiEEvT2_T3_T4_T5_T6_T7_T8_mmmPKNSG_IJT9_bEEE
                                        ; -- End function
	.section	.AMDGPU.csdata,"",@progbits
; Kernel info:
; codeLenInByte = 15752
; NumSgprs: 83
; NumVgprs: 79
; NumAgprs: 0
; TotalNumVgprs: 79
; ScratchSize: 0
; MemoryBound: 0
; FloatMode: 240
; IeeeMode: 1
; LDSByteSize: 25600 bytes/workgroup (compile time only)
; SGPRBlocks: 10
; VGPRBlocks: 9
; NumSGPRsForWavesPerEU: 83
; NumVGPRsForWavesPerEU: 79
; AccumOffset: 80
; Occupancy: 2
; WaveLimiterHint : 1
; COMPUTE_PGM_RSRC2:SCRATCH_EN: 0
; COMPUTE_PGM_RSRC2:USER_SGPR: 2
; COMPUTE_PGM_RSRC2:TRAP_HANDLER: 0
; COMPUTE_PGM_RSRC2:TGID_X_EN: 1
; COMPUTE_PGM_RSRC2:TGID_Y_EN: 0
; COMPUTE_PGM_RSRC2:TGID_Z_EN: 0
; COMPUTE_PGM_RSRC2:TIDIG_COMP_CNT: 0
; COMPUTE_PGM_RSRC3_GFX90A:ACCUM_OFFSET: 19
; COMPUTE_PGM_RSRC3_GFX90A:TG_SPLIT: 0
	.section	.text._ZN7rocprim6detail25device_scan_by_key_kernelILNS0_25lookback_scan_determinismE0ELb1ENS0_26wrapped_scan_by_key_configINS_14default_configEi6__halfEEPiN6hipcub22TransformInputIteratorIS5_NS8_6CastOpIS5_EEPS5_lEESC_S5_NS8_8EqualityENS8_3SumENS0_19lookback_scan_stateINS_5tupleIJS5_bEEELb1ELb1EEES5_EEvT2_T3_T4_T5_T6_T7_T8_mmmPKNSH_IJT9_bEEE,"axG",@progbits,_ZN7rocprim6detail25device_scan_by_key_kernelILNS0_25lookback_scan_determinismE0ELb1ENS0_26wrapped_scan_by_key_configINS_14default_configEi6__halfEEPiN6hipcub22TransformInputIteratorIS5_NS8_6CastOpIS5_EEPS5_lEESC_S5_NS8_8EqualityENS8_3SumENS0_19lookback_scan_stateINS_5tupleIJS5_bEEELb1ELb1EEES5_EEvT2_T3_T4_T5_T6_T7_T8_mmmPKNSH_IJT9_bEEE,comdat
	.protected	_ZN7rocprim6detail25device_scan_by_key_kernelILNS0_25lookback_scan_determinismE0ELb1ENS0_26wrapped_scan_by_key_configINS_14default_configEi6__halfEEPiN6hipcub22TransformInputIteratorIS5_NS8_6CastOpIS5_EEPS5_lEESC_S5_NS8_8EqualityENS8_3SumENS0_19lookback_scan_stateINS_5tupleIJS5_bEEELb1ELb1EEES5_EEvT2_T3_T4_T5_T6_T7_T8_mmmPKNSH_IJT9_bEEE ; -- Begin function _ZN7rocprim6detail25device_scan_by_key_kernelILNS0_25lookback_scan_determinismE0ELb1ENS0_26wrapped_scan_by_key_configINS_14default_configEi6__halfEEPiN6hipcub22TransformInputIteratorIS5_NS8_6CastOpIS5_EEPS5_lEESC_S5_NS8_8EqualityENS8_3SumENS0_19lookback_scan_stateINS_5tupleIJS5_bEEELb1ELb1EEES5_EEvT2_T3_T4_T5_T6_T7_T8_mmmPKNSH_IJT9_bEEE
	.globl	_ZN7rocprim6detail25device_scan_by_key_kernelILNS0_25lookback_scan_determinismE0ELb1ENS0_26wrapped_scan_by_key_configINS_14default_configEi6__halfEEPiN6hipcub22TransformInputIteratorIS5_NS8_6CastOpIS5_EEPS5_lEESC_S5_NS8_8EqualityENS8_3SumENS0_19lookback_scan_stateINS_5tupleIJS5_bEEELb1ELb1EEES5_EEvT2_T3_T4_T5_T6_T7_T8_mmmPKNSH_IJT9_bEEE
	.p2align	8
	.type	_ZN7rocprim6detail25device_scan_by_key_kernelILNS0_25lookback_scan_determinismE0ELb1ENS0_26wrapped_scan_by_key_configINS_14default_configEi6__halfEEPiN6hipcub22TransformInputIteratorIS5_NS8_6CastOpIS5_EEPS5_lEESC_S5_NS8_8EqualityENS8_3SumENS0_19lookback_scan_stateINS_5tupleIJS5_bEEELb1ELb1EEES5_EEvT2_T3_T4_T5_T6_T7_T8_mmmPKNSH_IJT9_bEEE,@function
_ZN7rocprim6detail25device_scan_by_key_kernelILNS0_25lookback_scan_determinismE0ELb1ENS0_26wrapped_scan_by_key_configINS_14default_configEi6__halfEEPiN6hipcub22TransformInputIteratorIS5_NS8_6CastOpIS5_EEPS5_lEESC_S5_NS8_8EqualityENS8_3SumENS0_19lookback_scan_stateINS_5tupleIJS5_bEEELb1ELb1EEES5_EEvT2_T3_T4_T5_T6_T7_T8_mmmPKNSH_IJT9_bEEE: ; @_ZN7rocprim6detail25device_scan_by_key_kernelILNS0_25lookback_scan_determinismE0ELb1ENS0_26wrapped_scan_by_key_configINS_14default_configEi6__halfEEPiN6hipcub22TransformInputIteratorIS5_NS8_6CastOpIS5_EEPS5_lEESC_S5_NS8_8EqualityENS8_3SumENS0_19lookback_scan_stateINS_5tupleIJS5_bEEELb1ELb1EEES5_EEvT2_T3_T4_T5_T6_T7_T8_mmmPKNSH_IJT9_bEEE
; %bb.0:
	s_endpgm
	.section	.rodata,"a",@progbits
	.p2align	6, 0x0
	.amdhsa_kernel _ZN7rocprim6detail25device_scan_by_key_kernelILNS0_25lookback_scan_determinismE0ELb1ENS0_26wrapped_scan_by_key_configINS_14default_configEi6__halfEEPiN6hipcub22TransformInputIteratorIS5_NS8_6CastOpIS5_EEPS5_lEESC_S5_NS8_8EqualityENS8_3SumENS0_19lookback_scan_stateINS_5tupleIJS5_bEEELb1ELb1EEES5_EEvT2_T3_T4_T5_T6_T7_T8_mmmPKNSH_IJT9_bEEE
		.amdhsa_group_segment_fixed_size 0
		.amdhsa_private_segment_fixed_size 0
		.amdhsa_kernarg_size 80
		.amdhsa_user_sgpr_count 2
		.amdhsa_user_sgpr_dispatch_ptr 0
		.amdhsa_user_sgpr_queue_ptr 0
		.amdhsa_user_sgpr_kernarg_segment_ptr 1
		.amdhsa_user_sgpr_dispatch_id 0
		.amdhsa_user_sgpr_kernarg_preload_length 0
		.amdhsa_user_sgpr_kernarg_preload_offset 0
		.amdhsa_user_sgpr_private_segment_size 0
		.amdhsa_uses_dynamic_stack 0
		.amdhsa_enable_private_segment 0
		.amdhsa_system_sgpr_workgroup_id_x 1
		.amdhsa_system_sgpr_workgroup_id_y 0
		.amdhsa_system_sgpr_workgroup_id_z 0
		.amdhsa_system_sgpr_workgroup_info 0
		.amdhsa_system_vgpr_workitem_id 0
		.amdhsa_next_free_vgpr 1
		.amdhsa_next_free_sgpr 0
		.amdhsa_accum_offset 4
		.amdhsa_reserve_vcc 0
		.amdhsa_float_round_mode_32 0
		.amdhsa_float_round_mode_16_64 0
		.amdhsa_float_denorm_mode_32 3
		.amdhsa_float_denorm_mode_16_64 3
		.amdhsa_dx10_clamp 1
		.amdhsa_ieee_mode 1
		.amdhsa_fp16_overflow 0
		.amdhsa_tg_split 0
		.amdhsa_exception_fp_ieee_invalid_op 0
		.amdhsa_exception_fp_denorm_src 0
		.amdhsa_exception_fp_ieee_div_zero 0
		.amdhsa_exception_fp_ieee_overflow 0
		.amdhsa_exception_fp_ieee_underflow 0
		.amdhsa_exception_fp_ieee_inexact 0
		.amdhsa_exception_int_div_zero 0
	.end_amdhsa_kernel
	.section	.text._ZN7rocprim6detail25device_scan_by_key_kernelILNS0_25lookback_scan_determinismE0ELb1ENS0_26wrapped_scan_by_key_configINS_14default_configEi6__halfEEPiN6hipcub22TransformInputIteratorIS5_NS8_6CastOpIS5_EEPS5_lEESC_S5_NS8_8EqualityENS8_3SumENS0_19lookback_scan_stateINS_5tupleIJS5_bEEELb1ELb1EEES5_EEvT2_T3_T4_T5_T6_T7_T8_mmmPKNSH_IJT9_bEEE,"axG",@progbits,_ZN7rocprim6detail25device_scan_by_key_kernelILNS0_25lookback_scan_determinismE0ELb1ENS0_26wrapped_scan_by_key_configINS_14default_configEi6__halfEEPiN6hipcub22TransformInputIteratorIS5_NS8_6CastOpIS5_EEPS5_lEESC_S5_NS8_8EqualityENS8_3SumENS0_19lookback_scan_stateINS_5tupleIJS5_bEEELb1ELb1EEES5_EEvT2_T3_T4_T5_T6_T7_T8_mmmPKNSH_IJT9_bEEE,comdat
.Lfunc_end96:
	.size	_ZN7rocprim6detail25device_scan_by_key_kernelILNS0_25lookback_scan_determinismE0ELb1ENS0_26wrapped_scan_by_key_configINS_14default_configEi6__halfEEPiN6hipcub22TransformInputIteratorIS5_NS8_6CastOpIS5_EEPS5_lEESC_S5_NS8_8EqualityENS8_3SumENS0_19lookback_scan_stateINS_5tupleIJS5_bEEELb1ELb1EEES5_EEvT2_T3_T4_T5_T6_T7_T8_mmmPKNSH_IJT9_bEEE, .Lfunc_end96-_ZN7rocprim6detail25device_scan_by_key_kernelILNS0_25lookback_scan_determinismE0ELb1ENS0_26wrapped_scan_by_key_configINS_14default_configEi6__halfEEPiN6hipcub22TransformInputIteratorIS5_NS8_6CastOpIS5_EEPS5_lEESC_S5_NS8_8EqualityENS8_3SumENS0_19lookback_scan_stateINS_5tupleIJS5_bEEELb1ELb1EEES5_EEvT2_T3_T4_T5_T6_T7_T8_mmmPKNSH_IJT9_bEEE
                                        ; -- End function
	.section	.AMDGPU.csdata,"",@progbits
; Kernel info:
; codeLenInByte = 4
; NumSgprs: 6
; NumVgprs: 0
; NumAgprs: 0
; TotalNumVgprs: 0
; ScratchSize: 0
; MemoryBound: 0
; FloatMode: 240
; IeeeMode: 1
; LDSByteSize: 0 bytes/workgroup (compile time only)
; SGPRBlocks: 0
; VGPRBlocks: 0
; NumSGPRsForWavesPerEU: 6
; NumVGPRsForWavesPerEU: 1
; AccumOffset: 4
; Occupancy: 8
; WaveLimiterHint : 0
; COMPUTE_PGM_RSRC2:SCRATCH_EN: 0
; COMPUTE_PGM_RSRC2:USER_SGPR: 2
; COMPUTE_PGM_RSRC2:TRAP_HANDLER: 0
; COMPUTE_PGM_RSRC2:TGID_X_EN: 1
; COMPUTE_PGM_RSRC2:TGID_Y_EN: 0
; COMPUTE_PGM_RSRC2:TGID_Z_EN: 0
; COMPUTE_PGM_RSRC2:TIDIG_COMP_CNT: 0
; COMPUTE_PGM_RSRC3_GFX90A:ACCUM_OFFSET: 0
; COMPUTE_PGM_RSRC3_GFX90A:TG_SPLIT: 0
	.section	.text._ZN7rocprim6detail25device_scan_by_key_kernelILNS0_25lookback_scan_determinismE0ELb1ENS0_26wrapped_scan_by_key_configINS_14default_configEi6__halfEEPiN6hipcub22TransformInputIteratorIS5_NS8_6CastOpIS5_EEPS5_lEESC_S5_NS8_8EqualityENS8_3SumENS0_19lookback_scan_stateINS_5tupleIJS5_bEEELb0ELb1EEES5_EEvT2_T3_T4_T5_T6_T7_T8_mmmPKNSH_IJT9_bEEE,"axG",@progbits,_ZN7rocprim6detail25device_scan_by_key_kernelILNS0_25lookback_scan_determinismE0ELb1ENS0_26wrapped_scan_by_key_configINS_14default_configEi6__halfEEPiN6hipcub22TransformInputIteratorIS5_NS8_6CastOpIS5_EEPS5_lEESC_S5_NS8_8EqualityENS8_3SumENS0_19lookback_scan_stateINS_5tupleIJS5_bEEELb0ELb1EEES5_EEvT2_T3_T4_T5_T6_T7_T8_mmmPKNSH_IJT9_bEEE,comdat
	.protected	_ZN7rocprim6detail25device_scan_by_key_kernelILNS0_25lookback_scan_determinismE0ELb1ENS0_26wrapped_scan_by_key_configINS_14default_configEi6__halfEEPiN6hipcub22TransformInputIteratorIS5_NS8_6CastOpIS5_EEPS5_lEESC_S5_NS8_8EqualityENS8_3SumENS0_19lookback_scan_stateINS_5tupleIJS5_bEEELb0ELb1EEES5_EEvT2_T3_T4_T5_T6_T7_T8_mmmPKNSH_IJT9_bEEE ; -- Begin function _ZN7rocprim6detail25device_scan_by_key_kernelILNS0_25lookback_scan_determinismE0ELb1ENS0_26wrapped_scan_by_key_configINS_14default_configEi6__halfEEPiN6hipcub22TransformInputIteratorIS5_NS8_6CastOpIS5_EEPS5_lEESC_S5_NS8_8EqualityENS8_3SumENS0_19lookback_scan_stateINS_5tupleIJS5_bEEELb0ELb1EEES5_EEvT2_T3_T4_T5_T6_T7_T8_mmmPKNSH_IJT9_bEEE
	.globl	_ZN7rocprim6detail25device_scan_by_key_kernelILNS0_25lookback_scan_determinismE0ELb1ENS0_26wrapped_scan_by_key_configINS_14default_configEi6__halfEEPiN6hipcub22TransformInputIteratorIS5_NS8_6CastOpIS5_EEPS5_lEESC_S5_NS8_8EqualityENS8_3SumENS0_19lookback_scan_stateINS_5tupleIJS5_bEEELb0ELb1EEES5_EEvT2_T3_T4_T5_T6_T7_T8_mmmPKNSH_IJT9_bEEE
	.p2align	8
	.type	_ZN7rocprim6detail25device_scan_by_key_kernelILNS0_25lookback_scan_determinismE0ELb1ENS0_26wrapped_scan_by_key_configINS_14default_configEi6__halfEEPiN6hipcub22TransformInputIteratorIS5_NS8_6CastOpIS5_EEPS5_lEESC_S5_NS8_8EqualityENS8_3SumENS0_19lookback_scan_stateINS_5tupleIJS5_bEEELb0ELb1EEES5_EEvT2_T3_T4_T5_T6_T7_T8_mmmPKNSH_IJT9_bEEE,@function
_ZN7rocprim6detail25device_scan_by_key_kernelILNS0_25lookback_scan_determinismE0ELb1ENS0_26wrapped_scan_by_key_configINS_14default_configEi6__halfEEPiN6hipcub22TransformInputIteratorIS5_NS8_6CastOpIS5_EEPS5_lEESC_S5_NS8_8EqualityENS8_3SumENS0_19lookback_scan_stateINS_5tupleIJS5_bEEELb0ELb1EEES5_EEvT2_T3_T4_T5_T6_T7_T8_mmmPKNSH_IJT9_bEEE: ; @_ZN7rocprim6detail25device_scan_by_key_kernelILNS0_25lookback_scan_determinismE0ELb1ENS0_26wrapped_scan_by_key_configINS_14default_configEi6__halfEEPiN6hipcub22TransformInputIteratorIS5_NS8_6CastOpIS5_EEPS5_lEESC_S5_NS8_8EqualityENS8_3SumENS0_19lookback_scan_stateINS_5tupleIJS5_bEEELb0ELb1EEES5_EEvT2_T3_T4_T5_T6_T7_T8_mmmPKNSH_IJT9_bEEE
; %bb.0:
	s_load_dwordx4 s[4:7], s[0:1], 0x0
	s_load_dword s74, s[0:1], 0x20
	s_load_dwordx8 s[56:63], s[0:1], 0x28
	s_load_dwordx2 s[66:67], s[0:1], 0x48
	s_mul_i32 s8, s2, 0x1800
	s_mov_b32 s9, 0
	s_lshl_b64 s[10:11], s[8:9], 2
	s_waitcnt lgkmcnt(0)
	s_add_u32 s70, s4, s10
	s_addc_u32 s71, s5, s11
	s_lshl_b64 s[64:65], s[8:9], 1
	s_add_u32 s68, s6, s64
	s_addc_u32 s69, s7, s65
	s_add_u32 s6, s2, s60
	s_addc_u32 s7, 0, s61
	s_add_u32 s8, s62, -1
	s_addc_u32 s9, s63, -1
	v_mov_b64_e32 v[2:3], s[8:9]
	v_cmp_ge_u64_e64 s[54:55], s[6:7], v[2:3]
	s_mov_b64 s[4:5], -1
	s_and_b64 vcc, exec, s[54:55]
	s_mul_i32 s33, s8, 0xffffe800
	s_cbranch_vccz .LBB97_126
; %bb.1:
	s_load_dword s3, s[70:71], 0x0
	s_add_i32 s59, s33, s58
	v_mov_b32_e32 v27, 0
	v_lshlrev_b32_e32 v26, 2, v0
	v_lshl_add_u64 v[2:3], s[70:71], 0, v[26:27]
	v_cmp_gt_u32_e64 s[4:5], s59, v0
	s_waitcnt lgkmcnt(0)
	v_mov_b32_e32 v1, s3
	s_and_saveexec_b64 s[6:7], s[4:5]
	s_cbranch_execz .LBB97_3
; %bb.2:
	global_load_dword v1, v[2:3], off
.LBB97_3:
	s_or_b64 exec, exec, s[6:7]
	v_or_b32_e32 v4, 0x100, v0
	v_cmp_gt_u32_e64 s[6:7], s59, v4
	v_mov_b32_e32 v4, s3
	s_and_saveexec_b64 s[8:9], s[6:7]
	s_cbranch_execz .LBB97_5
; %bb.4:
	global_load_dword v4, v[2:3], off offset:1024
.LBB97_5:
	s_or_b64 exec, exec, s[8:9]
	v_or_b32_e32 v5, 0x200, v0
	v_cmp_gt_u32_e64 s[8:9], s59, v5
	v_mov_b32_e32 v5, s3
	s_and_saveexec_b64 s[10:11], s[8:9]
	s_cbranch_execz .LBB97_7
; %bb.6:
	global_load_dword v5, v[2:3], off offset:2048
.LBB97_7:
	s_or_b64 exec, exec, s[10:11]
	v_or_b32_e32 v6, 0x300, v0
	v_cmp_gt_u32_e64 s[10:11], s59, v6
	v_mov_b32_e32 v6, s3
	s_and_saveexec_b64 s[12:13], s[10:11]
	s_cbranch_execz .LBB97_9
; %bb.8:
	global_load_dword v6, v[2:3], off offset:3072
.LBB97_9:
	s_or_b64 exec, exec, s[12:13]
	v_or_b32_e32 v7, 0x400, v0
	v_cmp_gt_u32_e64 s[12:13], s59, v7
	v_mov_b32_e32 v7, s3
	s_and_saveexec_b64 s[14:15], s[12:13]
	s_cbranch_execz .LBB97_11
; %bb.10:
	v_add_co_u32_e32 v8, vcc, 0x1000, v2
	s_nop 1
	v_addc_co_u32_e32 v9, vcc, 0, v3, vcc
	global_load_dword v7, v[8:9], off
.LBB97_11:
	s_or_b64 exec, exec, s[14:15]
	v_or_b32_e32 v8, 0x500, v0
	v_cmp_gt_u32_e64 s[14:15], s59, v8
	v_mov_b32_e32 v8, s3
	s_and_saveexec_b64 s[16:17], s[14:15]
	s_cbranch_execz .LBB97_13
; %bb.12:
	v_add_co_u32_e32 v8, vcc, 0x1000, v2
	s_nop 1
	v_addc_co_u32_e32 v9, vcc, 0, v3, vcc
	global_load_dword v8, v[8:9], off offset:1024
.LBB97_13:
	s_or_b64 exec, exec, s[16:17]
	v_or_b32_e32 v9, 0x600, v0
	v_cmp_gt_u32_e64 s[16:17], s59, v9
	v_mov_b32_e32 v9, s3
	s_and_saveexec_b64 s[18:19], s[16:17]
	s_cbranch_execz .LBB97_15
; %bb.14:
	v_add_co_u32_e32 v10, vcc, 0x1000, v2
	s_nop 1
	v_addc_co_u32_e32 v11, vcc, 0, v3, vcc
	global_load_dword v9, v[10:11], off offset:2048
.LBB97_15:
	s_or_b64 exec, exec, s[18:19]
	v_or_b32_e32 v10, 0x700, v0
	v_cmp_gt_u32_e64 s[18:19], s59, v10
	v_mov_b32_e32 v10, s3
	s_and_saveexec_b64 s[20:21], s[18:19]
	s_cbranch_execz .LBB97_17
; %bb.16:
	v_add_co_u32_e32 v10, vcc, 0x1000, v2
	s_nop 1
	v_addc_co_u32_e32 v11, vcc, 0, v3, vcc
	global_load_dword v10, v[10:11], off offset:3072
.LBB97_17:
	s_or_b64 exec, exec, s[20:21]
	v_or_b32_e32 v11, 0x800, v0
	v_cmp_gt_u32_e64 s[20:21], s59, v11
	v_mov_b32_e32 v11, s3
	s_and_saveexec_b64 s[22:23], s[20:21]
	s_cbranch_execz .LBB97_19
; %bb.18:
	v_add_co_u32_e32 v12, vcc, 0x2000, v2
	s_nop 1
	v_addc_co_u32_e32 v13, vcc, 0, v3, vcc
	global_load_dword v11, v[12:13], off
.LBB97_19:
	s_or_b64 exec, exec, s[22:23]
	v_or_b32_e32 v12, 0x900, v0
	v_cmp_gt_u32_e64 s[22:23], s59, v12
	v_mov_b32_e32 v12, s3
	s_and_saveexec_b64 s[24:25], s[22:23]
	s_cbranch_execz .LBB97_21
; %bb.20:
	v_add_co_u32_e32 v12, vcc, 0x2000, v2
	s_nop 1
	v_addc_co_u32_e32 v13, vcc, 0, v3, vcc
	global_load_dword v12, v[12:13], off offset:1024
.LBB97_21:
	s_or_b64 exec, exec, s[24:25]
	v_or_b32_e32 v13, 0xa00, v0
	v_cmp_gt_u32_e64 s[24:25], s59, v13
	v_mov_b32_e32 v13, s3
	s_and_saveexec_b64 s[26:27], s[24:25]
	s_cbranch_execz .LBB97_23
; %bb.22:
	v_add_co_u32_e32 v14, vcc, 0x2000, v2
	s_nop 1
	v_addc_co_u32_e32 v15, vcc, 0, v3, vcc
	global_load_dword v13, v[14:15], off offset:2048
.LBB97_23:
	s_or_b64 exec, exec, s[26:27]
	v_or_b32_e32 v14, 0xb00, v0
	v_cmp_gt_u32_e64 s[26:27], s59, v14
	v_mov_b32_e32 v14, s3
	s_and_saveexec_b64 s[28:29], s[26:27]
	s_cbranch_execz .LBB97_25
; %bb.24:
	v_add_co_u32_e32 v14, vcc, 0x2000, v2
	s_nop 1
	v_addc_co_u32_e32 v15, vcc, 0, v3, vcc
	global_load_dword v14, v[14:15], off offset:3072
.LBB97_25:
	;; [unrolled: 48-line block ×5, first 2 shown]
	s_or_b64 exec, exec, s[60:61]
	s_movk_i32 s3, 0x5c
	s_waitcnt vmcnt(0)
	ds_write2st64_b32 v26, v1, v4 offset1:4
	ds_write2st64_b32 v26, v5, v6 offset0:8 offset1:12
	ds_write2st64_b32 v26, v7, v8 offset0:16 offset1:20
	;; [unrolled: 1-line block ×11, first 2 shown]
	v_mad_u32_u24 v1, v0, s3, v26
	s_waitcnt lgkmcnt(0)
	s_barrier
	ds_read_b128 v[22:25], v1
	ds_read_b128 v[18:21], v1 offset:16
	ds_read_b128 v[14:17], v1 offset:32
	;; [unrolled: 1-line block ×5, first 2 shown]
	s_load_dword s3, s[70:71], 0x0
	s_movk_i32 s60, 0xffa4
	v_mad_i32_i24 v1, v0, s60, v1
	s_movk_i32 s60, 0xff
	v_cmp_ne_u32_e32 vcc, s60, v0
	s_waitcnt lgkmcnt(0)
	v_mov_b32_e32 v76, s3
	ds_write_b32 v1, v22 offset:25600
	s_waitcnt lgkmcnt(0)
	s_barrier
	s_and_saveexec_b64 s[60:61], vcc
	s_cbranch_execz .LBB97_51
; %bb.50:
	ds_read_b32 v76, v26 offset:25604
.LBB97_51:
	s_or_b64 exec, exec, s[60:61]
	v_lshlrev_b32_e32 v26, 1, v0
	v_mov_b32_e32 v27, 0
	v_lshl_add_u64 v[28:29], s[68:69], 0, v[26:27]
	s_waitcnt lgkmcnt(0)
	s_barrier
	s_waitcnt lgkmcnt(0)
                                        ; implicit-def: $vgpr27
	s_and_saveexec_b64 s[60:61], s[4:5]
	s_cbranch_execz .LBB97_201
; %bb.52:
	global_load_ushort v27, v[28:29], off
	s_or_b64 exec, exec, s[60:61]
                                        ; implicit-def: $vgpr30
	s_and_saveexec_b64 s[4:5], s[6:7]
	s_cbranch_execnz .LBB97_202
.LBB97_53:
	s_or_b64 exec, exec, s[4:5]
                                        ; implicit-def: $vgpr31
	s_and_saveexec_b64 s[4:5], s[8:9]
	s_cbranch_execz .LBB97_203
.LBB97_54:
	global_load_ushort v31, v[28:29], off offset:1024
	s_or_b64 exec, exec, s[4:5]
                                        ; implicit-def: $vgpr32
	s_and_saveexec_b64 s[4:5], s[10:11]
	s_cbranch_execnz .LBB97_204
.LBB97_55:
	s_or_b64 exec, exec, s[4:5]
                                        ; implicit-def: $vgpr33
	s_and_saveexec_b64 s[4:5], s[12:13]
	s_cbranch_execz .LBB97_205
.LBB97_56:
	global_load_ushort v33, v[28:29], off offset:2048
	s_or_b64 exec, exec, s[4:5]
                                        ; implicit-def: $vgpr34
	s_and_saveexec_b64 s[4:5], s[14:15]
	s_cbranch_execnz .LBB97_206
.LBB97_57:
	s_or_b64 exec, exec, s[4:5]
                                        ; implicit-def: $vgpr35
	s_and_saveexec_b64 s[4:5], s[16:17]
	s_cbranch_execz .LBB97_207
.LBB97_58:
	global_load_ushort v35, v[28:29], off offset:3072
	s_or_b64 exec, exec, s[4:5]
                                        ; implicit-def: $vgpr36
	s_and_saveexec_b64 s[4:5], s[18:19]
	s_cbranch_execnz .LBB97_208
.LBB97_59:
	s_or_b64 exec, exec, s[4:5]
                                        ; implicit-def: $vgpr37
	s_and_saveexec_b64 s[4:5], s[20:21]
	s_cbranch_execz .LBB97_209
.LBB97_60:
	v_add_co_u32_e32 v38, vcc, 0x1000, v28
	s_nop 1
	v_addc_co_u32_e32 v39, vcc, 0, v29, vcc
	global_load_ushort v37, v[38:39], off
	s_or_b64 exec, exec, s[4:5]
                                        ; implicit-def: $vgpr38
	s_and_saveexec_b64 s[4:5], s[22:23]
	s_cbranch_execnz .LBB97_210
.LBB97_61:
	s_or_b64 exec, exec, s[4:5]
                                        ; implicit-def: $vgpr39
	s_and_saveexec_b64 s[4:5], s[24:25]
	s_cbranch_execz .LBB97_211
.LBB97_62:
	v_add_co_u32_e32 v40, vcc, 0x1000, v28
	s_nop 1
	v_addc_co_u32_e32 v41, vcc, 0, v29, vcc
	global_load_ushort v39, v[40:41], off offset:1024
	s_or_b64 exec, exec, s[4:5]
                                        ; implicit-def: $vgpr40
	s_and_saveexec_b64 s[4:5], s[26:27]
	s_cbranch_execnz .LBB97_212
.LBB97_63:
	s_or_b64 exec, exec, s[4:5]
                                        ; implicit-def: $vgpr41
	s_and_saveexec_b64 s[4:5], s[28:29]
	s_cbranch_execz .LBB97_213
.LBB97_64:
	v_add_co_u32_e32 v42, vcc, 0x1000, v28
	s_nop 1
	v_addc_co_u32_e32 v43, vcc, 0, v29, vcc
	global_load_ushort v41, v[42:43], off offset:2048
	s_or_b64 exec, exec, s[4:5]
                                        ; implicit-def: $vgpr42
	s_and_saveexec_b64 s[4:5], s[30:31]
	s_cbranch_execnz .LBB97_214
.LBB97_65:
	s_or_b64 exec, exec, s[4:5]
                                        ; implicit-def: $vgpr43
	s_and_saveexec_b64 s[4:5], s[34:35]
	s_cbranch_execz .LBB97_215
.LBB97_66:
	v_add_co_u32_e32 v44, vcc, 0x1000, v28
	s_nop 1
	v_addc_co_u32_e32 v45, vcc, 0, v29, vcc
	global_load_ushort v43, v[44:45], off offset:3072
	s_or_b64 exec, exec, s[4:5]
                                        ; implicit-def: $vgpr44
	s_and_saveexec_b64 s[4:5], s[36:37]
	s_cbranch_execnz .LBB97_216
.LBB97_67:
	s_or_b64 exec, exec, s[4:5]
                                        ; implicit-def: $vgpr45
	s_and_saveexec_b64 s[4:5], s[38:39]
	s_cbranch_execz .LBB97_217
.LBB97_68:
	v_add_co_u32_e32 v46, vcc, 0x2000, v28
	s_nop 1
	v_addc_co_u32_e32 v47, vcc, 0, v29, vcc
	global_load_ushort v45, v[46:47], off
	s_or_b64 exec, exec, s[4:5]
                                        ; implicit-def: $vgpr46
	s_and_saveexec_b64 s[4:5], s[40:41]
	s_cbranch_execnz .LBB97_218
.LBB97_69:
	s_or_b64 exec, exec, s[4:5]
                                        ; implicit-def: $vgpr47
	s_and_saveexec_b64 s[4:5], s[42:43]
	s_cbranch_execz .LBB97_219
.LBB97_70:
	v_add_co_u32_e32 v48, vcc, 0x2000, v28
	s_nop 1
	v_addc_co_u32_e32 v49, vcc, 0, v29, vcc
	global_load_ushort v47, v[48:49], off offset:1024
	s_or_b64 exec, exec, s[4:5]
                                        ; implicit-def: $vgpr48
	s_and_saveexec_b64 s[4:5], s[44:45]
	s_cbranch_execnz .LBB97_220
.LBB97_71:
	s_or_b64 exec, exec, s[4:5]
                                        ; implicit-def: $vgpr49
	s_and_saveexec_b64 s[4:5], s[46:47]
	s_cbranch_execz .LBB97_221
.LBB97_72:
	v_add_co_u32_e32 v50, vcc, 0x2000, v28
	s_nop 1
	v_addc_co_u32_e32 v51, vcc, 0, v29, vcc
	global_load_ushort v49, v[50:51], off offset:2048
	s_or_b64 exec, exec, s[4:5]
                                        ; implicit-def: $vgpr50
	s_and_saveexec_b64 s[4:5], s[48:49]
	s_cbranch_execnz .LBB97_222
.LBB97_73:
	s_or_b64 exec, exec, s[4:5]
                                        ; implicit-def: $vgpr51
	s_and_saveexec_b64 s[4:5], s[50:51]
	s_cbranch_execz .LBB97_75
.LBB97_74:
	v_add_co_u32_e32 v52, vcc, 0x2000, v28
	s_nop 1
	v_addc_co_u32_e32 v53, vcc, 0, v29, vcc
	global_load_ushort v51, v[52:53], off offset:3072
.LBB97_75:
	s_or_b64 exec, exec, s[4:5]
	v_mul_u32_u24_e32 v77, 24, v0
                                        ; implicit-def: $vgpr52
	s_and_saveexec_b64 s[4:5], s[52:53]
	s_cbranch_execz .LBB97_77
; %bb.76:
	v_add_co_u32_e32 v28, vcc, 0x2000, v28
	s_nop 1
	v_addc_co_u32_e32 v29, vcc, 0, v29, vcc
	global_load_ushort v52, v[28:29], off offset:3584
.LBB97_77:
	s_or_b64 exec, exec, s[4:5]
	v_sub_u32_e32 v26, v1, v26
	s_waitcnt vmcnt(0)
	ds_write_b16 v26, v27
	ds_write_b16 v26, v30 offset:512
	ds_write_b16 v26, v31 offset:1024
	;; [unrolled: 1-line block ×23, first 2 shown]
	v_cmp_gt_u32_e32 vcc, s59, v77
	s_mov_b64 s[4:5], 0
	s_mov_b32 s3, 0
	v_mov_b32_e32 v37, 0
	v_mov_b32_e32 v31, 0
	;; [unrolled: 1-line block ×24, first 2 shown]
	s_mov_b64 s[10:11], 0
	v_mov_b32_e32 v48, 0
	v_mov_b32_e32 v50, 0
	;; [unrolled: 1-line block ×22, first 2 shown]
	s_waitcnt lgkmcnt(0)
	s_barrier
	s_waitcnt lgkmcnt(0)
                                        ; implicit-def: $sgpr8_sgpr9
                                        ; implicit-def: $vgpr75
	s_and_saveexec_b64 s[6:7], vcc
	s_cbranch_execz .LBB97_125
; %bb.78:
	v_mad_u32_u24 v1, v0, 46, v26
	ds_read_u16 v1, v1
	v_or_b32_e32 v27, 1, v77
	v_cmp_ne_u32_e32 vcc, v22, v23
	v_mov_b32_e32 v22, s74
	v_mov_b32_e32 v31, 0
	v_cndmask_b32_e64 v37, 0, 1, vcc
	s_waitcnt lgkmcnt(0)
	v_cndmask_b32_e32 v1, v1, v22, vcc
	v_cmp_gt_u32_e32 vcc, s59, v27
	v_mov_b32_e32 v48, 0
	v_mov_b32_e32 v50, 0
	;; [unrolled: 1-line block ×43, first 2 shown]
                                        ; implicit-def: $sgpr14_sgpr15
                                        ; implicit-def: $vgpr75
	s_and_saveexec_b64 s[8:9], vcc
	s_cbranch_execz .LBB97_124
; %bb.79:
	v_mul_u32_u24_e32 v22, 46, v0
	v_add_u32_e32 v22, v26, v22
	ds_read_b128 v[26:29], v22 offset:2
	v_or_b32_e32 v31, 2, v77
	v_cmp_ne_u32_e32 vcc, v23, v24
	v_mov_b32_e32 v23, s74
	s_mov_b64 s[12:13], 0
	v_cndmask_b32_e64 v41, 0, 1, vcc
	s_waitcnt lgkmcnt(0)
	v_cndmask_b32_e32 v30, v26, v23, vcc
	v_cmp_gt_u32_e32 vcc, s59, v31
	v_mov_b32_e32 v31, 0
	v_mov_b32_e32 v48, 0
	;; [unrolled: 1-line block ×42, first 2 shown]
                                        ; implicit-def: $sgpr16_sgpr17
                                        ; implicit-def: $vgpr75
	s_and_saveexec_b64 s[10:11], vcc
	s_cbranch_execz .LBB97_123
; %bb.80:
	v_lshrrev_b32_e32 v23, 16, v26
	v_or_b32_e32 v26, 3, v77
	v_cmp_ne_u32_e32 vcc, v24, v25
	v_mov_b32_e32 v24, s74
	s_mov_b64 s[14:15], 0
	v_cndmask_b32_e64 v42, 0, 1, vcc
	v_cndmask_b32_e32 v38, v23, v24, vcc
	v_cmp_gt_u32_e32 vcc, s59, v26
	v_mov_b32_e32 v31, 0
	v_mov_b32_e32 v48, 0
	;; [unrolled: 1-line block ×40, first 2 shown]
                                        ; implicit-def: $sgpr18_sgpr19
                                        ; implicit-def: $vgpr75
	s_and_saveexec_b64 s[12:13], vcc
	s_cbranch_execz .LBB97_122
; %bb.81:
	v_or_b32_e32 v23, 4, v77
	v_cmp_ne_u32_e32 vcc, v25, v18
	v_mov_b32_e32 v24, s74
	s_mov_b64 s[16:17], 0
	v_cndmask_b32_e64 v43, 0, 1, vcc
	v_cndmask_b32_e32 v39, v27, v24, vcc
	v_cmp_gt_u32_e32 vcc, s59, v23
	v_mov_b32_e32 v31, 0
	v_mov_b32_e32 v48, 0
	;; [unrolled: 1-line block ×38, first 2 shown]
                                        ; implicit-def: $sgpr20_sgpr21
                                        ; implicit-def: $vgpr75
	s_and_saveexec_b64 s[14:15], vcc
	s_cbranch_execz .LBB97_121
; %bb.82:
	v_lshrrev_b32_e32 v23, 16, v27
	v_or_b32_e32 v24, 5, v77
	v_cmp_ne_u32_e32 vcc, v18, v19
	v_mov_b32_e32 v18, s74
	s_mov_b64 s[18:19], 0
	v_cndmask_b32_e64 v44, 0, 1, vcc
	v_cndmask_b32_e32 v40, v23, v18, vcc
	v_cmp_gt_u32_e32 vcc, s59, v24
	v_mov_b32_e32 v31, 0
	v_mov_b32_e32 v48, 0
	v_mov_b32_e32 v50, 0
	v_mov_b32_e32 v51, 0
	v_mov_b32_e32 v52, 0
	v_mov_b32_e32 v54, 0
	v_mov_b32_e32 v56, 0
	v_mov_b32_e32 v58, 0
	v_mov_b32_e32 v60, 0
	v_mov_b32_e32 v63, 0
	v_mov_b32_e32 v61, 0
	v_mov_b32_e32 v45, 0
	v_mov_b32_e32 v62, 0
	v_mov_b32_e32 v59, 0
	v_mov_b32_e32 v46, 0
	v_mov_b32_e32 v57, 0
	v_mov_b32_e32 v55, 0
	v_mov_b32_e32 v49, 0
	v_mov_b32_e32 v53, 0
	v_mov_b32_e32 v36, 0
	v_mov_b32_e32 v74, 0
	v_mov_b32_e32 v35, 0
	v_mov_b32_e32 v73, 0
	v_mov_b32_e32 v34, 0
	v_mov_b32_e32 v72, 0
	v_mov_b32_e32 v71, 0
	v_mov_b32_e32 v70, 0
	v_mov_b32_e32 v69, 0
	v_mov_b32_e32 v68, 0
	v_mov_b32_e32 v32, 0
	v_mov_b32_e32 v67, 0
	v_mov_b32_e32 v66, 0
	v_mov_b32_e32 v47, 0
	v_mov_b32_e32 v65, 0
	v_mov_b32_e32 v64, 0
	v_mov_b32_e32 v33, 0
                                        ; implicit-def: $sgpr22_sgpr23
                                        ; implicit-def: $vgpr75
	s_and_saveexec_b64 s[16:17], vcc
	s_cbranch_execz .LBB97_120
; %bb.83:
	v_or_b32_e32 v18, 6, v77
	v_cmp_ne_u32_e32 vcc, v19, v20
	v_mov_b32_e32 v19, s74
	s_mov_b64 s[20:21], 0
	v_cndmask_b32_e64 v45, 0, 1, vcc
	v_cndmask_b32_e32 v32, v28, v19, vcc
	v_cmp_gt_u32_e32 vcc, s59, v18
	v_mov_b32_e32 v31, 0
	v_mov_b32_e32 v48, 0
	;; [unrolled: 1-line block ×34, first 2 shown]
                                        ; implicit-def: $sgpr24_sgpr25
                                        ; implicit-def: $vgpr75
	s_and_saveexec_b64 s[18:19], vcc
	s_cbranch_execz .LBB97_119
; %bb.84:
	v_lshrrev_b32_e32 v18, 16, v28
	v_or_b32_e32 v19, 7, v77
	v_cmp_ne_u32_e32 vcc, v20, v21
	v_mov_b32_e32 v20, s74
	s_mov_b64 s[22:23], 0
	v_cndmask_b32_e64 v46, 0, 1, vcc
	v_cndmask_b32_e32 v47, v18, v20, vcc
	v_cmp_gt_u32_e32 vcc, s59, v19
	v_mov_b32_e32 v31, 0
	v_mov_b32_e32 v48, 0
	;; [unrolled: 1-line block ×32, first 2 shown]
                                        ; implicit-def: $sgpr26_sgpr27
                                        ; implicit-def: $vgpr75
	s_and_saveexec_b64 s[20:21], vcc
	s_cbranch_execz .LBB97_118
; %bb.85:
	v_add_u32_e32 v18, 8, v77
	v_cmp_ne_u32_e32 vcc, v21, v14
	v_mov_b32_e32 v19, s74
	s_mov_b64 s[24:25], 0
	v_cndmask_b32_e64 v49, 0, 1, vcc
	v_cndmask_b32_e32 v33, v29, v19, vcc
	v_cmp_gt_u32_e32 vcc, s59, v18
	v_mov_b32_e32 v31, 0
	v_mov_b32_e32 v48, 0
	v_mov_b32_e32 v50, 0
	v_mov_b32_e32 v51, 0
	v_mov_b32_e32 v52, 0
	v_mov_b32_e32 v54, 0
	v_mov_b32_e32 v56, 0
	v_mov_b32_e32 v58, 0
	v_mov_b32_e32 v60, 0
	v_mov_b32_e32 v63, 0
	v_mov_b32_e32 v61, 0
	v_mov_b32_e32 v62, 0
	v_mov_b32_e32 v59, 0
	v_mov_b32_e32 v57, 0
	v_mov_b32_e32 v55, 0
	v_mov_b32_e32 v53, 0
	v_mov_b32_e32 v36, 0
	v_mov_b32_e32 v74, 0
	v_mov_b32_e32 v35, 0
	v_mov_b32_e32 v73, 0
	v_mov_b32_e32 v34, 0
	v_mov_b32_e32 v72, 0
	v_mov_b32_e32 v71, 0
	v_mov_b32_e32 v70, 0
	v_mov_b32_e32 v69, 0
	v_mov_b32_e32 v68, 0
	v_mov_b32_e32 v67, 0
	v_mov_b32_e32 v66, 0
	v_mov_b32_e32 v65, 0
	v_mov_b32_e32 v64, 0
                                        ; implicit-def: $sgpr28_sgpr29
                                        ; implicit-def: $vgpr75
	s_and_saveexec_b64 s[22:23], vcc
	s_cbranch_execz .LBB97_117
; %bb.86:
	v_lshrrev_b32_e32 v18, 16, v29
	v_add_u32_e32 v19, 9, v77
	v_cmp_ne_u32_e32 vcc, v14, v15
	v_mov_b32_e32 v14, s74
	s_mov_b64 s[26:27], 0
	v_cndmask_b32_e64 v53, 0, 1, vcc
	v_cndmask_b32_e32 v64, v18, v14, vcc
	v_cmp_gt_u32_e32 vcc, s59, v19
	v_mov_b32_e32 v31, 0
	v_mov_b32_e32 v48, 0
	v_mov_b32_e32 v50, 0
	v_mov_b32_e32 v51, 0
	v_mov_b32_e32 v52, 0
	v_mov_b32_e32 v54, 0
	v_mov_b32_e32 v56, 0
	v_mov_b32_e32 v58, 0
	v_mov_b32_e32 v60, 0
	v_mov_b32_e32 v63, 0
	v_mov_b32_e32 v61, 0
	v_mov_b32_e32 v62, 0
	v_mov_b32_e32 v59, 0
	v_mov_b32_e32 v57, 0
	v_mov_b32_e32 v55, 0
	v_mov_b32_e32 v36, 0
	v_mov_b32_e32 v74, 0
	v_mov_b32_e32 v35, 0
	v_mov_b32_e32 v73, 0
	v_mov_b32_e32 v34, 0
	v_mov_b32_e32 v72, 0
	v_mov_b32_e32 v71, 0
	v_mov_b32_e32 v70, 0
	v_mov_b32_e32 v69, 0
	v_mov_b32_e32 v68, 0
	v_mov_b32_e32 v67, 0
	v_mov_b32_e32 v66, 0
	v_mov_b32_e32 v65, 0
                                        ; implicit-def: $sgpr30_sgpr31
                                        ; implicit-def: $vgpr75
	s_and_saveexec_b64 s[24:25], vcc
	s_cbranch_execz .LBB97_116
; %bb.87:
	ds_read_b128 v[18:21], v22 offset:18
	v_add_u32_e32 v14, 10, v77
	v_cmp_ne_u32_e32 vcc, v15, v16
	v_mov_b32_e32 v15, s74
	s_mov_b64 s[28:29], 0
	v_cndmask_b32_e64 v55, 0, 1, vcc
	s_waitcnt lgkmcnt(0)
	v_cndmask_b32_e32 v65, v18, v15, vcc
	v_cmp_gt_u32_e32 vcc, s59, v14
	v_mov_b32_e32 v31, 0
	v_mov_b32_e32 v48, 0
	;; [unrolled: 1-line block ×26, first 2 shown]
                                        ; implicit-def: $sgpr34_sgpr35
                                        ; implicit-def: $vgpr75
	s_and_saveexec_b64 s[26:27], vcc
	s_cbranch_execz .LBB97_115
; %bb.88:
	v_lshrrev_b32_e32 v14, 16, v18
	v_add_u32_e32 v15, 11, v77
	v_cmp_ne_u32_e32 vcc, v16, v17
	v_mov_b32_e32 v16, s74
	s_mov_b64 s[30:31], 0
	v_cndmask_b32_e64 v57, 0, 1, vcc
	v_cndmask_b32_e32 v66, v14, v16, vcc
	v_cmp_gt_u32_e32 vcc, s59, v15
	v_mov_b32_e32 v31, 0
	v_mov_b32_e32 v48, 0
	;; [unrolled: 1-line block ×24, first 2 shown]
                                        ; implicit-def: $sgpr36_sgpr37
                                        ; implicit-def: $vgpr75
	s_and_saveexec_b64 s[28:29], vcc
	s_cbranch_execz .LBB97_114
; %bb.89:
	v_add_u32_e32 v14, 12, v77
	v_cmp_ne_u32_e32 vcc, v17, v10
	v_mov_b32_e32 v15, s74
	s_mov_b64 s[34:35], 0
	v_cndmask_b32_e64 v59, 0, 1, vcc
	v_cndmask_b32_e32 v67, v19, v15, vcc
	v_cmp_gt_u32_e32 vcc, s59, v14
	v_mov_b32_e32 v31, 0
	v_mov_b32_e32 v48, 0
	;; [unrolled: 1-line block ×22, first 2 shown]
                                        ; implicit-def: $sgpr38_sgpr39
                                        ; implicit-def: $vgpr75
	s_and_saveexec_b64 s[30:31], vcc
	s_cbranch_execz .LBB97_113
; %bb.90:
	v_lshrrev_b32_e32 v14, 16, v19
	v_add_u32_e32 v15, 13, v77
	v_cmp_ne_u32_e32 vcc, v10, v11
	v_mov_b32_e32 v10, s74
	s_mov_b64 s[36:37], 0
	v_cndmask_b32_e64 v62, 0, 1, vcc
	v_cndmask_b32_e32 v68, v14, v10, vcc
	v_cmp_gt_u32_e32 vcc, s59, v15
	v_mov_b32_e32 v31, 0
	v_mov_b32_e32 v48, 0
	;; [unrolled: 1-line block ×20, first 2 shown]
                                        ; implicit-def: $sgpr40_sgpr41
                                        ; implicit-def: $vgpr75
	s_and_saveexec_b64 s[34:35], vcc
	s_cbranch_execz .LBB97_112
; %bb.91:
	v_add_u32_e32 v10, 14, v77
	v_cmp_ne_u32_e32 vcc, v11, v12
	v_mov_b32_e32 v11, s74
	s_mov_b64 s[38:39], 0
	v_cndmask_b32_e64 v61, 0, 1, vcc
	v_cndmask_b32_e32 v69, v20, v11, vcc
	v_cmp_gt_u32_e32 vcc, s59, v10
	v_mov_b32_e32 v31, 0
	v_mov_b32_e32 v48, 0
	;; [unrolled: 1-line block ×18, first 2 shown]
                                        ; implicit-def: $sgpr42_sgpr43
                                        ; implicit-def: $vgpr75
	s_and_saveexec_b64 s[36:37], vcc
	s_cbranch_execz .LBB97_111
; %bb.92:
	v_lshrrev_b32_e32 v10, 16, v20
	v_add_u32_e32 v11, 15, v77
	v_cmp_ne_u32_e32 vcc, v12, v13
	v_mov_b32_e32 v12, s74
	s_mov_b64 s[40:41], 0
	v_cndmask_b32_e64 v63, 0, 1, vcc
	v_cndmask_b32_e32 v70, v10, v12, vcc
	v_cmp_gt_u32_e32 vcc, s59, v11
	v_mov_b32_e32 v31, 0
	v_mov_b32_e32 v48, 0
	;; [unrolled: 1-line block ×16, first 2 shown]
                                        ; implicit-def: $sgpr44_sgpr45
                                        ; implicit-def: $vgpr75
	s_and_saveexec_b64 s[38:39], vcc
	s_cbranch_execz .LBB97_110
; %bb.93:
	v_add_u32_e32 v10, 16, v77
	v_cmp_ne_u32_e32 vcc, v13, v6
	v_mov_b32_e32 v11, s74
	s_mov_b64 s[42:43], 0
	v_cndmask_b32_e64 v60, 0, 1, vcc
	v_cndmask_b32_e32 v71, v21, v11, vcc
	v_cmp_gt_u32_e32 vcc, s59, v10
	v_mov_b32_e32 v31, 0
	v_mov_b32_e32 v48, 0
	;; [unrolled: 1-line block ×14, first 2 shown]
                                        ; implicit-def: $sgpr46_sgpr47
                                        ; implicit-def: $vgpr75
	s_and_saveexec_b64 s[40:41], vcc
	s_cbranch_execz .LBB97_109
; %bb.94:
	v_lshrrev_b32_e32 v10, 16, v21
	v_add_u32_e32 v11, 17, v77
	v_cmp_ne_u32_e32 vcc, v6, v7
	v_mov_b32_e32 v6, s74
	s_mov_b64 s[44:45], 0
	v_cndmask_b32_e64 v58, 0, 1, vcc
	v_cndmask_b32_e32 v72, v10, v6, vcc
	v_cmp_gt_u32_e32 vcc, s59, v11
	v_mov_b32_e32 v31, 0
	v_mov_b32_e32 v48, 0
	;; [unrolled: 1-line block ×12, first 2 shown]
                                        ; implicit-def: $sgpr48_sgpr49
                                        ; implicit-def: $vgpr75
	s_and_saveexec_b64 s[42:43], vcc
	s_cbranch_execz .LBB97_108
; %bb.95:
	ds_read_b96 v[10:12], v22 offset:34
	v_add_u32_e32 v6, 18, v77
	v_cmp_ne_u32_e32 vcc, v7, v8
	v_mov_b32_e32 v7, s74
	s_mov_b64 s[46:47], 0
	v_cndmask_b32_e64 v56, 0, 1, vcc
	s_waitcnt lgkmcnt(0)
	v_cndmask_b32_e32 v34, v10, v7, vcc
	v_cmp_gt_u32_e32 vcc, s59, v6
	v_mov_b32_e32 v31, 0
	v_mov_b32_e32 v48, 0
	v_mov_b32_e32 v50, 0
	v_mov_b32_e32 v51, 0
	v_mov_b32_e32 v52, 0
	v_mov_b32_e32 v54, 0
	v_mov_b32_e32 v36, 0
	v_mov_b32_e32 v74, 0
	v_mov_b32_e32 v35, 0
	v_mov_b32_e32 v73, 0
                                        ; implicit-def: $sgpr50_sgpr51
                                        ; implicit-def: $vgpr75
	s_and_saveexec_b64 s[44:45], vcc
	s_cbranch_execz .LBB97_107
; %bb.96:
	v_lshrrev_b32_e32 v6, 16, v10
	v_add_u32_e32 v7, 19, v77
	v_cmp_ne_u32_e32 vcc, v8, v9
	v_mov_b32_e32 v8, s74
	s_mov_b64 s[48:49], 0
	v_cndmask_b32_e64 v54, 0, 1, vcc
	v_cndmask_b32_e32 v73, v6, v8, vcc
	v_cmp_gt_u32_e32 vcc, s59, v7
	v_mov_b32_e32 v31, 0
	v_mov_b32_e32 v48, 0
	;; [unrolled: 1-line block ×8, first 2 shown]
                                        ; implicit-def: $sgpr50_sgpr51
                                        ; implicit-def: $vgpr75
	s_and_saveexec_b64 s[46:47], vcc
	s_cbranch_execz .LBB97_106
; %bb.97:
	v_add_u32_e32 v6, 20, v77
	v_cmp_ne_u32_e32 vcc, v9, v2
	v_mov_b32_e32 v7, s74
	s_mov_b64 s[52:53], 0
	v_cndmask_b32_e64 v52, 0, 1, vcc
	v_cndmask_b32_e32 v35, v11, v7, vcc
	v_cmp_gt_u32_e32 vcc, s59, v6
	v_mov_b32_e32 v31, 0
	v_mov_b32_e32 v48, 0
	;; [unrolled: 1-line block ×6, first 2 shown]
                                        ; implicit-def: $sgpr50_sgpr51
                                        ; implicit-def: $vgpr75
	s_and_saveexec_b64 s[48:49], vcc
	s_cbranch_execz .LBB97_105
; %bb.98:
	v_lshrrev_b32_e32 v6, 16, v11
	v_add_u32_e32 v7, 21, v77
	v_cmp_ne_u32_e32 vcc, v2, v3
	v_mov_b32_e32 v2, s74
	v_mov_b32_e32 v31, 0
	v_cndmask_b32_e64 v51, 0, 1, vcc
	v_cndmask_b32_e32 v74, v6, v2, vcc
	v_cmp_gt_u32_e32 vcc, s59, v7
	v_mov_b32_e32 v48, 0
	v_mov_b32_e32 v50, 0
	;; [unrolled: 1-line block ×3, first 2 shown]
                                        ; implicit-def: $sgpr60_sgpr61
                                        ; implicit-def: $vgpr75
	s_and_saveexec_b64 s[50:51], vcc
	s_cbranch_execz .LBB97_104
; %bb.99:
	v_add_u32_e32 v2, 22, v77
	v_cmp_ne_u32_e32 vcc, v3, v4
	v_mov_b32_e32 v3, s74
	s_mov_b64 s[62:63], 0
	v_cndmask_b32_e64 v50, 0, 1, vcc
	v_cndmask_b32_e32 v36, v12, v3, vcc
	v_cmp_gt_u32_e32 vcc, s59, v2
	v_mov_b32_e32 v31, 0
	v_mov_b32_e32 v48, 0
                                        ; implicit-def: $sgpr72_sgpr73
                                        ; implicit-def: $vgpr75
	s_and_saveexec_b64 s[52:53], vcc
	s_cbranch_execz .LBB97_103
; %bb.100:
	v_lshrrev_b32_e32 v2, 16, v12
	v_add_u32_e32 v3, 23, v77
	v_cmp_ne_u32_e32 vcc, v4, v5
	v_mov_b32_e32 v4, s74
	s_mov_b64 s[60:61], 0
	v_cndmask_b32_e64 v48, 0, 1, vcc
	v_cndmask_b32_e32 v31, v2, v4, vcc
	v_cmp_gt_u32_e32 vcc, s59, v3
                                        ; implicit-def: $sgpr62_sgpr63
                                        ; implicit-def: $vgpr75
	s_and_saveexec_b64 s[72:73], vcc
	s_xor_b64 s[72:73], exec, s[72:73]
	s_cbranch_execz .LBB97_102
; %bb.101:
	ds_read_u16 v2, v22 offset:46
	v_mov_b32_e32 v3, s74
	v_cmp_ne_u32_e32 vcc, v5, v76
	s_mov_b64 s[60:61], exec
	s_and_b64 s[62:63], vcc, exec
	s_waitcnt lgkmcnt(0)
	v_cndmask_b32_e32 v75, v2, v3, vcc
.LBB97_102:
	s_or_b64 exec, exec, s[72:73]
	s_and_b64 s[72:73], s[62:63], exec
	s_and_b64 s[62:63], s[60:61], exec
.LBB97_103:
	s_or_b64 exec, exec, s[52:53]
	s_and_b64 s[60:61], s[72:73], exec
	s_and_b64 s[52:53], s[62:63], exec
.LBB97_104:
	s_or_b64 exec, exec, s[50:51]
	s_and_b64 s[50:51], s[60:61], exec
	s_and_b64 s[52:53], s[52:53], exec
.LBB97_105:
	s_or_b64 exec, exec, s[48:49]
	s_and_b64 s[50:51], s[50:51], exec
	s_and_b64 s[48:49], s[52:53], exec
.LBB97_106:
	s_or_b64 exec, exec, s[46:47]
	s_and_b64 s[50:51], s[50:51], exec
	s_and_b64 s[46:47], s[48:49], exec
.LBB97_107:
	s_or_b64 exec, exec, s[44:45]
	s_and_b64 s[48:49], s[50:51], exec
	s_and_b64 s[44:45], s[46:47], exec
.LBB97_108:
	s_or_b64 exec, exec, s[42:43]
	s_and_b64 s[46:47], s[48:49], exec
	s_and_b64 s[42:43], s[44:45], exec
.LBB97_109:
	s_or_b64 exec, exec, s[40:41]
	s_and_b64 s[44:45], s[46:47], exec
	s_and_b64 s[40:41], s[42:43], exec
.LBB97_110:
	s_or_b64 exec, exec, s[38:39]
	s_and_b64 s[42:43], s[44:45], exec
	s_and_b64 s[38:39], s[40:41], exec
.LBB97_111:
	s_or_b64 exec, exec, s[36:37]
	s_and_b64 s[40:41], s[42:43], exec
	s_and_b64 s[36:37], s[38:39], exec
.LBB97_112:
	s_or_b64 exec, exec, s[34:35]
	s_and_b64 s[38:39], s[40:41], exec
	s_and_b64 s[34:35], s[36:37], exec
.LBB97_113:
	s_or_b64 exec, exec, s[30:31]
	s_and_b64 s[36:37], s[38:39], exec
	s_and_b64 s[30:31], s[34:35], exec
.LBB97_114:
	s_or_b64 exec, exec, s[28:29]
	s_and_b64 s[34:35], s[36:37], exec
	s_and_b64 s[28:29], s[30:31], exec
.LBB97_115:
	s_or_b64 exec, exec, s[26:27]
	s_and_b64 s[30:31], s[34:35], exec
	s_and_b64 s[26:27], s[28:29], exec
.LBB97_116:
	s_or_b64 exec, exec, s[24:25]
	s_and_b64 s[28:29], s[30:31], exec
	s_and_b64 s[24:25], s[26:27], exec
.LBB97_117:
	s_or_b64 exec, exec, s[22:23]
	s_and_b64 s[26:27], s[28:29], exec
	s_and_b64 s[22:23], s[24:25], exec
.LBB97_118:
	s_or_b64 exec, exec, s[20:21]
	s_and_b64 s[24:25], s[26:27], exec
	s_and_b64 s[20:21], s[22:23], exec
.LBB97_119:
	s_or_b64 exec, exec, s[18:19]
	s_and_b64 s[22:23], s[24:25], exec
	s_and_b64 s[18:19], s[20:21], exec
.LBB97_120:
	s_or_b64 exec, exec, s[16:17]
	s_and_b64 s[20:21], s[22:23], exec
	s_and_b64 s[16:17], s[18:19], exec
.LBB97_121:
	s_or_b64 exec, exec, s[14:15]
	s_and_b64 s[18:19], s[20:21], exec
	s_and_b64 s[14:15], s[16:17], exec
.LBB97_122:
	s_or_b64 exec, exec, s[12:13]
	s_and_b64 s[16:17], s[18:19], exec
	s_and_b64 s[12:13], s[14:15], exec
.LBB97_123:
	s_or_b64 exec, exec, s[10:11]
	s_and_b64 s[14:15], s[16:17], exec
	s_and_b64 s[10:11], s[12:13], exec
.LBB97_124:
	s_or_b64 exec, exec, s[8:9]
	s_and_b64 s[8:9], s[14:15], exec
	s_and_b64 s[10:11], s[10:11], exec
.LBB97_125:
	s_or_b64 exec, exec, s[6:7]
	s_mov_b32 s6, 0
	s_and_b64 vcc, exec, s[4:5]
	s_cbranch_vccnz .LBB97_127
	s_branch .LBB97_132
.LBB97_126:
	s_mov_b64 s[10:11], 0
                                        ; implicit-def: $sgpr8_sgpr9
                                        ; implicit-def: $vgpr75
                                        ; implicit-def: $vgpr37
                                        ; implicit-def: $vgpr31
                                        ; implicit-def: $vgpr48
                                        ; implicit-def: $vgpr1
                                        ; implicit-def: $vgpr36
                                        ; implicit-def: $vgpr50
                                        ; implicit-def: $vgpr41
                                        ; implicit-def: $vgpr74
                                        ; implicit-def: $vgpr51
                                        ; implicit-def: $vgpr30
                                        ; implicit-def: $vgpr35
                                        ; implicit-def: $vgpr52
                                        ; implicit-def: $vgpr42
                                        ; implicit-def: $vgpr73
                                        ; implicit-def: $vgpr54
                                        ; implicit-def: $vgpr38
                                        ; implicit-def: $vgpr34
                                        ; implicit-def: $vgpr56
                                        ; implicit-def: $vgpr43
                                        ; implicit-def: $vgpr72
                                        ; implicit-def: $vgpr58
                                        ; implicit-def: $vgpr39
                                        ; implicit-def: $vgpr71
                                        ; implicit-def: $vgpr60
                                        ; implicit-def: $vgpr44
                                        ; implicit-def: $vgpr70
                                        ; implicit-def: $vgpr63
                                        ; implicit-def: $vgpr40
                                        ; implicit-def: $vgpr69
                                        ; implicit-def: $vgpr61
                                        ; implicit-def: $vgpr45
                                        ; implicit-def: $vgpr68
                                        ; implicit-def: $vgpr62
                                        ; implicit-def: $vgpr32
                                        ; implicit-def: $vgpr67
                                        ; implicit-def: $vgpr59
                                        ; implicit-def: $vgpr46
                                        ; implicit-def: $vgpr66
                                        ; implicit-def: $vgpr57
                                        ; implicit-def: $vgpr47
                                        ; implicit-def: $vgpr65
                                        ; implicit-def: $vgpr55
                                        ; implicit-def: $vgpr49
                                        ; implicit-def: $vgpr64
                                        ; implicit-def: $vgpr53
                                        ; implicit-def: $vgpr33
                                        ; implicit-def: $sgpr6
                                        ; implicit-def: $sgpr3
	s_and_b64 vcc, exec, s[4:5]
	s_cbranch_vccz .LBB97_132
.LBB97_127:
	v_mov_b32_e32 v27, 0
	v_lshlrev_b32_e32 v26, 2, v0
	v_lshl_add_u64 v[2:3], s[70:71], 0, v[26:27]
	v_add_co_u32_e32 v4, vcc, 0x1000, v2
	global_load_dword v8, v26, s[70:71]
	global_load_dword v9, v26, s[70:71] offset:1024
	global_load_dword v10, v26, s[70:71] offset:2048
	;; [unrolled: 1-line block ×3, first 2 shown]
	v_addc_co_u32_e32 v5, vcc, 0, v3, vcc
	v_add_co_u32_e32 v6, vcc, 0x2000, v2
	s_movk_i32 s4, 0x5c
	s_nop 0
	v_addc_co_u32_e32 v7, vcc, 0, v3, vcc
	global_load_dword v12, v[4:5], off
	global_load_dword v13, v[4:5], off offset:1024
	global_load_dword v14, v[4:5], off offset:2048
	;; [unrolled: 1-line block ×3, first 2 shown]
	global_load_dword v16, v[6:7], off
	global_load_dword v17, v[6:7], off offset:1024
	global_load_dword v18, v[6:7], off offset:2048
	;; [unrolled: 1-line block ×3, first 2 shown]
	v_add_co_u32_e32 v4, vcc, 0x3000, v2
	s_movk_i32 s5, 0xffa4
	s_nop 0
	v_addc_co_u32_e32 v5, vcc, 0, v3, vcc
	v_add_co_u32_e32 v6, vcc, 0x4000, v2
	s_movk_i32 s7, 0xff
	s_nop 0
	v_addc_co_u32_e32 v7, vcc, 0, v3, vcc
	v_add_co_u32_e32 v2, vcc, 0x5000, v2
	global_load_dword v20, v[4:5], off
	global_load_dword v21, v[4:5], off offset:1024
	global_load_dword v22, v[4:5], off offset:2048
	global_load_dword v23, v[4:5], off offset:3072
	global_load_dword v24, v[6:7], off
	global_load_dword v25, v[6:7], off offset:1024
	global_load_dword v28, v[6:7], off offset:2048
	;; [unrolled: 1-line block ×3, first 2 shown]
	v_addc_co_u32_e32 v3, vcc, 0, v3, vcc
	global_load_dword v4, v[2:3], off
	global_load_dword v5, v[2:3], off offset:1024
	global_load_dword v6, v[2:3], off offset:2048
	global_load_dword v7, v[2:3], off offset:3072
	v_mad_u32_u24 v2, v0, s4, v26
	v_mad_i32_i24 v1, v0, s5, v2
	s_movk_i32 s6, 0x1000
	s_movk_i32 s3, 0x2000
	v_cmp_ne_u32_e32 vcc, s7, v0
	s_waitcnt vmcnt(22)
	ds_write2st64_b32 v26, v8, v9 offset1:4
	s_waitcnt vmcnt(20)
	ds_write2st64_b32 v26, v10, v11 offset0:8 offset1:12
	s_waitcnt vmcnt(18)
	ds_write2st64_b32 v26, v12, v13 offset0:16 offset1:20
	;; [unrolled: 2-line block ×11, first 2 shown]
	s_waitcnt lgkmcnt(0)
	s_barrier
	ds_read_b128 v[22:25], v2
	ds_read_b128 v[18:21], v2 offset:16
	ds_read_b128 v[14:17], v2 offset:32
	;; [unrolled: 1-line block ×5, first 2 shown]
	s_load_dword s4, s[70:71], 0x6000
	s_waitcnt lgkmcnt(0)
	ds_write_b32 v1, v22 offset:25600
	s_waitcnt lgkmcnt(0)
	s_barrier
	v_mov_b32_e32 v75, s4
	s_and_saveexec_b64 s[4:5], vcc
	s_cbranch_execz .LBB97_129
; %bb.128:
	ds_read_b32 v75, v26 offset:25604
.LBB97_129:
	s_or_b64 exec, exec, s[4:5]
	v_lshlrev_b32_e32 v26, 1, v0
	v_lshl_add_u64 v[28:29], s[68:69], 0, v[26:27]
	v_add_co_u32_e32 v30, vcc, s6, v28
	s_waitcnt lgkmcnt(0)
	s_nop 0
	v_addc_co_u32_e32 v31, vcc, 0, v29, vcc
	v_add_co_u32_e32 v28, vcc, s3, v28
	s_barrier
	global_load_ushort v27, v26, s[68:69]
	v_addc_co_u32_e32 v29, vcc, 0, v29, vcc
	global_load_ushort v32, v26, s[68:69] offset:512
	global_load_ushort v33, v26, s[68:69] offset:1024
	;; [unrolled: 1-line block ×7, first 2 shown]
	global_load_ushort v40, v[28:29], off offset:-4096
	global_load_ushort v41, v[30:31], off offset:512
	global_load_ushort v42, v[30:31], off offset:1024
	;; [unrolled: 1-line block ×7, first 2 shown]
                                        ; kill: killed $vgpr30 killed $vgpr31
                                        ; kill: killed $sgpr68 killed $sgpr69
	s_nop 0
	global_load_ushort v30, v[28:29], off
	global_load_ushort v31, v[28:29], off offset:512
	global_load_ushort v48, v[28:29], off offset:1024
	global_load_ushort v49, v[28:29], off offset:1536
	global_load_ushort v50, v[28:29], off offset:2048
	global_load_ushort v51, v[28:29], off offset:2560
	global_load_ushort v52, v[28:29], off offset:3072
	global_load_ushort v53, v[28:29], off offset:3584
	v_sub_u32_e32 v37, v1, v26
	v_mad_u32_u24 v1, v0, 46, v37
	v_cmp_ne_u32_e32 vcc, v22, v23
	v_cmp_eq_u32_e64 s[4:5], v22, v23
	s_waitcnt vmcnt(23)
	ds_write_b16 v37, v27
	s_waitcnt vmcnt(22)
	ds_write_b16 v37, v32 offset:512
	s_waitcnt vmcnt(21)
	ds_write_b16 v37, v33 offset:1024
	;; [unrolled: 2-line block ×23, first 2 shown]
	s_waitcnt lgkmcnt(0)
	s_barrier
	ds_read_b128 v[30:33], v1 offset:2
	ds_read_b128 v[26:29], v1 offset:18
	ds_read_b96 v[34:36], v1 offset:34
	ds_read_u16 v76, v1 offset:46
	v_mov_b32_e32 v1, s74
	s_and_saveexec_b64 s[6:7], s[4:5]
	s_cbranch_execz .LBB97_131
; %bb.130:
	v_mul_u32_u24_e32 v1, 46, v0
	v_add_u32_e32 v1, v37, v1
	ds_read_u16 v1, v1
.LBB97_131:
	s_or_b64 exec, exec, s[6:7]
	s_waitcnt lgkmcnt(3)
	v_lshrrev_b32_e32 v40, 16, v31
	v_cmp_ne_u32_e64 s[8:9], v18, v19
	v_cmp_ne_u32_e64 s[40:41], v9, v2
	v_cmp_ne_u32_e64 s[42:43], v2, v3
	v_mov_b32_e32 v2, s74
	v_lshrrev_b32_e32 v22, 16, v30
	v_lshrrev_b32_e32 v47, 16, v32
	;; [unrolled: 1-line block ×3, first 2 shown]
	s_waitcnt lgkmcnt(2)
	v_lshrrev_b32_e32 v66, 16, v26
	v_lshrrev_b32_e32 v68, 16, v27
	;; [unrolled: 1-line block ×4, first 2 shown]
	s_waitcnt lgkmcnt(1)
	v_lshrrev_b32_e32 v73, 16, v34
	v_lshrrev_b32_e32 v74, 16, v35
	;; [unrolled: 1-line block ×3, first 2 shown]
	v_cndmask_b32_e64 v37, 0, 1, vcc
	v_cmp_ne_u32_e32 vcc, v23, v24
	v_cmp_ne_u32_e64 s[4:5], v24, v25
	v_cmp_ne_u32_e64 s[6:7], v25, v18
	v_cndmask_b32_e64 v44, 0, 1, s[8:9]
	v_cmp_ne_u32_e64 s[10:11], v19, v20
	v_cmp_ne_u32_e64 s[12:13], v20, v21
	;; [unrolled: 1-line block ×16, first 2 shown]
	v_cndmask_b32_e64 v40, v40, v2, s[8:9]
	v_cmp_ne_u32_e64 s[8:9], v5, v75
	v_cndmask_b32_e64 v41, 0, 1, vcc
	v_cndmask_b32_e64 v42, 0, 1, s[4:5]
	v_cndmask_b32_e64 v43, 0, 1, s[6:7]
	;; [unrolled: 1-line block ×20, first 2 shown]
	v_cndmask_b32_e32 v30, v30, v2, vcc
	v_cndmask_b32_e64 v38, v22, v2, s[4:5]
	v_cndmask_b32_e64 v39, v31, v2, s[6:7]
	;; [unrolled: 1-line block ×20, first 2 shown]
	s_waitcnt lgkmcnt(0)
	v_cndmask_b32_e64 v75, v76, v2, s[8:9]
	s_mov_b64 s[10:11], -1
                                        ; implicit-def: $sgpr6
                                        ; implicit-def: $sgpr3
.LBB97_132:
	v_mov_b32_e32 v12, s3
	v_mov_b32_e32 v13, s6
	s_and_saveexec_b64 s[4:5], s[10:11]
; %bb.133:
	v_cndmask_b32_e64 v12, 0, 1, s[8:9]
	v_mov_b32_e32 v13, v75
; %bb.134:
	s_or_b64 exec, exec, s[4:5]
	v_or_b32_e32 v2, v12, v48
	s_cmp_lg_u32 s2, 0
	v_add_f16_e32 v16, v30, v1
	v_or_b32_e32 v15, v2, v50
	v_mbcnt_lo_u32_b32 v14, -1, 0
	s_barrier
	s_cbranch_scc0 .LBB97_223
; %bb.135:
	v_mov_b32_e32 v2, 0
	v_cmp_eq_u16_sdwa s[4:5], v41, v2 src0_sel:BYTE_0 src1_sel:DWORD
	v_cmp_eq_u16_sdwa s[6:7], v42, v2 src0_sel:BYTE_0 src1_sel:DWORD
	v_cmp_eq_u16_sdwa s[8:9], v43, v2 src0_sel:BYTE_0 src1_sel:DWORD
	v_cndmask_b32_e64 v3, v30, v16, s[4:5]
	v_add_f16_e32 v3, v3, v38
	v_cndmask_b32_e64 v3, v38, v3, s[6:7]
	v_add_f16_e32 v3, v3, v39
	v_cndmask_b32_e64 v3, v39, v3, s[8:9]
	v_add_f16_e32 v3, v3, v40
	v_cmp_eq_u16_sdwa s[10:11], v44, v2 src0_sel:BYTE_0 src1_sel:DWORD
	v_cmp_eq_u16_sdwa s[12:13], v45, v2 src0_sel:BYTE_0 src1_sel:DWORD
	v_cmp_eq_u16_sdwa s[14:15], v46, v2 src0_sel:BYTE_0 src1_sel:DWORD
	v_cndmask_b32_e64 v3, v40, v3, s[10:11]
	v_add_f16_e32 v3, v3, v32
	v_cndmask_b32_e64 v3, v32, v3, s[12:13]
	v_add_f16_e32 v3, v3, v47
	v_cndmask_b32_e64 v3, v47, v3, s[14:15]
	v_add_f16_e32 v3, v3, v33
	;; [unrolled: 9-line block ×7, first 2 shown]
	v_cmp_eq_u16_sdwa s[48:49], v48, v2 src0_sel:BYTE_0 src1_sel:DWORD
	v_cmp_eq_u16_sdwa vcc, v12, v2 src0_sel:BYTE_0 src1_sel:DWORD
	v_mbcnt_hi_u32_b32 v5, -1, v14
	v_cndmask_b32_e64 v3, v31, v3, s[48:49]
	v_add_f16_e32 v3, v3, v13
	v_cndmask_b32_e32 v2, v13, v3, vcc
	v_or_b32_e32 v3, v15, v51
	v_or_b32_e32 v3, v3, v52
	v_or_b32_e32 v3, v3, v54
	v_or_b32_e32 v3, v3, v56
	v_or_b32_e32 v3, v3, v58
	v_or_b32_e32 v3, v3, v60
	v_or_b32_e32 v3, v3, v63
	v_or_b32_e32 v3, v3, v61
	v_or_b32_e32 v3, v3, v62
	v_or_b32_e32 v3, v3, v59
	v_or_b32_e32 v3, v3, v57
	v_or_b32_e32 v3, v3, v55
	v_or_b32_e32 v3, v3, v53
	v_or_b32_e32 v3, v3, v49
	v_or_b32_e32 v3, v3, v46
	v_or_b32_e32 v3, v3, v45
	v_or_b32_e32 v3, v3, v44
	v_or_b32_e32 v3, v3, v43
	v_or_b32_e32 v3, v3, v42
	v_or_b32_e32 v3, v3, v41
	v_and_b32_e32 v3, 1, v3
	v_cmp_eq_u32_e32 vcc, 1, v3
	v_and_b32_e32 v4, 0xffff, v2
	v_and_b32_e32 v7, 15, v5
	v_cndmask_b32_e64 v3, v37, 1, vcc
	v_and_b32_e32 v8, 0xff, v3
	v_lshl_or_b32 v4, v8, 16, v4
	v_cmp_ne_u32_e32 vcc, 0, v7
	s_nop 0
	v_mov_b32_dpp v6, v4 row_shr:1 row_mask:0xf bank_mask:0xf
	s_and_saveexec_b64 s[50:51], vcc
; %bb.136:
	v_add_f16_e32 v4, v2, v6
	v_cmp_eq_u16_e32 vcc, 0, v8
	v_and_b32_e32 v3, 1, v3
	s_nop 0
	v_cndmask_b32_e32 v2, v2, v4, vcc
	v_mov_b32_e32 v4, 1
	v_and_b32_sdwa v4, v6, v4 dst_sel:DWORD dst_unused:UNUSED_PAD src0_sel:WORD_1 src1_sel:DWORD
	v_cmp_eq_u32_e32 vcc, 1, v3
	s_nop 1
	v_cndmask_b32_e64 v3, v4, 1, vcc
	v_lshlrev_b32_e32 v4, 16, v3
	v_or_b32_sdwa v4, v4, v2 dst_sel:DWORD dst_unused:UNUSED_PAD src0_sel:DWORD src1_sel:WORD_0
; %bb.137:
	s_or_b64 exec, exec, s[50:51]
	v_lshrrev_b32_e32 v6, 16, v4
	v_mov_b32_dpp v8, v4 row_shr:2 row_mask:0xf bank_mask:0xf
	v_cmp_lt_u32_e32 vcc, 1, v7
	s_and_saveexec_b64 s[50:51], vcc
	s_cbranch_execz .LBB97_139
; %bb.138:
	s_mov_b32 s3, 0x10000
	v_add_f16_e32 v3, v2, v8
	v_cmp_gt_u32_e32 vcc, s3, v4
	s_nop 1
	v_cndmask_b32_e32 v2, v2, v3, vcc
	v_and_b32_e32 v3, 0x10000, v4
	v_mov_b32_e32 v4, 1
	v_and_b32_sdwa v4, v8, v4 dst_sel:DWORD dst_unused:UNUSED_PAD src0_sel:WORD_1 src1_sel:DWORD
	v_cmp_ne_u32_e32 vcc, 0, v3
	s_nop 1
	v_cndmask_b32_e64 v3, v4, 1, vcc
	v_lshlrev_b32_e32 v4, 16, v3
	v_or_b32_sdwa v4, v4, v2 dst_sel:DWORD dst_unused:UNUSED_PAD src0_sel:DWORD src1_sel:WORD_0
	v_mov_b32_e32 v6, v3
.LBB97_139:
	s_or_b64 exec, exec, s[50:51]
	v_mov_b32_dpp v8, v4 row_shr:4 row_mask:0xf bank_mask:0xf
	v_cmp_lt_u32_e32 vcc, 3, v7
	s_and_saveexec_b64 s[50:51], vcc
; %bb.140:
	v_add_f16_e32 v3, v2, v8
	v_cmp_eq_u16_e32 vcc, 0, v6
	v_mov_b32_e32 v4, 1
	v_and_b32_sdwa v4, v8, v4 dst_sel:DWORD dst_unused:UNUSED_PAD src0_sel:WORD_1 src1_sel:DWORD
	v_cndmask_b32_e32 v2, v2, v3, vcc
	v_and_b32_e32 v3, 1, v6
	v_cmp_eq_u32_e32 vcc, 1, v3
	s_nop 1
	v_cndmask_b32_e64 v3, v4, 1, vcc
	v_lshlrev_b32_e32 v4, 16, v3
	v_or_b32_sdwa v4, v4, v2 dst_sel:DWORD dst_unused:UNUSED_PAD src0_sel:DWORD src1_sel:WORD_0
	v_mov_b32_e32 v6, v3
; %bb.141:
	s_or_b64 exec, exec, s[50:51]
	v_mov_b32_dpp v8, v4 row_shr:8 row_mask:0xf bank_mask:0xf
	v_cmp_lt_u32_e32 vcc, 7, v7
	s_and_saveexec_b64 s[50:51], vcc
; %bb.142:
	v_add_f16_e32 v3, v2, v8
	v_cmp_eq_u16_e32 vcc, 0, v6
	v_mov_b32_e32 v4, 1
	v_and_b32_sdwa v4, v8, v4 dst_sel:DWORD dst_unused:UNUSED_PAD src0_sel:WORD_1 src1_sel:DWORD
	v_cndmask_b32_e32 v2, v2, v3, vcc
	v_and_b32_e32 v3, 1, v6
	v_cmp_eq_u32_e32 vcc, 1, v3
	s_nop 1
	v_cndmask_b32_e64 v3, v4, 1, vcc
	v_lshlrev_b32_e32 v4, 16, v3
	v_or_b32_sdwa v4, v4, v2 dst_sel:DWORD dst_unused:UNUSED_PAD src0_sel:DWORD src1_sel:WORD_0
	v_mov_b32_e32 v6, v3
; %bb.143:
	s_or_b64 exec, exec, s[50:51]
	v_and_b32_e32 v8, 16, v5
	v_mov_b32_dpp v7, v4 row_bcast:15 row_mask:0xf bank_mask:0xf
	v_cmp_ne_u32_e32 vcc, 0, v8
	s_and_saveexec_b64 s[50:51], vcc
; %bb.144:
	v_add_f16_e32 v3, v2, v7
	v_cmp_eq_u16_e32 vcc, 0, v6
	v_mov_b32_e32 v4, 1
	v_and_b32_sdwa v4, v7, v4 dst_sel:DWORD dst_unused:UNUSED_PAD src0_sel:WORD_1 src1_sel:DWORD
	v_cndmask_b32_e32 v2, v2, v3, vcc
	v_and_b32_e32 v3, 1, v6
	v_cmp_eq_u32_e32 vcc, 1, v3
	s_nop 1
	v_cndmask_b32_e64 v3, v4, 1, vcc
	v_lshlrev_b32_e32 v4, 16, v3
	v_or_b32_sdwa v4, v4, v2 dst_sel:DWORD dst_unused:UNUSED_PAD src0_sel:DWORD src1_sel:WORD_0
	v_mov_b32_e32 v6, v3
; %bb.145:
	s_or_b64 exec, exec, s[50:51]
	v_mov_b32_dpp v4, v4 row_bcast:31 row_mask:0xf bank_mask:0xf
	v_cmp_lt_u32_e32 vcc, 31, v5
	s_and_saveexec_b64 s[50:51], vcc
; %bb.146:
	v_and_b32_e32 v3, 1, v6
	v_mov_b32_e32 v8, 1
	v_add_f16_e32 v7, v2, v4
	v_and_b32_sdwa v4, v4, v8 dst_sel:DWORD dst_unused:UNUSED_PAD src0_sel:WORD_1 src1_sel:DWORD
	v_cmp_eq_u32_e32 vcc, 1, v3
	s_nop 1
	v_cndmask_b32_e64 v3, v4, 1, vcc
	v_cmp_eq_u16_e32 vcc, 0, v6
	s_nop 1
	v_cndmask_b32_e32 v2, v2, v7, vcc
; %bb.147:
	s_or_b64 exec, exec, s[50:51]
	v_or_b32_e32 v6, 63, v0
	v_lshrrev_b32_e32 v4, 6, v0
	v_cmp_eq_u32_e32 vcc, v6, v0
	s_and_saveexec_b64 s[50:51], vcc
	s_cbranch_execz .LBB97_149
; %bb.148:
	v_lshlrev_b32_e32 v6, 2, v4
	ds_write_b16 v6, v2
	ds_write_b8 v6, v3 offset:2
.LBB97_149:
	s_or_b64 exec, exec, s[50:51]
	v_cmp_gt_u32_e32 vcc, 4, v0
	s_waitcnt lgkmcnt(0)
	s_barrier
	s_and_saveexec_b64 s[50:51], vcc
	s_cbranch_execz .LBB97_155
; %bb.150:
	v_lshlrev_b32_e32 v6, 2, v0
	ds_read_b32 v8, v6
	v_and_b32_e32 v10, 3, v5
	v_cmp_ne_u32_e32 vcc, 0, v10
	s_waitcnt lgkmcnt(0)
	v_lshrrev_b32_e32 v9, 16, v8
	v_mov_b32_dpp v11, v8 row_shr:1 row_mask:0xf bank_mask:0xf
	v_mov_b32_e32 v7, v8
	s_and_saveexec_b64 s[52:53], vcc
	s_cbranch_execz .LBB97_152
; %bb.151:
	v_mov_b32_e32 v7, 0
	v_add_f16_e32 v18, v8, v11
	v_cmp_eq_u16_sdwa vcc, v9, v7 src0_sel:BYTE_0 src1_sel:DWORD
	v_and_b32_e32 v17, 0xff000000, v8
	v_mov_b32_e32 v9, 1
	v_cndmask_b32_e32 v7, v8, v18, vcc
	v_and_b32_e32 v8, 0x10000, v8
	v_and_b32_sdwa v9, v11, v9 dst_sel:DWORD dst_unused:UNUSED_PAD src0_sel:WORD_1 src1_sel:DWORD
	v_cmp_ne_u32_e32 vcc, 0, v8
	v_and_b32_e32 v11, 0xffff, v7
	s_nop 0
	v_cndmask_b32_e64 v9, v9, 1, vcc
	v_lshlrev_b32_e32 v8, 16, v9
	v_or3_b32 v8, v8, v17, v11
.LBB97_152:
	s_or_b64 exec, exec, s[52:53]
	s_nop 0
	v_mov_b32_dpp v11, v8 row_shr:2 row_mask:0xf bank_mask:0xf
	v_cmp_lt_u32_e32 vcc, 1, v10
	s_and_saveexec_b64 s[52:53], vcc
; %bb.153:
	v_and_b32_e32 v9, 0xff0000, v8
	v_add_f16_e32 v10, v7, v11
	v_cmp_eq_u32_e32 vcc, 0, v9
	v_and_b32_e32 v8, 0x10000, v8
	v_mov_b32_e32 v9, 1
	v_cndmask_b32_e32 v7, v7, v10, vcc
	v_and_b32_sdwa v9, v11, v9 dst_sel:DWORD dst_unused:UNUSED_PAD src0_sel:WORD_1 src1_sel:DWORD
	v_cmp_eq_u32_e32 vcc, 0, v8
	s_nop 1
	v_cndmask_b32_e32 v9, 1, v9, vcc
; %bb.154:
	s_or_b64 exec, exec, s[52:53]
	ds_write_b16 v6, v7
	ds_write_b8 v6, v9 offset:2
.LBB97_155:
	s_or_b64 exec, exec, s[50:51]
	v_cmp_gt_u32_e32 vcc, 64, v0
	v_cmp_lt_u32_e64 s[50:51], 63, v0
	v_mov_b32_e32 v17, 0
	v_mov_b32_e32 v18, 0
	s_waitcnt lgkmcnt(0)
	s_barrier
	s_and_saveexec_b64 s[52:53], s[50:51]
	s_cbranch_execz .LBB97_157
; %bb.156:
	v_lshl_add_u32 v4, v4, 2, -4
	ds_read_u16 v17, v4
	ds_read_u8 v18, v4 offset:2
	v_mov_b32_e32 v6, 0
	v_and_b32_e32 v7, 1, v3
	v_cmp_eq_u16_sdwa s[50:51], v3, v6 src0_sel:BYTE_0 src1_sel:DWORD
	s_waitcnt lgkmcnt(1)
	v_add_f16_e32 v4, v2, v17
	v_cndmask_b32_e64 v2, v2, v4, s[50:51]
	v_cmp_eq_u32_e64 s[50:51], 1, v7
	s_waitcnt lgkmcnt(0)
	s_nop 0
	v_cndmask_b32_e64 v3, v18, 1, s[50:51]
.LBB97_157:
	s_or_b64 exec, exec, s[52:53]
	v_and_b32_e32 v3, 0xff, v3
	v_and_b32_e32 v2, 0xffff, v2
	v_lshl_or_b32 v2, v3, 16, v2
	v_add_u32_e32 v3, -1, v5
	v_and_b32_e32 v4, 64, v5
	v_cmp_lt_i32_e64 s[50:51], v3, v4
	s_nop 1
	v_cndmask_b32_e64 v3, v3, v5, s[50:51]
	v_lshlrev_b32_e32 v3, 2, v3
	ds_bpermute_b32 v19, v3, v2
	v_cmp_eq_u32_e64 s[50:51], 0, v5
	s_and_saveexec_b64 s[52:53], vcc
	s_cbranch_execz .LBB97_200
; %bb.158:
	v_mov_b32_e32 v9, 0
	ds_read_b32 v2, v9 offset:12
	s_and_saveexec_b64 s[60:61], s[50:51]
	s_cbranch_execz .LBB97_160
; %bb.159:
	s_add_i32 s62, s2, 64
	s_mov_b32 s63, 0
	s_lshl_b64 s[62:63], s[62:63], 3
	s_add_u32 s62, s56, s62
	s_addc_u32 s63, s57, s63
	v_mov_b32_e32 v3, 1
	s_waitcnt lgkmcnt(0)
	global_store_dwordx2 v9, v[2:3], s[62:63] sc1
.LBB97_160:
	s_or_b64 exec, exec, s[60:61]
	v_xad_u32 v4, v5, -1, s2
	v_add_u32_e32 v8, 64, v4
	v_lshl_add_u64 v[10:11], v[8:9], 3, s[56:57]
	global_load_dwordx2 v[6:7], v[10:11], off sc1
	s_waitcnt vmcnt(0)
	v_cmp_eq_u16_sdwa s[62:63], v7, v9 src0_sel:BYTE_0 src1_sel:DWORD
	s_and_saveexec_b64 s[60:61], s[62:63]
	s_cbranch_execz .LBB97_164
; %bb.161:
	s_mov_b64 s[62:63], 0
	v_mov_b32_e32 v3, 0
.LBB97_162:                             ; =>This Inner Loop Header: Depth=1
	global_load_dwordx2 v[6:7], v[10:11], off sc1
	s_waitcnt vmcnt(0)
	v_cmp_ne_u16_sdwa s[68:69], v7, v3 src0_sel:BYTE_0 src1_sel:DWORD
	s_or_b64 s[62:63], s[68:69], s[62:63]
	s_andn2_b64 exec, exec, s[62:63]
	s_cbranch_execnz .LBB97_162
; %bb.163:
	s_or_b64 exec, exec, s[62:63]
.LBB97_164:
	s_or_b64 exec, exec, s[60:61]
	v_mov_b32_e32 v3, 2
	v_cmp_eq_u16_sdwa s[60:61], v7, v3 src0_sel:BYTE_0 src1_sel:DWORD
	v_lshlrev_b64 v[8:9], v5, -1
	v_and_b32_e32 v11, 63, v5
	v_and_b32_e32 v3, s61, v9
	v_or_b32_e32 v3, 0x80000000, v3
	v_and_b32_e32 v10, s60, v8
	v_ffbl_b32_e32 v3, v3
	v_add_u32_e32 v3, 32, v3
	v_ffbl_b32_e32 v10, v10
	v_cmp_ne_u32_e32 vcc, 63, v11
	v_min_u32_e32 v10, v10, v3
	v_and_b32_e32 v75, 0xffffff, v6
	v_addc_co_u32_e32 v3, vcc, 0, v5, vcc
	v_lshlrev_b32_e32 v3, 2, v3
	ds_bpermute_b32 v21, v3, v75
	v_add_u32_e32 v20, 1, v5
	v_lshrrev_b32_e32 v80, 16, v6
	v_cmp_le_u32_e32 vcc, v20, v10
	v_bfe_u32 v29, v6, 16, 8
	s_and_saveexec_b64 s[60:61], vcc
	s_cbranch_execz .LBB97_166
; %bb.165:
	v_and_b32_e32 v22, 0xff0000, v6
	s_waitcnt lgkmcnt(0)
	v_add_f16_e32 v23, v6, v21
	v_cmp_eq_u32_e32 vcc, 0, v22
	v_and_b32_e32 v22, 0x10000, v22
	s_nop 0
	v_cndmask_b32_e32 v6, v6, v23, vcc
	v_mov_b32_e32 v23, 1
	v_and_b32_sdwa v21, v21, v23 dst_sel:DWORD dst_unused:UNUSED_PAD src0_sel:WORD_1 src1_sel:DWORD
	v_cmp_ne_u32_e32 vcc, 0, v22
	s_nop 1
	v_cndmask_b32_e64 v80, v21, 1, vcc
	v_lshlrev_b32_e32 v21, 16, v80
	v_or_b32_sdwa v75, v21, v6 dst_sel:DWORD dst_unused:UNUSED_PAD src0_sel:DWORD src1_sel:WORD_0
	v_mov_b32_e32 v29, v80
.LBB97_166:
	s_or_b64 exec, exec, s[60:61]
	v_cmp_gt_u32_e32 vcc, 62, v11
	v_add_u32_e32 v22, 2, v5
	s_waitcnt lgkmcnt(0)
	v_cndmask_b32_e64 v21, 0, 1, vcc
	v_lshlrev_b32_e32 v21, 1, v21
	v_add_lshl_u32 v21, v21, v5, 2
	ds_bpermute_b32 v23, v21, v75
	v_cmp_le_u32_e32 vcc, v22, v10
	s_and_saveexec_b64 s[60:61], vcc
	s_cbranch_execz .LBB97_168
; %bb.167:
	s_waitcnt lgkmcnt(0)
	v_add_f16_e32 v24, v6, v23
	v_cmp_eq_u16_e32 vcc, 0, v29
	v_mov_b32_e32 v25, 1
	v_and_b32_sdwa v23, v23, v25 dst_sel:DWORD dst_unused:UNUSED_PAD src0_sel:WORD_1 src1_sel:DWORD
	v_cndmask_b32_e32 v6, v6, v24, vcc
	v_and_b32_e32 v24, 1, v29
	v_cmp_eq_u32_e32 vcc, 1, v24
	s_nop 1
	v_cndmask_b32_e64 v80, v23, 1, vcc
	v_lshlrev_b32_e32 v23, 16, v80
	v_or_b32_sdwa v75, v23, v6 dst_sel:DWORD dst_unused:UNUSED_PAD src0_sel:DWORD src1_sel:WORD_0
	v_mov_b32_e32 v29, v80
.LBB97_168:
	s_or_b64 exec, exec, s[60:61]
	v_cmp_gt_u32_e32 vcc, 60, v11
	v_add_u32_e32 v24, 4, v5
	s_waitcnt lgkmcnt(0)
	v_cndmask_b32_e64 v23, 0, 1, vcc
	v_lshlrev_b32_e32 v23, 2, v23
	v_add_lshl_u32 v23, v23, v5, 2
	ds_bpermute_b32 v25, v23, v75
	v_cmp_le_u32_e32 vcc, v24, v10
	s_and_saveexec_b64 s[60:61], vcc
	s_cbranch_execz .LBB97_170
; %bb.169:
	s_waitcnt lgkmcnt(0)
	v_add_f16_e32 v26, v6, v25
	v_cmp_eq_u16_e32 vcc, 0, v29
	v_mov_b32_e32 v27, 1
	v_and_b32_sdwa v25, v25, v27 dst_sel:DWORD dst_unused:UNUSED_PAD src0_sel:WORD_1 src1_sel:DWORD
	v_cndmask_b32_e32 v6, v6, v26, vcc
	v_and_b32_e32 v26, 1, v29
	v_cmp_eq_u32_e32 vcc, 1, v26
	s_nop 1
	v_cndmask_b32_e64 v80, v25, 1, vcc
	v_lshlrev_b32_e32 v25, 16, v80
	v_or_b32_sdwa v75, v25, v6 dst_sel:DWORD dst_unused:UNUSED_PAD src0_sel:DWORD src1_sel:WORD_0
	v_mov_b32_e32 v29, v80
.LBB97_170:
	s_or_b64 exec, exec, s[60:61]
	v_cmp_gt_u32_e32 vcc, 56, v11
	v_add_u32_e32 v26, 8, v5
	s_waitcnt lgkmcnt(0)
	v_cndmask_b32_e64 v25, 0, 1, vcc
	v_lshlrev_b32_e32 v25, 3, v25
	v_add_lshl_u32 v25, v25, v5, 2
	ds_bpermute_b32 v27, v25, v75
	v_cmp_le_u32_e32 vcc, v26, v10
	s_and_saveexec_b64 s[60:61], vcc
	s_cbranch_execz .LBB97_172
; %bb.171:
	s_waitcnt lgkmcnt(0)
	v_add_f16_e32 v28, v6, v27
	v_cmp_eq_u16_e32 vcc, 0, v29
	s_nop 1
	v_cndmask_b32_e32 v6, v6, v28, vcc
	v_and_b32_e32 v28, 1, v29
	v_mov_b32_e32 v29, 1
	v_and_b32_sdwa v27, v27, v29 dst_sel:DWORD dst_unused:UNUSED_PAD src0_sel:WORD_1 src1_sel:DWORD
	v_cmp_eq_u32_e32 vcc, 1, v28
	s_nop 1
	v_cndmask_b32_e64 v80, v27, 1, vcc
	v_lshlrev_b32_e32 v27, 16, v80
	v_or_b32_sdwa v75, v27, v6 dst_sel:DWORD dst_unused:UNUSED_PAD src0_sel:DWORD src1_sel:WORD_0
	v_mov_b32_e32 v29, v80
.LBB97_172:
	s_or_b64 exec, exec, s[60:61]
	v_cmp_gt_u32_e32 vcc, 48, v11
	v_add_u32_e32 v28, 16, v5
	s_waitcnt lgkmcnt(0)
	v_cndmask_b32_e64 v27, 0, 1, vcc
	v_lshlrev_b32_e32 v27, 4, v27
	v_add_lshl_u32 v27, v27, v5, 2
	ds_bpermute_b32 v76, v27, v75
	v_cmp_le_u32_e32 vcc, v28, v10
	s_and_saveexec_b64 s[60:61], vcc
	s_cbranch_execz .LBB97_174
; %bb.173:
	s_waitcnt lgkmcnt(0)
	v_add_f16_e32 v75, v6, v76
	v_cmp_eq_u16_e32 vcc, 0, v29
	v_and_b32_e32 v29, 1, v29
	s_nop 0
	v_cndmask_b32_e32 v6, v6, v75, vcc
	v_mov_b32_e32 v75, 1
	v_and_b32_sdwa v75, v76, v75 dst_sel:DWORD dst_unused:UNUSED_PAD src0_sel:WORD_1 src1_sel:DWORD
	v_cmp_eq_u32_e32 vcc, 1, v29
	s_nop 1
	v_cndmask_b32_e64 v80, v75, 1, vcc
	v_lshlrev_b32_e32 v29, 16, v80
	v_or_b32_sdwa v75, v29, v6 dst_sel:DWORD dst_unused:UNUSED_PAD src0_sel:DWORD src1_sel:WORD_0
	v_mov_b32_e32 v29, v80
.LBB97_174:
	s_or_b64 exec, exec, s[60:61]
	v_cmp_gt_u32_e32 vcc, 32, v11
	v_add_u32_e32 v77, 32, v5
	s_nop 0
	v_cndmask_b32_e64 v11, 0, 1, vcc
	v_lshlrev_b32_e32 v11, 5, v11
	s_waitcnt lgkmcnt(0)
	v_add_lshl_u32 v76, v11, v5, 2
	ds_bpermute_b32 v11, v76, v75
	v_cmp_le_u32_e32 vcc, v77, v10
	s_and_saveexec_b64 s[60:61], vcc
	s_cbranch_execz .LBB97_176
; %bb.175:
	s_waitcnt lgkmcnt(0)
	v_add_f16_e32 v5, v6, v11
	v_cmp_eq_u16_e32 vcc, 0, v29
	v_mov_b32_e32 v10, 1
	v_and_b32_sdwa v10, v11, v10 dst_sel:DWORD dst_unused:UNUSED_PAD src0_sel:WORD_1 src1_sel:DWORD
	v_cndmask_b32_e32 v6, v6, v5, vcc
	v_and_b32_e32 v5, 1, v29
	v_cmp_eq_u32_e32 vcc, 1, v5
	s_nop 1
	v_cndmask_b32_e64 v80, v10, 1, vcc
.LBB97_176:
	s_or_b64 exec, exec, s[60:61]
	v_mov_b32_e32 v5, 0
	v_mov_b32_e32 v78, 2
	;; [unrolled: 1-line block ×3, first 2 shown]
	s_branch .LBB97_178
.LBB97_177:                             ;   in Loop: Header=BB97_178 Depth=1
                                        ; implicit-def: $vgpr80
                                        ; implicit-def: $vgpr6
	s_cbranch_execnz .LBB97_196
.LBB97_178:                             ; =>This Loop Header: Depth=1
                                        ;     Child Loop BB97_181 Depth 2
	v_cmp_ne_u16_sdwa s[60:61], v7, v78 src0_sel:BYTE_0 src1_sel:DWORD
	v_mov_b32_e32 v29, v80
	v_mov_b32_e32 v75, v6
	v_cndmask_b32_e64 v7, 0, 1, s[60:61]
	;;#ASMSTART
	;;#ASMEND
	s_nop 0
	v_cmp_ne_u32_e32 vcc, 0, v7
	s_cmp_lg_u64 vcc, exec
	s_cbranch_scc1 .LBB97_177
; %bb.179:                              ;   in Loop: Header=BB97_178 Depth=1
	s_waitcnt lgkmcnt(0)
	v_lshl_add_u64 v[10:11], v[4:5], 3, s[56:57]
	global_load_dwordx2 v[6:7], v[10:11], off sc1
	s_waitcnt vmcnt(0)
	v_cmp_eq_u16_sdwa s[62:63], v7, v5 src0_sel:BYTE_0 src1_sel:DWORD
	s_and_saveexec_b64 s[60:61], s[62:63]
	s_cbranch_execz .LBB97_183
; %bb.180:                              ;   in Loop: Header=BB97_178 Depth=1
	s_mov_b64 s[62:63], 0
.LBB97_181:                             ;   Parent Loop BB97_178 Depth=1
                                        ; =>  This Inner Loop Header: Depth=2
	global_load_dwordx2 v[6:7], v[10:11], off sc1
	s_waitcnt vmcnt(0)
	v_cmp_ne_u16_sdwa s[68:69], v7, v5 src0_sel:BYTE_0 src1_sel:DWORD
	s_or_b64 s[62:63], s[68:69], s[62:63]
	s_andn2_b64 exec, exec, s[62:63]
	s_cbranch_execnz .LBB97_181
; %bb.182:                              ;   in Loop: Header=BB97_178 Depth=1
	s_or_b64 exec, exec, s[62:63]
.LBB97_183:                             ;   in Loop: Header=BB97_178 Depth=1
	s_or_b64 exec, exec, s[60:61]
	v_cmp_eq_u16_sdwa s[60:61], v7, v78 src0_sel:BYTE_0 src1_sel:DWORD
	v_and_b32_e32 v81, 0xffffff, v6
	ds_bpermute_b32 v82, v3, v81
	v_and_b32_e32 v10, s61, v9
	v_or_b32_e32 v10, 0x80000000, v10
	v_and_b32_e32 v11, s60, v8
	v_ffbl_b32_e32 v10, v10
	v_add_u32_e32 v10, 32, v10
	v_ffbl_b32_e32 v11, v11
	v_min_u32_e32 v10, v11, v10
	v_lshrrev_b32_e32 v11, 16, v6
	v_cmp_le_u32_e32 vcc, v20, v10
	v_bfe_u32 v80, v6, 16, 8
	s_and_saveexec_b64 s[60:61], vcc
	s_cbranch_execz .LBB97_185
; %bb.184:                              ;   in Loop: Header=BB97_178 Depth=1
	v_and_b32_e32 v11, 0xff0000, v6
	s_waitcnt lgkmcnt(0)
	v_add_f16_e32 v80, v6, v82
	v_cmp_eq_u32_e32 vcc, 0, v11
	v_and_b32_e32 v11, 0x10000, v11
	s_nop 0
	v_cndmask_b32_e32 v6, v6, v80, vcc
	v_and_b32_sdwa v80, v82, v79 dst_sel:DWORD dst_unused:UNUSED_PAD src0_sel:WORD_1 src1_sel:DWORD
	v_cmp_ne_u32_e32 vcc, 0, v11
	s_nop 1
	v_cndmask_b32_e64 v11, v80, 1, vcc
	v_lshlrev_b32_e32 v80, 16, v11
	v_or_b32_sdwa v81, v80, v6 dst_sel:DWORD dst_unused:UNUSED_PAD src0_sel:DWORD src1_sel:WORD_0
	v_mov_b32_e32 v80, v11
.LBB97_185:                             ;   in Loop: Header=BB97_178 Depth=1
	s_or_b64 exec, exec, s[60:61]
	s_waitcnt lgkmcnt(0)
	ds_bpermute_b32 v82, v21, v81
	v_cmp_le_u32_e32 vcc, v22, v10
	s_and_saveexec_b64 s[60:61], vcc
	s_cbranch_execz .LBB97_187
; %bb.186:                              ;   in Loop: Header=BB97_178 Depth=1
	s_waitcnt lgkmcnt(0)
	v_add_f16_e32 v11, v6, v82
	v_cmp_eq_u16_e32 vcc, 0, v80
	s_nop 1
	v_cndmask_b32_e32 v6, v6, v11, vcc
	v_and_b32_e32 v11, 1, v80
	v_and_b32_sdwa v80, v82, v79 dst_sel:DWORD dst_unused:UNUSED_PAD src0_sel:WORD_1 src1_sel:DWORD
	v_cmp_eq_u32_e32 vcc, 1, v11
	s_nop 1
	v_cndmask_b32_e64 v11, v80, 1, vcc
	v_lshlrev_b32_e32 v80, 16, v11
	v_or_b32_sdwa v81, v80, v6 dst_sel:DWORD dst_unused:UNUSED_PAD src0_sel:DWORD src1_sel:WORD_0
	v_mov_b32_e32 v80, v11
.LBB97_187:                             ;   in Loop: Header=BB97_178 Depth=1
	s_or_b64 exec, exec, s[60:61]
	s_waitcnt lgkmcnt(0)
	ds_bpermute_b32 v82, v23, v81
	v_cmp_le_u32_e32 vcc, v24, v10
	s_and_saveexec_b64 s[60:61], vcc
	s_cbranch_execz .LBB97_189
; %bb.188:                              ;   in Loop: Header=BB97_178 Depth=1
	s_waitcnt lgkmcnt(0)
	v_add_f16_e32 v11, v6, v82
	v_cmp_eq_u16_e32 vcc, 0, v80
	s_nop 1
	v_cndmask_b32_e32 v6, v6, v11, vcc
	v_and_b32_e32 v11, 1, v80
	v_and_b32_sdwa v80, v82, v79 dst_sel:DWORD dst_unused:UNUSED_PAD src0_sel:WORD_1 src1_sel:DWORD
	v_cmp_eq_u32_e32 vcc, 1, v11
	s_nop 1
	v_cndmask_b32_e64 v11, v80, 1, vcc
	v_lshlrev_b32_e32 v80, 16, v11
	v_or_b32_sdwa v81, v80, v6 dst_sel:DWORD dst_unused:UNUSED_PAD src0_sel:DWORD src1_sel:WORD_0
	v_mov_b32_e32 v80, v11
.LBB97_189:                             ;   in Loop: Header=BB97_178 Depth=1
	;; [unrolled: 21-line block ×4, first 2 shown]
	s_or_b64 exec, exec, s[60:61]
	ds_bpermute_b32 v81, v76, v81
	v_cmp_le_u32_e32 vcc, v77, v10
	s_and_saveexec_b64 s[60:61], vcc
	s_cbranch_execz .LBB97_195
; %bb.194:                              ;   in Loop: Header=BB97_178 Depth=1
	s_waitcnt lgkmcnt(0)
	v_add_f16_e32 v10, v6, v81
	v_cmp_eq_u16_e32 vcc, 0, v80
	v_lshrrev_b32_e32 v11, 16, v81
	s_nop 0
	v_cndmask_b32_e32 v6, v6, v10, vcc
	v_and_b32_e32 v10, 1, v80
	v_cmp_eq_u32_e32 vcc, 1, v10
	s_nop 1
	v_cndmask_b32_e64 v11, v11, 1, vcc
.LBB97_195:                             ;   in Loop: Header=BB97_178 Depth=1
	s_or_b64 exec, exec, s[60:61]
	v_add_f16_e32 v6, v75, v6
	v_cmp_eq_u16_sdwa vcc, v29, v5 src0_sel:BYTE_0 src1_sel:DWORD
	v_and_b32_e32 v10, 1, v29
	v_and_b32_e32 v11, 1, v11
	v_cndmask_b32_e32 v6, v75, v6, vcc
	v_cmp_eq_u32_e32 vcc, 1, v10
	v_subrev_u32_e32 v4, 64, v4
	s_nop 0
	v_cndmask_b32_e64 v80, v11, 1, vcc
	s_branch .LBB97_178
.LBB97_196:
	s_and_saveexec_b64 s[60:61], s[50:51]
	s_cbranch_execz .LBB97_198
; %bb.197:
	v_and_b32_e32 v3, 0xff0000, v2
	v_add_f16_e32 v4, v2, v75
	v_cmp_eq_u32_e32 vcc, 0, v3
	s_mov_b32 s3, 0
	s_add_i32 s2, s2, 64
	v_cndmask_b32_e32 v3, v2, v4, vcc
	v_and_b32_e32 v2, 0x10000, v2
	v_mov_b32_e32 v4, 1
	v_and_b32_sdwa v4, v29, v4 dst_sel:WORD_1 dst_unused:UNUSED_PAD src0_sel:DWORD src1_sel:DWORD
	v_mov_b32_e32 v5, 0x10000
	v_cmp_eq_u32_e32 vcc, 0, v2
	s_lshl_b64 s[2:3], s[2:3], 3
	s_add_u32 s2, s56, s2
	v_cndmask_b32_e32 v2, v5, v4, vcc
	s_addc_u32 s3, s57, s3
	v_mov_b32_e32 v4, 0
	v_or_b32_sdwa v2, v2, v3 dst_sel:DWORD dst_unused:UNUSED_PAD src0_sel:DWORD src1_sel:WORD_0
	v_mov_b32_e32 v3, 2
	global_store_dwordx2 v4, v[2:3], s[2:3] sc1
.LBB97_198:
	s_or_b64 exec, exec, s[60:61]
	v_cmp_eq_u32_e32 vcc, 0, v0
	s_and_b64 exec, exec, vcc
	s_cbranch_execz .LBB97_200
; %bb.199:
	v_mov_b32_e32 v2, 0
	ds_write_b16 v2, v75 offset:12
	ds_write_b8 v2, v29 offset:14
.LBB97_200:
	s_or_b64 exec, exec, s[52:53]
	v_mov_b32_e32 v2, 0
	s_waitcnt lgkmcnt(0)
	s_barrier
	ds_read_b32 v3, v2 offset:12
	v_lshrrev_b32_e32 v4, 16, v19
	v_cndmask_b32_e64 v5, v19, v17, s[50:51]
	v_cndmask_b32_e64 v4, v4, v18, s[50:51]
	v_cmp_eq_u16_sdwa vcc, v4, v2 src0_sel:BYTE_0 src1_sel:DWORD
	s_waitcnt lgkmcnt(0)
	v_add_f16_e32 v6, v5, v3
	v_cndmask_b32_e32 v4, v5, v6, vcc
	v_cmp_eq_u32_e32 vcc, 0, v0
	s_nop 1
	v_cndmask_b32_e32 v7, v4, v3, vcc
	v_add_f16_e32 v3, v1, v7
	v_cmp_eq_u16_sdwa vcc, v37, v2 src0_sel:BYTE_0 src1_sel:DWORD
	s_nop 1
	v_cndmask_b32_e32 v6, v1, v3, vcc
	v_add_f16_e32 v2, v6, v30
	v_cndmask_b32_e64 v8, v30, v2, s[4:5]
	v_add_f16_e32 v2, v8, v38
	v_cndmask_b32_e64 v9, v38, v2, s[6:7]
	;; [unrolled: 2-line block ×22, first 2 shown]
	s_branch .LBB97_255
.LBB97_201:
	s_or_b64 exec, exec, s[60:61]
                                        ; implicit-def: $vgpr30
	s_and_saveexec_b64 s[4:5], s[6:7]
	s_cbranch_execz .LBB97_53
.LBB97_202:
	global_load_ushort v30, v[28:29], off offset:512
	s_or_b64 exec, exec, s[4:5]
                                        ; implicit-def: $vgpr31
	s_and_saveexec_b64 s[4:5], s[8:9]
	s_cbranch_execnz .LBB97_54
.LBB97_203:
	s_or_b64 exec, exec, s[4:5]
                                        ; implicit-def: $vgpr32
	s_and_saveexec_b64 s[4:5], s[10:11]
	s_cbranch_execz .LBB97_55
.LBB97_204:
	global_load_ushort v32, v[28:29], off offset:1536
	s_or_b64 exec, exec, s[4:5]
                                        ; implicit-def: $vgpr33
	s_and_saveexec_b64 s[4:5], s[12:13]
	s_cbranch_execnz .LBB97_56
.LBB97_205:
	s_or_b64 exec, exec, s[4:5]
                                        ; implicit-def: $vgpr34
	s_and_saveexec_b64 s[4:5], s[14:15]
	s_cbranch_execz .LBB97_57
.LBB97_206:
	global_load_ushort v34, v[28:29], off offset:2560
	s_or_b64 exec, exec, s[4:5]
                                        ; implicit-def: $vgpr35
	s_and_saveexec_b64 s[4:5], s[16:17]
	s_cbranch_execnz .LBB97_58
.LBB97_207:
	s_or_b64 exec, exec, s[4:5]
                                        ; implicit-def: $vgpr36
	s_and_saveexec_b64 s[4:5], s[18:19]
	s_cbranch_execz .LBB97_59
.LBB97_208:
	global_load_ushort v36, v[28:29], off offset:3584
	s_or_b64 exec, exec, s[4:5]
                                        ; implicit-def: $vgpr37
	s_and_saveexec_b64 s[4:5], s[20:21]
	s_cbranch_execnz .LBB97_60
.LBB97_209:
	s_or_b64 exec, exec, s[4:5]
                                        ; implicit-def: $vgpr38
	s_and_saveexec_b64 s[4:5], s[22:23]
	s_cbranch_execz .LBB97_61
.LBB97_210:
	v_add_co_u32_e32 v38, vcc, 0x1000, v28
	s_nop 1
	v_addc_co_u32_e32 v39, vcc, 0, v29, vcc
	global_load_ushort v38, v[38:39], off offset:512
	s_or_b64 exec, exec, s[4:5]
                                        ; implicit-def: $vgpr39
	s_and_saveexec_b64 s[4:5], s[24:25]
	s_cbranch_execnz .LBB97_62
.LBB97_211:
	s_or_b64 exec, exec, s[4:5]
                                        ; implicit-def: $vgpr40
	s_and_saveexec_b64 s[4:5], s[26:27]
	s_cbranch_execz .LBB97_63
.LBB97_212:
	v_add_co_u32_e32 v40, vcc, 0x1000, v28
	s_nop 1
	v_addc_co_u32_e32 v41, vcc, 0, v29, vcc
	global_load_ushort v40, v[40:41], off offset:1536
	s_or_b64 exec, exec, s[4:5]
                                        ; implicit-def: $vgpr41
	s_and_saveexec_b64 s[4:5], s[28:29]
	s_cbranch_execnz .LBB97_64
.LBB97_213:
	s_or_b64 exec, exec, s[4:5]
                                        ; implicit-def: $vgpr42
	s_and_saveexec_b64 s[4:5], s[30:31]
	s_cbranch_execz .LBB97_65
.LBB97_214:
	v_add_co_u32_e32 v42, vcc, 0x1000, v28
	s_nop 1
	v_addc_co_u32_e32 v43, vcc, 0, v29, vcc
	global_load_ushort v42, v[42:43], off offset:2560
	s_or_b64 exec, exec, s[4:5]
                                        ; implicit-def: $vgpr43
	s_and_saveexec_b64 s[4:5], s[34:35]
	s_cbranch_execnz .LBB97_66
.LBB97_215:
	s_or_b64 exec, exec, s[4:5]
                                        ; implicit-def: $vgpr44
	s_and_saveexec_b64 s[4:5], s[36:37]
	s_cbranch_execz .LBB97_67
.LBB97_216:
	v_add_co_u32_e32 v44, vcc, 0x1000, v28
	s_nop 1
	v_addc_co_u32_e32 v45, vcc, 0, v29, vcc
	global_load_ushort v44, v[44:45], off offset:3584
	s_or_b64 exec, exec, s[4:5]
                                        ; implicit-def: $vgpr45
	s_and_saveexec_b64 s[4:5], s[38:39]
	s_cbranch_execnz .LBB97_68
.LBB97_217:
	s_or_b64 exec, exec, s[4:5]
                                        ; implicit-def: $vgpr46
	s_and_saveexec_b64 s[4:5], s[40:41]
	s_cbranch_execz .LBB97_69
.LBB97_218:
	v_add_co_u32_e32 v46, vcc, 0x2000, v28
	s_nop 1
	v_addc_co_u32_e32 v47, vcc, 0, v29, vcc
	global_load_ushort v46, v[46:47], off offset:512
	s_or_b64 exec, exec, s[4:5]
                                        ; implicit-def: $vgpr47
	s_and_saveexec_b64 s[4:5], s[42:43]
	s_cbranch_execnz .LBB97_70
.LBB97_219:
	s_or_b64 exec, exec, s[4:5]
                                        ; implicit-def: $vgpr48
	s_and_saveexec_b64 s[4:5], s[44:45]
	s_cbranch_execz .LBB97_71
.LBB97_220:
	v_add_co_u32_e32 v48, vcc, 0x2000, v28
	s_nop 1
	v_addc_co_u32_e32 v49, vcc, 0, v29, vcc
	global_load_ushort v48, v[48:49], off offset:1536
	s_or_b64 exec, exec, s[4:5]
                                        ; implicit-def: $vgpr49
	s_and_saveexec_b64 s[4:5], s[46:47]
	s_cbranch_execnz .LBB97_72
.LBB97_221:
	s_or_b64 exec, exec, s[4:5]
                                        ; implicit-def: $vgpr50
	s_and_saveexec_b64 s[4:5], s[48:49]
	s_cbranch_execz .LBB97_73
.LBB97_222:
	v_add_co_u32_e32 v50, vcc, 0x2000, v28
	s_nop 1
	v_addc_co_u32_e32 v51, vcc, 0, v29, vcc
	global_load_ushort v50, v[50:51], off offset:2560
	s_or_b64 exec, exec, s[4:5]
                                        ; implicit-def: $vgpr51
	s_and_saveexec_b64 s[4:5], s[50:51]
	s_cbranch_execz .LBB97_75
	s_branch .LBB97_74
.LBB97_223:
                                        ; implicit-def: $vgpr79
                                        ; implicit-def: $vgpr78
                                        ; implicit-def: $vgpr7
                                        ; implicit-def: $vgpr77
                                        ; implicit-def: $vgpr76
                                        ; implicit-def: $vgpr6
                                        ; implicit-def: $vgpr29
                                        ; implicit-def: $vgpr27
                                        ; implicit-def: $vgpr8
                                        ; implicit-def: $vgpr25
                                        ; implicit-def: $vgpr23
                                        ; implicit-def: $vgpr9
                                        ; implicit-def: $vgpr75
                                        ; implicit-def: $vgpr28
                                        ; implicit-def: $vgpr10
                                        ; implicit-def: $vgpr26
                                        ; implicit-def: $vgpr24
                                        ; implicit-def: $vgpr11
                                        ; implicit-def: $vgpr21
                                        ; implicit-def: $vgpr20
                                        ; implicit-def: $vgpr18
                                        ; implicit-def: $vgpr19
                                        ; implicit-def: $vgpr17
                                        ; implicit-def: $vgpr22
	s_cbranch_execz .LBB97_255
; %bb.224:
	s_cmp_eq_u64 s[66:67], 0
	v_mov_b32_e32 v2, s74
	s_cbranch_scc1 .LBB97_226
; %bb.225:
	v_mov_b32_e32 v2, 0
	global_load_ushort v2, v2, s[66:67]
.LBB97_226:
	v_mov_b32_e32 v3, 0
	v_cmp_eq_u16_sdwa vcc, v41, v3 src0_sel:BYTE_0 src1_sel:DWORD
	v_cmp_eq_u16_sdwa s[4:5], v42, v3 src0_sel:BYTE_0 src1_sel:DWORD
	v_cmp_eq_u16_sdwa s[6:7], v43, v3 src0_sel:BYTE_0 src1_sel:DWORD
	v_cndmask_b32_e32 v4, v30, v16, vcc
	v_add_f16_e32 v4, v4, v38
	v_cndmask_b32_e64 v4, v38, v4, s[4:5]
	v_add_f16_e32 v4, v4, v39
	v_cndmask_b32_e64 v4, v39, v4, s[6:7]
	v_add_f16_e32 v4, v4, v40
	v_cmp_eq_u16_sdwa s[8:9], v44, v3 src0_sel:BYTE_0 src1_sel:DWORD
	v_cmp_eq_u16_sdwa s[10:11], v45, v3 src0_sel:BYTE_0 src1_sel:DWORD
	v_cmp_eq_u16_sdwa s[12:13], v46, v3 src0_sel:BYTE_0 src1_sel:DWORD
	v_cndmask_b32_e64 v4, v40, v4, s[8:9]
	v_add_f16_e32 v4, v4, v32
	v_cndmask_b32_e64 v4, v32, v4, s[10:11]
	v_add_f16_e32 v4, v4, v47
	v_cndmask_b32_e64 v4, v47, v4, s[12:13]
	v_add_f16_e32 v4, v4, v33
	v_cmp_eq_u16_sdwa s[14:15], v49, v3 src0_sel:BYTE_0 src1_sel:DWORD
	v_cmp_eq_u16_sdwa s[18:19], v53, v3 src0_sel:BYTE_0 src1_sel:DWORD
	v_cmp_eq_u16_sdwa s[20:21], v55, v3 src0_sel:BYTE_0 src1_sel:DWORD
	v_cndmask_b32_e64 v4, v33, v4, s[14:15]
	;; [unrolled: 9-line block ×6, first 2 shown]
	v_add_f16_e32 v4, v4, v74
	v_cndmask_b32_e64 v4, v74, v4, s[44:45]
	v_add_f16_e32 v4, v4, v36
	v_cndmask_b32_e64 v4, v36, v4, s[46:47]
	v_add_f16_e32 v4, v4, v31
	v_cmp_eq_u16_sdwa s[16:17], v48, v3 src0_sel:BYTE_0 src1_sel:DWORD
	v_cmp_eq_u16_sdwa s[2:3], v12, v3 src0_sel:BYTE_0 src1_sel:DWORD
	s_nop 0
	v_cndmask_b32_e64 v4, v31, v4, s[16:17]
	v_add_f16_e32 v4, v4, v13
	v_cndmask_b32_e64 v3, v13, v4, s[2:3]
	v_or_b32_e32 v4, v15, v51
	v_or_b32_e32 v4, v4, v52
	;; [unrolled: 1-line block ×20, first 2 shown]
	v_and_b32_e32 v4, 1, v4
	v_cmp_eq_u32_e64 s[2:3], 1, v4
	v_mbcnt_hi_u32_b32 v4, -1, v14
	v_and_b32_e32 v6, 0xffff, v3
	v_cndmask_b32_e64 v5, v37, 1, s[2:3]
	v_and_b32_e32 v9, 0xff, v5
	v_and_b32_e32 v8, 15, v4
	v_lshl_or_b32 v6, v9, 16, v6
	v_cmp_ne_u32_e64 s[2:3], 0, v8
	s_nop 0
	v_mov_b32_dpp v7, v6 row_shr:1 row_mask:0xf bank_mask:0xf
	s_and_saveexec_b64 s[48:49], s[2:3]
; %bb.227:
	v_add_f16_e32 v6, v3, v7
	v_cmp_eq_u16_e64 s[2:3], 0, v9
	v_and_b32_e32 v5, 1, v5
	s_nop 0
	v_cndmask_b32_e64 v3, v3, v6, s[2:3]
	v_mov_b32_e32 v6, 1
	v_and_b32_sdwa v6, v7, v6 dst_sel:DWORD dst_unused:UNUSED_PAD src0_sel:WORD_1 src1_sel:DWORD
	v_cmp_eq_u32_e64 s[2:3], 1, v5
	s_nop 1
	v_cndmask_b32_e64 v5, v6, 1, s[2:3]
	v_lshlrev_b32_e32 v6, 16, v5
	v_or_b32_sdwa v6, v6, v3 dst_sel:DWORD dst_unused:UNUSED_PAD src0_sel:DWORD src1_sel:WORD_0
; %bb.228:
	s_or_b64 exec, exec, s[48:49]
	v_lshrrev_b32_e32 v7, 16, v6
	v_mov_b32_dpp v9, v6 row_shr:2 row_mask:0xf bank_mask:0xf
	v_cmp_lt_u32_e64 s[2:3], 1, v8
	s_and_saveexec_b64 s[48:49], s[2:3]
	s_cbranch_execz .LBB97_230
; %bb.229:
	s_mov_b32 s2, 0x10000
	v_add_f16_e32 v5, v3, v9
	v_cmp_gt_u32_e64 s[2:3], s2, v6
	s_nop 1
	v_cndmask_b32_e64 v3, v3, v5, s[2:3]
	v_and_b32_e32 v5, 0x10000, v6
	v_mov_b32_e32 v6, 1
	v_and_b32_sdwa v6, v9, v6 dst_sel:DWORD dst_unused:UNUSED_PAD src0_sel:WORD_1 src1_sel:DWORD
	v_cmp_ne_u32_e64 s[2:3], 0, v5
	s_nop 1
	v_cndmask_b32_e64 v5, v6, 1, s[2:3]
	v_lshlrev_b32_e32 v6, 16, v5
	v_or_b32_sdwa v6, v6, v3 dst_sel:DWORD dst_unused:UNUSED_PAD src0_sel:DWORD src1_sel:WORD_0
	v_mov_b32_e32 v7, v5
.LBB97_230:
	s_or_b64 exec, exec, s[48:49]
	v_mov_b32_dpp v9, v6 row_shr:4 row_mask:0xf bank_mask:0xf
	v_cmp_lt_u32_e64 s[2:3], 3, v8
	s_and_saveexec_b64 s[48:49], s[2:3]
; %bb.231:
	v_add_f16_e32 v5, v3, v9
	v_cmp_eq_u16_e64 s[2:3], 0, v7
	v_mov_b32_e32 v6, 1
	v_and_b32_sdwa v6, v9, v6 dst_sel:DWORD dst_unused:UNUSED_PAD src0_sel:WORD_1 src1_sel:DWORD
	v_cndmask_b32_e64 v3, v3, v5, s[2:3]
	v_and_b32_e32 v5, 1, v7
	v_cmp_eq_u32_e64 s[2:3], 1, v5
	s_nop 1
	v_cndmask_b32_e64 v5, v6, 1, s[2:3]
	v_lshlrev_b32_e32 v6, 16, v5
	v_or_b32_sdwa v6, v6, v3 dst_sel:DWORD dst_unused:UNUSED_PAD src0_sel:DWORD src1_sel:WORD_0
	v_mov_b32_e32 v7, v5
; %bb.232:
	s_or_b64 exec, exec, s[48:49]
	v_mov_b32_dpp v9, v6 row_shr:8 row_mask:0xf bank_mask:0xf
	v_cmp_lt_u32_e64 s[2:3], 7, v8
	s_and_saveexec_b64 s[48:49], s[2:3]
; %bb.233:
	v_add_f16_e32 v5, v3, v9
	v_cmp_eq_u16_e64 s[2:3], 0, v7
	v_mov_b32_e32 v6, 1
	v_and_b32_sdwa v6, v9, v6 dst_sel:DWORD dst_unused:UNUSED_PAD src0_sel:WORD_1 src1_sel:DWORD
	v_cndmask_b32_e64 v3, v3, v5, s[2:3]
	v_and_b32_e32 v5, 1, v7
	v_cmp_eq_u32_e64 s[2:3], 1, v5
	s_nop 1
	v_cndmask_b32_e64 v5, v6, 1, s[2:3]
	v_lshlrev_b32_e32 v6, 16, v5
	v_or_b32_sdwa v6, v6, v3 dst_sel:DWORD dst_unused:UNUSED_PAD src0_sel:DWORD src1_sel:WORD_0
	v_mov_b32_e32 v7, v5
; %bb.234:
	s_or_b64 exec, exec, s[48:49]
	v_and_b32_e32 v9, 16, v4
	v_mov_b32_dpp v8, v6 row_bcast:15 row_mask:0xf bank_mask:0xf
	v_cmp_ne_u32_e64 s[2:3], 0, v9
	s_and_saveexec_b64 s[48:49], s[2:3]
; %bb.235:
	v_add_f16_e32 v5, v3, v8
	v_cmp_eq_u16_e64 s[2:3], 0, v7
	v_mov_b32_e32 v6, 1
	v_and_b32_sdwa v6, v8, v6 dst_sel:DWORD dst_unused:UNUSED_PAD src0_sel:WORD_1 src1_sel:DWORD
	v_cndmask_b32_e64 v3, v3, v5, s[2:3]
	v_and_b32_e32 v5, 1, v7
	v_cmp_eq_u32_e64 s[2:3], 1, v5
	s_nop 1
	v_cndmask_b32_e64 v5, v6, 1, s[2:3]
	v_lshlrev_b32_e32 v6, 16, v5
	v_or_b32_sdwa v6, v6, v3 dst_sel:DWORD dst_unused:UNUSED_PAD src0_sel:DWORD src1_sel:WORD_0
	v_mov_b32_e32 v7, v5
; %bb.236:
	s_or_b64 exec, exec, s[48:49]
	v_mov_b32_dpp v6, v6 row_bcast:31 row_mask:0xf bank_mask:0xf
	v_cmp_lt_u32_e64 s[2:3], 31, v4
	s_and_saveexec_b64 s[48:49], s[2:3]
; %bb.237:
	v_and_b32_e32 v5, 1, v7
	v_mov_b32_e32 v9, 1
	v_add_f16_e32 v8, v3, v6
	v_and_b32_sdwa v6, v6, v9 dst_sel:DWORD dst_unused:UNUSED_PAD src0_sel:WORD_1 src1_sel:DWORD
	v_cmp_eq_u32_e64 s[2:3], 1, v5
	s_nop 1
	v_cndmask_b32_e64 v5, v6, 1, s[2:3]
	v_cmp_eq_u16_e64 s[2:3], 0, v7
	s_nop 1
	v_cndmask_b32_e64 v3, v3, v8, s[2:3]
; %bb.238:
	s_or_b64 exec, exec, s[48:49]
	v_or_b32_e32 v7, 63, v0
	v_lshrrev_b32_e32 v6, 6, v0
	v_cmp_eq_u32_e64 s[2:3], v7, v0
	s_and_saveexec_b64 s[48:49], s[2:3]
	s_cbranch_execz .LBB97_240
; %bb.239:
	v_lshlrev_b32_e32 v7, 2, v6
	ds_write_b16 v7, v3
	ds_write_b8 v7, v5 offset:2
.LBB97_240:
	s_or_b64 exec, exec, s[48:49]
	v_cmp_gt_u32_e64 s[2:3], 4, v0
	s_waitcnt lgkmcnt(0)
	s_barrier
	s_and_saveexec_b64 s[48:49], s[2:3]
	s_cbranch_execz .LBB97_246
; %bb.241:
	v_lshlrev_b32_e32 v7, 2, v0
	ds_read_b32 v9, v7
	v_and_b32_e32 v11, 3, v4
	v_cmp_ne_u32_e64 s[2:3], 0, v11
	s_waitcnt lgkmcnt(0)
	v_lshrrev_b32_e32 v10, 16, v9
	v_mov_b32_dpp v12, v9 row_shr:1 row_mask:0xf bank_mask:0xf
	v_mov_b32_e32 v8, v9
	s_and_saveexec_b64 s[50:51], s[2:3]
	s_cbranch_execz .LBB97_243
; %bb.242:
	v_mov_b32_e32 v8, 0
	v_add_f16_e32 v14, v9, v12
	v_cmp_eq_u16_sdwa s[2:3], v10, v8 src0_sel:BYTE_0 src1_sel:DWORD
	v_and_b32_e32 v13, 0xff000000, v9
	v_mov_b32_e32 v10, 1
	v_cndmask_b32_e64 v8, v9, v14, s[2:3]
	v_and_b32_e32 v9, 0x10000, v9
	v_and_b32_sdwa v10, v12, v10 dst_sel:DWORD dst_unused:UNUSED_PAD src0_sel:WORD_1 src1_sel:DWORD
	v_cmp_ne_u32_e64 s[2:3], 0, v9
	v_and_b32_e32 v12, 0xffff, v8
	s_nop 0
	v_cndmask_b32_e64 v10, v10, 1, s[2:3]
	v_lshlrev_b32_e32 v9, 16, v10
	v_or3_b32 v9, v9, v13, v12
.LBB97_243:
	s_or_b64 exec, exec, s[50:51]
	s_nop 0
	v_mov_b32_dpp v12, v9 row_shr:2 row_mask:0xf bank_mask:0xf
	v_cmp_lt_u32_e64 s[2:3], 1, v11
	s_and_saveexec_b64 s[50:51], s[2:3]
; %bb.244:
	v_and_b32_e32 v10, 0xff0000, v9
	v_add_f16_e32 v11, v8, v12
	v_cmp_eq_u32_e64 s[2:3], 0, v10
	v_and_b32_e32 v9, 0x10000, v9
	v_mov_b32_e32 v10, 1
	v_cndmask_b32_e64 v8, v8, v11, s[2:3]
	v_and_b32_sdwa v10, v12, v10 dst_sel:DWORD dst_unused:UNUSED_PAD src0_sel:WORD_1 src1_sel:DWORD
	v_cmp_eq_u32_e64 s[2:3], 0, v9
	s_nop 1
	v_cndmask_b32_e64 v10, 1, v10, s[2:3]
; %bb.245:
	s_or_b64 exec, exec, s[50:51]
	ds_write_b16 v7, v8
	ds_write_b8 v7, v10 offset:2
.LBB97_246:
	s_or_b64 exec, exec, s[48:49]
	v_cmp_lt_u32_e64 s[2:3], 63, v0
	v_mov_b32_e32 v8, 0
	v_mov_b32_e32 v9, 0
	s_waitcnt vmcnt(0)
	v_mov_b32_e32 v7, v2
	s_waitcnt lgkmcnt(0)
	s_barrier
	s_and_saveexec_b64 s[48:49], s[2:3]
	s_cbranch_execz .LBB97_252
; %bb.247:
	v_lshl_add_u32 v6, v6, 2, -4
	ds_read_u8 v7, v6 offset:2
                                        ; implicit-def: $sgpr50
	s_waitcnt lgkmcnt(0)
	v_cmp_ne_u16_e64 s[2:3], 0, v7
                                        ; implicit-def: $vgpr7
	s_and_saveexec_b64 s[52:53], s[2:3]
	s_xor_b64 s[2:3], exec, s[52:53]
	s_cbranch_execz .LBB97_249
; %bb.248:
	ds_read_u16 v7, v6
	s_mov_b32 s50, 0x10000
                                        ; implicit-def: $vgpr6
.LBB97_249:
	s_or_saveexec_b64 s[2:3], s[2:3]
	v_mov_b32_e32 v9, s50
	s_xor_b64 exec, exec, s[2:3]
	s_cbranch_execz .LBB97_251
; %bb.250:
	ds_read_u16 v6, v6
	v_mov_b32_e32 v9, 0
	s_waitcnt lgkmcnt(0)
	v_add_f16_e32 v7, v6, v2
.LBB97_251:
	s_or_b64 exec, exec, s[2:3]
.LBB97_252:
	s_or_b64 exec, exec, s[48:49]
	s_waitcnt lgkmcnt(0)
	v_add_f16_e32 v6, v3, v7
	v_cmp_eq_u16_sdwa s[2:3], v5, v8 src0_sel:BYTE_0 src1_sel:DWORD
	v_and_b32_e32 v5, 1, v5
	v_cmp_eq_u16_sdwa s[48:49], v37, v8 src0_sel:BYTE_0 src1_sel:DWORD
	v_cndmask_b32_e64 v3, v3, v6, s[2:3]
	v_mov_b32_e32 v6, 0x10000
	v_cmp_eq_u32_e64 s[2:3], 1, v5
	s_nop 1
	v_cndmask_b32_e64 v5, v9, v6, s[2:3]
	v_or_b32_sdwa v3, v5, v3 dst_sel:DWORD dst_unused:UNUSED_PAD src0_sel:DWORD src1_sel:WORD_0
	v_add_u32_e32 v5, -1, v4
	v_and_b32_e32 v6, 64, v4
	v_cmp_lt_i32_e64 s[2:3], v5, v6
	s_nop 1
	v_cndmask_b32_e64 v5, v5, v4, s[2:3]
	v_lshlrev_b32_e32 v5, 2, v5
	ds_bpermute_b32 v3, v5, v3
	v_cmp_eq_u32_e64 s[2:3], 0, v4
	s_waitcnt lgkmcnt(0)
	s_nop 0
	v_cndmask_b32_e64 v7, v3, v7, s[2:3]
	v_cmp_eq_u32_e64 s[2:3], 0, v0
	s_nop 1
	v_cndmask_b32_e64 v3, v7, v2, s[2:3]
	v_add_f16_e32 v3, v1, v3
	v_cndmask_b32_e64 v6, v1, v3, s[48:49]
	v_add_f16_e32 v1, v6, v30
	v_cndmask_b32_e32 v8, v30, v1, vcc
	v_add_f16_e32 v1, v8, v38
	v_cndmask_b32_e64 v9, v38, v1, s[4:5]
	v_add_f16_e32 v1, v9, v39
	v_cndmask_b32_e64 v10, v39, v1, s[6:7]
	;; [unrolled: 2-line block ×20, first 2 shown]
	v_add_f16_e32 v1, v78, v31
	s_and_saveexec_b64 s[4:5], s[2:3]
	s_cbranch_execz .LBB97_254
; %bb.253:
	v_mov_b32_e32 v3, 0
	ds_read_u8 v4, v3 offset:14
	ds_read_u16 v7, v3 offset:12
	v_mov_b32_e32 v5, 2
	s_waitcnt lgkmcnt(1)
	v_cmp_eq_u32_e32 vcc, 0, v4
	s_waitcnt lgkmcnt(0)
	v_add_f16_e32 v13, v2, v7
	v_lshlrev_b32_e32 v12, 16, v4
	v_cndmask_b32_e32 v4, v7, v13, vcc
	v_or_b32_sdwa v4, v12, v4 dst_sel:DWORD dst_unused:UNUSED_PAD src0_sel:DWORD src1_sel:WORD_0
	v_mov_b32_e32 v7, v2
	global_store_dwordx2 v3, v[4:5], s[56:57] offset:512 sc1
.LBB97_254:
	s_or_b64 exec, exec, s[4:5]
	v_cndmask_b32_e64 v79, v31, v1, s[16:17]
.LBB97_255:
	s_load_dwordx2 s[0:1], s[0:1], 0x18
	v_mul_u32_u24_e32 v1, 24, v0
	v_lshlrev_b32_e32 v12, 1, v1
	v_lshlrev_b32_e32 v2, 1, v0
	s_waitcnt lgkmcnt(0)
	s_add_u32 s0, s0, s64
	s_addc_u32 s1, s1, s65
	s_and_b64 vcc, exec, s[54:55]
	s_cbranch_vccz .LBB97_303
; %bb.256:
	s_mov_b32 s2, 0x5040100
	v_perm_b32 v33, v22, v18, s2
	v_perm_b32 v32, v11, v10, s2
	;; [unrolled: 1-line block ×4, first 2 shown]
	s_barrier
	ds_write_b128 v12, v[30:33]
	v_perm_b32 v33, v75, v28, s2
	v_perm_b32 v32, v26, v24, s2
	;; [unrolled: 1-line block ×4, first 2 shown]
	ds_write_b128 v12, v[30:33] offset:16
	v_perm_b32 v33, v79, v78, s2
	v_perm_b32 v32, v77, v76, s2
	;; [unrolled: 1-line block ×4, first 2 shown]
	s_movk_i32 s2, 0xffd2
	v_mad_i32_i24 v3, v0, s2, v12
	ds_write_b128 v12, v[30:33] offset:32
	s_waitcnt lgkmcnt(0)
	s_barrier
	ds_read_u16 v47, v3 offset:512
	ds_read_u16 v46, v3 offset:1024
	;; [unrolled: 1-line block ×23, first 2 shown]
	s_add_i32 s33, s33, s58
	v_mov_b32_e32 v3, 0
	v_lshl_add_u64 v[4:5], s[0:1], 0, v[2:3]
	v_cmp_gt_u32_e32 vcc, s33, v0
	s_and_saveexec_b64 s[2:3], vcc
	s_cbranch_execz .LBB97_258
; %bb.257:
	v_mul_i32_i24_e32 v48, 0xffffffd2, v0
	v_add_u32_e32 v48, v12, v48
	ds_read_u16 v48, v48
	s_waitcnt lgkmcnt(0)
	global_store_short v[4:5], v48, off
.LBB97_258:
	s_or_b64 exec, exec, s[2:3]
	v_or_b32_e32 v48, 0x100, v0
	v_cmp_gt_u32_e32 vcc, s33, v48
	s_and_saveexec_b64 s[2:3], vcc
	s_cbranch_execz .LBB97_260
; %bb.259:
	s_waitcnt lgkmcnt(14)
	global_store_short v[4:5], v47, off offset:512
.LBB97_260:
	s_or_b64 exec, exec, s[2:3]
	s_waitcnt lgkmcnt(14)
	v_or_b32_e32 v47, 0x200, v0
	v_cmp_gt_u32_e32 vcc, s33, v47
	s_and_saveexec_b64 s[2:3], vcc
	s_cbranch_execz .LBB97_262
; %bb.261:
	global_store_short v[4:5], v46, off offset:1024
.LBB97_262:
	s_or_b64 exec, exec, s[2:3]
	v_or_b32_e32 v46, 0x300, v0
	v_cmp_gt_u32_e32 vcc, s33, v46
	s_and_saveexec_b64 s[2:3], vcc
	s_cbranch_execz .LBB97_264
; %bb.263:
	global_store_short v[4:5], v45, off offset:1536
.LBB97_264:
	s_or_b64 exec, exec, s[2:3]
	;; [unrolled: 8-line block ×6, first 2 shown]
	v_or_b32_e32 v41, 0x800, v0
	v_cmp_gt_u32_e32 vcc, s33, v41
	s_and_saveexec_b64 s[2:3], vcc
	s_cbranch_execz .LBB97_274
; %bb.273:
	v_add_co_u32_e32 v42, vcc, 0x1000, v4
	s_nop 1
	v_addc_co_u32_e32 v43, vcc, 0, v5, vcc
	global_store_short v[42:43], v40, off
.LBB97_274:
	s_or_b64 exec, exec, s[2:3]
	v_or_b32_e32 v40, 0x900, v0
	v_cmp_gt_u32_e32 vcc, s33, v40
	s_and_saveexec_b64 s[2:3], vcc
	s_cbranch_execz .LBB97_276
; %bb.275:
	v_add_co_u32_e32 v40, vcc, 0x1000, v4
	s_nop 1
	v_addc_co_u32_e32 v41, vcc, 0, v5, vcc
	global_store_short v[40:41], v39, off offset:512
.LBB97_276:
	s_or_b64 exec, exec, s[2:3]
	v_or_b32_e32 v39, 0xa00, v0
	v_cmp_gt_u32_e32 vcc, s33, v39
	s_and_saveexec_b64 s[2:3], vcc
	s_cbranch_execz .LBB97_278
; %bb.277:
	v_add_co_u32_e32 v40, vcc, 0x1000, v4
	s_nop 1
	v_addc_co_u32_e32 v41, vcc, 0, v5, vcc
	s_waitcnt lgkmcnt(13)
	global_store_short v[40:41], v38, off offset:1024
.LBB97_278:
	s_or_b64 exec, exec, s[2:3]
	s_waitcnt lgkmcnt(13)
	v_or_b32_e32 v38, 0xb00, v0
	v_cmp_gt_u32_e32 vcc, s33, v38
	s_and_saveexec_b64 s[2:3], vcc
	s_cbranch_execz .LBB97_280
; %bb.279:
	v_add_co_u32_e32 v38, vcc, 0x1000, v4
	s_nop 1
	v_addc_co_u32_e32 v39, vcc, 0, v5, vcc
	s_waitcnt lgkmcnt(12)
	global_store_short v[38:39], v37, off offset:1536
.LBB97_280:
	s_or_b64 exec, exec, s[2:3]
	s_waitcnt lgkmcnt(12)
	;; [unrolled: 13-line block ×6, first 2 shown]
	v_or_b32_e32 v33, 0x1000, v0
	v_cmp_gt_u32_e32 vcc, s33, v33
	s_and_saveexec_b64 s[2:3], vcc
	s_cbranch_execz .LBB97_290
; %bb.289:
	v_add_co_u32_e32 v34, vcc, 0x2000, v4
	s_nop 1
	v_addc_co_u32_e32 v35, vcc, 0, v5, vcc
	s_waitcnt lgkmcnt(7)
	global_store_short v[34:35], v32, off
.LBB97_290:
	s_or_b64 exec, exec, s[2:3]
	s_waitcnt lgkmcnt(7)
	v_or_b32_e32 v32, 0x1100, v0
	v_cmp_gt_u32_e32 vcc, s33, v32
	s_and_saveexec_b64 s[2:3], vcc
	s_cbranch_execz .LBB97_292
; %bb.291:
	v_add_co_u32_e32 v32, vcc, 0x2000, v4
	s_nop 1
	v_addc_co_u32_e32 v33, vcc, 0, v5, vcc
	s_waitcnt lgkmcnt(6)
	global_store_short v[32:33], v31, off offset:512
.LBB97_292:
	s_or_b64 exec, exec, s[2:3]
	s_waitcnt lgkmcnt(6)
	v_or_b32_e32 v31, 0x1200, v0
	v_cmp_gt_u32_e32 vcc, s33, v31
	s_and_saveexec_b64 s[2:3], vcc
	s_cbranch_execz .LBB97_294
; %bb.293:
	v_add_co_u32_e32 v32, vcc, 0x2000, v4
	s_nop 1
	v_addc_co_u32_e32 v33, vcc, 0, v5, vcc
	s_waitcnt lgkmcnt(5)
	global_store_short v[32:33], v30, off offset:1024
.LBB97_294:
	;; [unrolled: 13-line block ×6, first 2 shown]
	s_or_b64 exec, exec, s[2:3]
	s_waitcnt lgkmcnt(1)
	v_mov_b32_e32 v1, v3
	v_or_b32_e32 v3, 0x1700, v0
	v_cmp_gt_u32_e64 s[2:3], s33, v3
	s_branch .LBB97_305
.LBB97_303:
	s_mov_b64 s[2:3], 0
                                        ; implicit-def: $vgpr13
	s_cbranch_execz .LBB97_305
; %bb.304:
	s_mov_b32 s4, 0x5040100
	v_perm_b32 v30, v6, v7, s4
	v_perm_b32 v7, v75, v28, s4
	;; [unrolled: 1-line block ×5, first 2 shown]
	s_waitcnt lgkmcnt(0)
	s_barrier
	v_perm_b32 v33, v22, v18, s4
	v_perm_b32 v32, v11, v10, s4
	v_perm_b32 v31, v9, v8, s4
	ds_write_b128 v12, v[4:7] offset:16
	v_perm_b32 v7, v79, v78, s4
	v_perm_b32 v6, v77, v76, s4
	;; [unrolled: 1-line block ×4, first 2 shown]
	s_movk_i32 s4, 0xffd2
	v_mov_b32_e32 v1, 0
	v_mad_i32_i24 v3, v0, s4, v12
	ds_write_b128 v12, v[30:33]
	ds_write_b128 v12, v[4:7] offset:32
	s_waitcnt lgkmcnt(0)
	s_barrier
	ds_read_u16 v6, v3
	ds_read_u16 v7, v3 offset:512
	ds_read_u16 v8, v3 offset:1024
	;; [unrolled: 1-line block ×23, first 2 shown]
	v_mov_b32_e32 v3, v1
	v_lshl_add_u64 v[4:5], s[0:1], 0, v[2:3]
	s_movk_i32 s4, 0x1000
	s_waitcnt lgkmcnt(14)
	global_store_short v2, v6, s[0:1]
	global_store_short v2, v7, s[0:1] offset:512
	global_store_short v2, v8, s[0:1] offset:1024
	;; [unrolled: 1-line block ×7, first 2 shown]
	v_add_co_u32_e32 v2, vcc, s4, v4
	s_or_b64 s[2:3], s[2:3], exec
	s_nop 0
	v_addc_co_u32_e32 v3, vcc, 0, v5, vcc
	global_store_short v[2:3], v15, off
	global_store_short v[2:3], v16, off offset:512
	s_waitcnt lgkmcnt(13)
	global_store_short v[2:3], v17, off offset:1024
	s_waitcnt lgkmcnt(12)
	;; [unrolled: 2-line block ×6, first 2 shown]
	global_store_short v[2:3], v22, off offset:3584
	v_add_co_u32_e32 v2, vcc, 0x2000, v4
	s_nop 1
	v_addc_co_u32_e32 v3, vcc, 0, v5, vcc
	s_waitcnt lgkmcnt(7)
	global_store_short v[2:3], v23, off
	s_waitcnt lgkmcnt(6)
	global_store_short v[2:3], v24, off offset:512
	s_waitcnt lgkmcnt(5)
	global_store_short v[2:3], v25, off offset:1024
	;; [unrolled: 2-line block ×6, first 2 shown]
.LBB97_305:
	s_and_saveexec_b64 s[4:5], s[2:3]
	s_cbranch_execz .LBB97_307
; %bb.306:
	v_lshl_add_u64 v[0:1], v[0:1], 1, s[0:1]
	v_add_co_u32_e32 v0, vcc, 0x2000, v0
	s_nop 1
	v_addc_co_u32_e32 v1, vcc, 0, v1, vcc
	s_waitcnt lgkmcnt(0)
	global_store_short v[0:1], v13, off offset:3584
	s_endpgm
.LBB97_307:
	s_endpgm
	.section	.rodata,"a",@progbits
	.p2align	6, 0x0
	.amdhsa_kernel _ZN7rocprim6detail25device_scan_by_key_kernelILNS0_25lookback_scan_determinismE0ELb1ENS0_26wrapped_scan_by_key_configINS_14default_configEi6__halfEEPiN6hipcub22TransformInputIteratorIS5_NS8_6CastOpIS5_EEPS5_lEESC_S5_NS8_8EqualityENS8_3SumENS0_19lookback_scan_stateINS_5tupleIJS5_bEEELb0ELb1EEES5_EEvT2_T3_T4_T5_T6_T7_T8_mmmPKNSH_IJT9_bEEE
		.amdhsa_group_segment_fixed_size 26624
		.amdhsa_private_segment_fixed_size 0
		.amdhsa_kernarg_size 80
		.amdhsa_user_sgpr_count 2
		.amdhsa_user_sgpr_dispatch_ptr 0
		.amdhsa_user_sgpr_queue_ptr 0
		.amdhsa_user_sgpr_kernarg_segment_ptr 1
		.amdhsa_user_sgpr_dispatch_id 0
		.amdhsa_user_sgpr_kernarg_preload_length 0
		.amdhsa_user_sgpr_kernarg_preload_offset 0
		.amdhsa_user_sgpr_private_segment_size 0
		.amdhsa_uses_dynamic_stack 0
		.amdhsa_enable_private_segment 0
		.amdhsa_system_sgpr_workgroup_id_x 1
		.amdhsa_system_sgpr_workgroup_id_y 0
		.amdhsa_system_sgpr_workgroup_id_z 0
		.amdhsa_system_sgpr_workgroup_info 0
		.amdhsa_system_vgpr_workitem_id 0
		.amdhsa_next_free_vgpr 83
		.amdhsa_next_free_sgpr 75
		.amdhsa_accum_offset 84
		.amdhsa_reserve_vcc 1
		.amdhsa_float_round_mode_32 0
		.amdhsa_float_round_mode_16_64 0
		.amdhsa_float_denorm_mode_32 3
		.amdhsa_float_denorm_mode_16_64 3
		.amdhsa_dx10_clamp 1
		.amdhsa_ieee_mode 1
		.amdhsa_fp16_overflow 0
		.amdhsa_tg_split 0
		.amdhsa_exception_fp_ieee_invalid_op 0
		.amdhsa_exception_fp_denorm_src 0
		.amdhsa_exception_fp_ieee_div_zero 0
		.amdhsa_exception_fp_ieee_overflow 0
		.amdhsa_exception_fp_ieee_underflow 0
		.amdhsa_exception_fp_ieee_inexact 0
		.amdhsa_exception_int_div_zero 0
	.end_amdhsa_kernel
	.section	.text._ZN7rocprim6detail25device_scan_by_key_kernelILNS0_25lookback_scan_determinismE0ELb1ENS0_26wrapped_scan_by_key_configINS_14default_configEi6__halfEEPiN6hipcub22TransformInputIteratorIS5_NS8_6CastOpIS5_EEPS5_lEESC_S5_NS8_8EqualityENS8_3SumENS0_19lookback_scan_stateINS_5tupleIJS5_bEEELb0ELb1EEES5_EEvT2_T3_T4_T5_T6_T7_T8_mmmPKNSH_IJT9_bEEE,"axG",@progbits,_ZN7rocprim6detail25device_scan_by_key_kernelILNS0_25lookback_scan_determinismE0ELb1ENS0_26wrapped_scan_by_key_configINS_14default_configEi6__halfEEPiN6hipcub22TransformInputIteratorIS5_NS8_6CastOpIS5_EEPS5_lEESC_S5_NS8_8EqualityENS8_3SumENS0_19lookback_scan_stateINS_5tupleIJS5_bEEELb0ELb1EEES5_EEvT2_T3_T4_T5_T6_T7_T8_mmmPKNSH_IJT9_bEEE,comdat
.Lfunc_end97:
	.size	_ZN7rocprim6detail25device_scan_by_key_kernelILNS0_25lookback_scan_determinismE0ELb1ENS0_26wrapped_scan_by_key_configINS_14default_configEi6__halfEEPiN6hipcub22TransformInputIteratorIS5_NS8_6CastOpIS5_EEPS5_lEESC_S5_NS8_8EqualityENS8_3SumENS0_19lookback_scan_stateINS_5tupleIJS5_bEEELb0ELb1EEES5_EEvT2_T3_T4_T5_T6_T7_T8_mmmPKNSH_IJT9_bEEE, .Lfunc_end97-_ZN7rocprim6detail25device_scan_by_key_kernelILNS0_25lookback_scan_determinismE0ELb1ENS0_26wrapped_scan_by_key_configINS_14default_configEi6__halfEEPiN6hipcub22TransformInputIteratorIS5_NS8_6CastOpIS5_EEPS5_lEESC_S5_NS8_8EqualityENS8_3SumENS0_19lookback_scan_stateINS_5tupleIJS5_bEEELb0ELb1EEES5_EEvT2_T3_T4_T5_T6_T7_T8_mmmPKNSH_IJT9_bEEE
                                        ; -- End function
	.section	.AMDGPU.csdata,"",@progbits
; Kernel info:
; codeLenInByte = 16624
; NumSgprs: 81
; NumVgprs: 83
; NumAgprs: 0
; TotalNumVgprs: 83
; ScratchSize: 0
; MemoryBound: 0
; FloatMode: 240
; IeeeMode: 1
; LDSByteSize: 26624 bytes/workgroup (compile time only)
; SGPRBlocks: 10
; VGPRBlocks: 10
; NumSGPRsForWavesPerEU: 81
; NumVGPRsForWavesPerEU: 83
; AccumOffset: 84
; Occupancy: 2
; WaveLimiterHint : 1
; COMPUTE_PGM_RSRC2:SCRATCH_EN: 0
; COMPUTE_PGM_RSRC2:USER_SGPR: 2
; COMPUTE_PGM_RSRC2:TRAP_HANDLER: 0
; COMPUTE_PGM_RSRC2:TGID_X_EN: 1
; COMPUTE_PGM_RSRC2:TGID_Y_EN: 0
; COMPUTE_PGM_RSRC2:TGID_Z_EN: 0
; COMPUTE_PGM_RSRC2:TIDIG_COMP_CNT: 0
; COMPUTE_PGM_RSRC3_GFX90A:ACCUM_OFFSET: 20
; COMPUTE_PGM_RSRC3_GFX90A:TG_SPLIT: 0
	.section	.text._ZN7rocprim6detail25device_scan_by_key_kernelILNS0_25lookback_scan_determinismE0ELb1ENS0_26wrapped_scan_by_key_configINS_14default_configEi6__halfEEPiN6hipcub22TransformInputIteratorIS5_NS8_6CastOpIS5_EEPS5_lEESC_S5_NS8_8EqualityENS8_3MaxENS0_19lookback_scan_stateINS_5tupleIJS5_bEEELb1ELb1EEES5_EEvT2_T3_T4_T5_T6_T7_T8_mmmPKNSH_IJT9_bEEE,"axG",@progbits,_ZN7rocprim6detail25device_scan_by_key_kernelILNS0_25lookback_scan_determinismE0ELb1ENS0_26wrapped_scan_by_key_configINS_14default_configEi6__halfEEPiN6hipcub22TransformInputIteratorIS5_NS8_6CastOpIS5_EEPS5_lEESC_S5_NS8_8EqualityENS8_3MaxENS0_19lookback_scan_stateINS_5tupleIJS5_bEEELb1ELb1EEES5_EEvT2_T3_T4_T5_T6_T7_T8_mmmPKNSH_IJT9_bEEE,comdat
	.protected	_ZN7rocprim6detail25device_scan_by_key_kernelILNS0_25lookback_scan_determinismE0ELb1ENS0_26wrapped_scan_by_key_configINS_14default_configEi6__halfEEPiN6hipcub22TransformInputIteratorIS5_NS8_6CastOpIS5_EEPS5_lEESC_S5_NS8_8EqualityENS8_3MaxENS0_19lookback_scan_stateINS_5tupleIJS5_bEEELb1ELb1EEES5_EEvT2_T3_T4_T5_T6_T7_T8_mmmPKNSH_IJT9_bEEE ; -- Begin function _ZN7rocprim6detail25device_scan_by_key_kernelILNS0_25lookback_scan_determinismE0ELb1ENS0_26wrapped_scan_by_key_configINS_14default_configEi6__halfEEPiN6hipcub22TransformInputIteratorIS5_NS8_6CastOpIS5_EEPS5_lEESC_S5_NS8_8EqualityENS8_3MaxENS0_19lookback_scan_stateINS_5tupleIJS5_bEEELb1ELb1EEES5_EEvT2_T3_T4_T5_T6_T7_T8_mmmPKNSH_IJT9_bEEE
	.globl	_ZN7rocprim6detail25device_scan_by_key_kernelILNS0_25lookback_scan_determinismE0ELb1ENS0_26wrapped_scan_by_key_configINS_14default_configEi6__halfEEPiN6hipcub22TransformInputIteratorIS5_NS8_6CastOpIS5_EEPS5_lEESC_S5_NS8_8EqualityENS8_3MaxENS0_19lookback_scan_stateINS_5tupleIJS5_bEEELb1ELb1EEES5_EEvT2_T3_T4_T5_T6_T7_T8_mmmPKNSH_IJT9_bEEE
	.p2align	8
	.type	_ZN7rocprim6detail25device_scan_by_key_kernelILNS0_25lookback_scan_determinismE0ELb1ENS0_26wrapped_scan_by_key_configINS_14default_configEi6__halfEEPiN6hipcub22TransformInputIteratorIS5_NS8_6CastOpIS5_EEPS5_lEESC_S5_NS8_8EqualityENS8_3MaxENS0_19lookback_scan_stateINS_5tupleIJS5_bEEELb1ELb1EEES5_EEvT2_T3_T4_T5_T6_T7_T8_mmmPKNSH_IJT9_bEEE,@function
_ZN7rocprim6detail25device_scan_by_key_kernelILNS0_25lookback_scan_determinismE0ELb1ENS0_26wrapped_scan_by_key_configINS_14default_configEi6__halfEEPiN6hipcub22TransformInputIteratorIS5_NS8_6CastOpIS5_EEPS5_lEESC_S5_NS8_8EqualityENS8_3MaxENS0_19lookback_scan_stateINS_5tupleIJS5_bEEELb1ELb1EEES5_EEvT2_T3_T4_T5_T6_T7_T8_mmmPKNSH_IJT9_bEEE: ; @_ZN7rocprim6detail25device_scan_by_key_kernelILNS0_25lookback_scan_determinismE0ELb1ENS0_26wrapped_scan_by_key_configINS_14default_configEi6__halfEEPiN6hipcub22TransformInputIteratorIS5_NS8_6CastOpIS5_EEPS5_lEESC_S5_NS8_8EqualityENS8_3MaxENS0_19lookback_scan_stateINS_5tupleIJS5_bEEELb1ELb1EEES5_EEvT2_T3_T4_T5_T6_T7_T8_mmmPKNSH_IJT9_bEEE
; %bb.0:
	s_endpgm
	.section	.rodata,"a",@progbits
	.p2align	6, 0x0
	.amdhsa_kernel _ZN7rocprim6detail25device_scan_by_key_kernelILNS0_25lookback_scan_determinismE0ELb1ENS0_26wrapped_scan_by_key_configINS_14default_configEi6__halfEEPiN6hipcub22TransformInputIteratorIS5_NS8_6CastOpIS5_EEPS5_lEESC_S5_NS8_8EqualityENS8_3MaxENS0_19lookback_scan_stateINS_5tupleIJS5_bEEELb1ELb1EEES5_EEvT2_T3_T4_T5_T6_T7_T8_mmmPKNSH_IJT9_bEEE
		.amdhsa_group_segment_fixed_size 0
		.amdhsa_private_segment_fixed_size 0
		.amdhsa_kernarg_size 80
		.amdhsa_user_sgpr_count 2
		.amdhsa_user_sgpr_dispatch_ptr 0
		.amdhsa_user_sgpr_queue_ptr 0
		.amdhsa_user_sgpr_kernarg_segment_ptr 1
		.amdhsa_user_sgpr_dispatch_id 0
		.amdhsa_user_sgpr_kernarg_preload_length 0
		.amdhsa_user_sgpr_kernarg_preload_offset 0
		.amdhsa_user_sgpr_private_segment_size 0
		.amdhsa_uses_dynamic_stack 0
		.amdhsa_enable_private_segment 0
		.amdhsa_system_sgpr_workgroup_id_x 1
		.amdhsa_system_sgpr_workgroup_id_y 0
		.amdhsa_system_sgpr_workgroup_id_z 0
		.amdhsa_system_sgpr_workgroup_info 0
		.amdhsa_system_vgpr_workitem_id 0
		.amdhsa_next_free_vgpr 1
		.amdhsa_next_free_sgpr 0
		.amdhsa_accum_offset 4
		.amdhsa_reserve_vcc 0
		.amdhsa_float_round_mode_32 0
		.amdhsa_float_round_mode_16_64 0
		.amdhsa_float_denorm_mode_32 3
		.amdhsa_float_denorm_mode_16_64 3
		.amdhsa_dx10_clamp 1
		.amdhsa_ieee_mode 1
		.amdhsa_fp16_overflow 0
		.amdhsa_tg_split 0
		.amdhsa_exception_fp_ieee_invalid_op 0
		.amdhsa_exception_fp_denorm_src 0
		.amdhsa_exception_fp_ieee_div_zero 0
		.amdhsa_exception_fp_ieee_overflow 0
		.amdhsa_exception_fp_ieee_underflow 0
		.amdhsa_exception_fp_ieee_inexact 0
		.amdhsa_exception_int_div_zero 0
	.end_amdhsa_kernel
	.section	.text._ZN7rocprim6detail25device_scan_by_key_kernelILNS0_25lookback_scan_determinismE0ELb1ENS0_26wrapped_scan_by_key_configINS_14default_configEi6__halfEEPiN6hipcub22TransformInputIteratorIS5_NS8_6CastOpIS5_EEPS5_lEESC_S5_NS8_8EqualityENS8_3MaxENS0_19lookback_scan_stateINS_5tupleIJS5_bEEELb1ELb1EEES5_EEvT2_T3_T4_T5_T6_T7_T8_mmmPKNSH_IJT9_bEEE,"axG",@progbits,_ZN7rocprim6detail25device_scan_by_key_kernelILNS0_25lookback_scan_determinismE0ELb1ENS0_26wrapped_scan_by_key_configINS_14default_configEi6__halfEEPiN6hipcub22TransformInputIteratorIS5_NS8_6CastOpIS5_EEPS5_lEESC_S5_NS8_8EqualityENS8_3MaxENS0_19lookback_scan_stateINS_5tupleIJS5_bEEELb1ELb1EEES5_EEvT2_T3_T4_T5_T6_T7_T8_mmmPKNSH_IJT9_bEEE,comdat
.Lfunc_end98:
	.size	_ZN7rocprim6detail25device_scan_by_key_kernelILNS0_25lookback_scan_determinismE0ELb1ENS0_26wrapped_scan_by_key_configINS_14default_configEi6__halfEEPiN6hipcub22TransformInputIteratorIS5_NS8_6CastOpIS5_EEPS5_lEESC_S5_NS8_8EqualityENS8_3MaxENS0_19lookback_scan_stateINS_5tupleIJS5_bEEELb1ELb1EEES5_EEvT2_T3_T4_T5_T6_T7_T8_mmmPKNSH_IJT9_bEEE, .Lfunc_end98-_ZN7rocprim6detail25device_scan_by_key_kernelILNS0_25lookback_scan_determinismE0ELb1ENS0_26wrapped_scan_by_key_configINS_14default_configEi6__halfEEPiN6hipcub22TransformInputIteratorIS5_NS8_6CastOpIS5_EEPS5_lEESC_S5_NS8_8EqualityENS8_3MaxENS0_19lookback_scan_stateINS_5tupleIJS5_bEEELb1ELb1EEES5_EEvT2_T3_T4_T5_T6_T7_T8_mmmPKNSH_IJT9_bEEE
                                        ; -- End function
	.section	.AMDGPU.csdata,"",@progbits
; Kernel info:
; codeLenInByte = 4
; NumSgprs: 6
; NumVgprs: 0
; NumAgprs: 0
; TotalNumVgprs: 0
; ScratchSize: 0
; MemoryBound: 0
; FloatMode: 240
; IeeeMode: 1
; LDSByteSize: 0 bytes/workgroup (compile time only)
; SGPRBlocks: 0
; VGPRBlocks: 0
; NumSGPRsForWavesPerEU: 6
; NumVGPRsForWavesPerEU: 1
; AccumOffset: 4
; Occupancy: 8
; WaveLimiterHint : 0
; COMPUTE_PGM_RSRC2:SCRATCH_EN: 0
; COMPUTE_PGM_RSRC2:USER_SGPR: 2
; COMPUTE_PGM_RSRC2:TRAP_HANDLER: 0
; COMPUTE_PGM_RSRC2:TGID_X_EN: 1
; COMPUTE_PGM_RSRC2:TGID_Y_EN: 0
; COMPUTE_PGM_RSRC2:TGID_Z_EN: 0
; COMPUTE_PGM_RSRC2:TIDIG_COMP_CNT: 0
; COMPUTE_PGM_RSRC3_GFX90A:ACCUM_OFFSET: 0
; COMPUTE_PGM_RSRC3_GFX90A:TG_SPLIT: 0
	.section	.text._ZN7rocprim6detail25device_scan_by_key_kernelILNS0_25lookback_scan_determinismE0ELb1ENS0_26wrapped_scan_by_key_configINS_14default_configEi6__halfEEPiN6hipcub22TransformInputIteratorIS5_NS8_6CastOpIS5_EEPS5_lEESC_S5_NS8_8EqualityENS8_3MaxENS0_19lookback_scan_stateINS_5tupleIJS5_bEEELb0ELb1EEES5_EEvT2_T3_T4_T5_T6_T7_T8_mmmPKNSH_IJT9_bEEE,"axG",@progbits,_ZN7rocprim6detail25device_scan_by_key_kernelILNS0_25lookback_scan_determinismE0ELb1ENS0_26wrapped_scan_by_key_configINS_14default_configEi6__halfEEPiN6hipcub22TransformInputIteratorIS5_NS8_6CastOpIS5_EEPS5_lEESC_S5_NS8_8EqualityENS8_3MaxENS0_19lookback_scan_stateINS_5tupleIJS5_bEEELb0ELb1EEES5_EEvT2_T3_T4_T5_T6_T7_T8_mmmPKNSH_IJT9_bEEE,comdat
	.protected	_ZN7rocprim6detail25device_scan_by_key_kernelILNS0_25lookback_scan_determinismE0ELb1ENS0_26wrapped_scan_by_key_configINS_14default_configEi6__halfEEPiN6hipcub22TransformInputIteratorIS5_NS8_6CastOpIS5_EEPS5_lEESC_S5_NS8_8EqualityENS8_3MaxENS0_19lookback_scan_stateINS_5tupleIJS5_bEEELb0ELb1EEES5_EEvT2_T3_T4_T5_T6_T7_T8_mmmPKNSH_IJT9_bEEE ; -- Begin function _ZN7rocprim6detail25device_scan_by_key_kernelILNS0_25lookback_scan_determinismE0ELb1ENS0_26wrapped_scan_by_key_configINS_14default_configEi6__halfEEPiN6hipcub22TransformInputIteratorIS5_NS8_6CastOpIS5_EEPS5_lEESC_S5_NS8_8EqualityENS8_3MaxENS0_19lookback_scan_stateINS_5tupleIJS5_bEEELb0ELb1EEES5_EEvT2_T3_T4_T5_T6_T7_T8_mmmPKNSH_IJT9_bEEE
	.globl	_ZN7rocprim6detail25device_scan_by_key_kernelILNS0_25lookback_scan_determinismE0ELb1ENS0_26wrapped_scan_by_key_configINS_14default_configEi6__halfEEPiN6hipcub22TransformInputIteratorIS5_NS8_6CastOpIS5_EEPS5_lEESC_S5_NS8_8EqualityENS8_3MaxENS0_19lookback_scan_stateINS_5tupleIJS5_bEEELb0ELb1EEES5_EEvT2_T3_T4_T5_T6_T7_T8_mmmPKNSH_IJT9_bEEE
	.p2align	8
	.type	_ZN7rocprim6detail25device_scan_by_key_kernelILNS0_25lookback_scan_determinismE0ELb1ENS0_26wrapped_scan_by_key_configINS_14default_configEi6__halfEEPiN6hipcub22TransformInputIteratorIS5_NS8_6CastOpIS5_EEPS5_lEESC_S5_NS8_8EqualityENS8_3MaxENS0_19lookback_scan_stateINS_5tupleIJS5_bEEELb0ELb1EEES5_EEvT2_T3_T4_T5_T6_T7_T8_mmmPKNSH_IJT9_bEEE,@function
_ZN7rocprim6detail25device_scan_by_key_kernelILNS0_25lookback_scan_determinismE0ELb1ENS0_26wrapped_scan_by_key_configINS_14default_configEi6__halfEEPiN6hipcub22TransformInputIteratorIS5_NS8_6CastOpIS5_EEPS5_lEESC_S5_NS8_8EqualityENS8_3MaxENS0_19lookback_scan_stateINS_5tupleIJS5_bEEELb0ELb1EEES5_EEvT2_T3_T4_T5_T6_T7_T8_mmmPKNSH_IJT9_bEEE: ; @_ZN7rocprim6detail25device_scan_by_key_kernelILNS0_25lookback_scan_determinismE0ELb1ENS0_26wrapped_scan_by_key_configINS_14default_configEi6__halfEEPiN6hipcub22TransformInputIteratorIS5_NS8_6CastOpIS5_EEPS5_lEESC_S5_NS8_8EqualityENS8_3MaxENS0_19lookback_scan_stateINS_5tupleIJS5_bEEELb0ELb1EEES5_EEvT2_T3_T4_T5_T6_T7_T8_mmmPKNSH_IJT9_bEEE
; %bb.0:
	s_load_dwordx4 s[4:7], s[0:1], 0x0
	s_load_dword s74, s[0:1], 0x20
	s_load_dwordx8 s[56:63], s[0:1], 0x28
	s_load_dwordx2 s[66:67], s[0:1], 0x48
	s_mul_i32 s8, s2, 0x1800
	s_mov_b32 s9, 0
	s_lshl_b64 s[10:11], s[8:9], 2
	s_waitcnt lgkmcnt(0)
	s_add_u32 s70, s4, s10
	s_addc_u32 s71, s5, s11
	s_lshl_b64 s[64:65], s[8:9], 1
	s_add_u32 s68, s6, s64
	s_addc_u32 s69, s7, s65
	s_add_u32 s6, s2, s60
	s_addc_u32 s7, 0, s61
	s_add_u32 s8, s62, -1
	s_addc_u32 s9, s63, -1
	v_mov_b64_e32 v[2:3], s[8:9]
	v_cmp_ge_u64_e64 s[54:55], s[6:7], v[2:3]
	s_mov_b64 s[4:5], -1
	s_and_b64 vcc, exec, s[54:55]
	s_mul_i32 s33, s8, 0xffffe800
	s_cbranch_vccz .LBB99_126
; %bb.1:
	s_load_dword s3, s[70:71], 0x0
	s_add_i32 s59, s33, s58
	v_mov_b32_e32 v27, 0
	v_lshlrev_b32_e32 v26, 2, v0
	v_lshl_add_u64 v[2:3], s[70:71], 0, v[26:27]
	v_cmp_gt_u32_e64 s[4:5], s59, v0
	s_waitcnt lgkmcnt(0)
	v_mov_b32_e32 v1, s3
	s_and_saveexec_b64 s[6:7], s[4:5]
	s_cbranch_execz .LBB99_3
; %bb.2:
	global_load_dword v1, v[2:3], off
.LBB99_3:
	s_or_b64 exec, exec, s[6:7]
	v_or_b32_e32 v4, 0x100, v0
	v_cmp_gt_u32_e64 s[6:7], s59, v4
	v_mov_b32_e32 v4, s3
	s_and_saveexec_b64 s[8:9], s[6:7]
	s_cbranch_execz .LBB99_5
; %bb.4:
	global_load_dword v4, v[2:3], off offset:1024
.LBB99_5:
	s_or_b64 exec, exec, s[8:9]
	v_or_b32_e32 v5, 0x200, v0
	v_cmp_gt_u32_e64 s[8:9], s59, v5
	v_mov_b32_e32 v5, s3
	s_and_saveexec_b64 s[10:11], s[8:9]
	s_cbranch_execz .LBB99_7
; %bb.6:
	global_load_dword v5, v[2:3], off offset:2048
.LBB99_7:
	;; [unrolled: 9-line block ×3, first 2 shown]
	s_or_b64 exec, exec, s[12:13]
	v_or_b32_e32 v7, 0x400, v0
	v_cmp_gt_u32_e64 s[12:13], s59, v7
	v_mov_b32_e32 v7, s3
	s_and_saveexec_b64 s[14:15], s[12:13]
	s_cbranch_execz .LBB99_11
; %bb.10:
	v_add_co_u32_e32 v8, vcc, 0x1000, v2
	s_nop 1
	v_addc_co_u32_e32 v9, vcc, 0, v3, vcc
	global_load_dword v7, v[8:9], off
.LBB99_11:
	s_or_b64 exec, exec, s[14:15]
	v_or_b32_e32 v8, 0x500, v0
	v_cmp_gt_u32_e64 s[14:15], s59, v8
	v_mov_b32_e32 v8, s3
	s_and_saveexec_b64 s[16:17], s[14:15]
	s_cbranch_execz .LBB99_13
; %bb.12:
	v_add_co_u32_e32 v8, vcc, 0x1000, v2
	s_nop 1
	v_addc_co_u32_e32 v9, vcc, 0, v3, vcc
	global_load_dword v8, v[8:9], off offset:1024
.LBB99_13:
	s_or_b64 exec, exec, s[16:17]
	v_or_b32_e32 v9, 0x600, v0
	v_cmp_gt_u32_e64 s[16:17], s59, v9
	v_mov_b32_e32 v9, s3
	s_and_saveexec_b64 s[18:19], s[16:17]
	s_cbranch_execz .LBB99_15
; %bb.14:
	v_add_co_u32_e32 v10, vcc, 0x1000, v2
	s_nop 1
	v_addc_co_u32_e32 v11, vcc, 0, v3, vcc
	global_load_dword v9, v[10:11], off offset:2048
.LBB99_15:
	s_or_b64 exec, exec, s[18:19]
	v_or_b32_e32 v10, 0x700, v0
	v_cmp_gt_u32_e64 s[18:19], s59, v10
	v_mov_b32_e32 v10, s3
	s_and_saveexec_b64 s[20:21], s[18:19]
	s_cbranch_execz .LBB99_17
; %bb.16:
	v_add_co_u32_e32 v10, vcc, 0x1000, v2
	s_nop 1
	v_addc_co_u32_e32 v11, vcc, 0, v3, vcc
	global_load_dword v10, v[10:11], off offset:3072
.LBB99_17:
	s_or_b64 exec, exec, s[20:21]
	v_or_b32_e32 v11, 0x800, v0
	v_cmp_gt_u32_e64 s[20:21], s59, v11
	v_mov_b32_e32 v11, s3
	s_and_saveexec_b64 s[22:23], s[20:21]
	s_cbranch_execz .LBB99_19
; %bb.18:
	v_add_co_u32_e32 v12, vcc, 0x2000, v2
	s_nop 1
	v_addc_co_u32_e32 v13, vcc, 0, v3, vcc
	global_load_dword v11, v[12:13], off
.LBB99_19:
	s_or_b64 exec, exec, s[22:23]
	v_or_b32_e32 v12, 0x900, v0
	v_cmp_gt_u32_e64 s[22:23], s59, v12
	v_mov_b32_e32 v12, s3
	s_and_saveexec_b64 s[24:25], s[22:23]
	s_cbranch_execz .LBB99_21
; %bb.20:
	v_add_co_u32_e32 v12, vcc, 0x2000, v2
	s_nop 1
	v_addc_co_u32_e32 v13, vcc, 0, v3, vcc
	global_load_dword v12, v[12:13], off offset:1024
.LBB99_21:
	s_or_b64 exec, exec, s[24:25]
	v_or_b32_e32 v13, 0xa00, v0
	v_cmp_gt_u32_e64 s[24:25], s59, v13
	v_mov_b32_e32 v13, s3
	s_and_saveexec_b64 s[26:27], s[24:25]
	s_cbranch_execz .LBB99_23
; %bb.22:
	v_add_co_u32_e32 v14, vcc, 0x2000, v2
	s_nop 1
	v_addc_co_u32_e32 v15, vcc, 0, v3, vcc
	global_load_dword v13, v[14:15], off offset:2048
.LBB99_23:
	s_or_b64 exec, exec, s[26:27]
	v_or_b32_e32 v14, 0xb00, v0
	v_cmp_gt_u32_e64 s[26:27], s59, v14
	v_mov_b32_e32 v14, s3
	s_and_saveexec_b64 s[28:29], s[26:27]
	s_cbranch_execz .LBB99_25
; %bb.24:
	v_add_co_u32_e32 v14, vcc, 0x2000, v2
	s_nop 1
	v_addc_co_u32_e32 v15, vcc, 0, v3, vcc
	global_load_dword v14, v[14:15], off offset:3072
.LBB99_25:
	;; [unrolled: 48-line block ×5, first 2 shown]
	s_or_b64 exec, exec, s[60:61]
	s_movk_i32 s3, 0x5c
	s_waitcnt vmcnt(0)
	ds_write2st64_b32 v26, v1, v4 offset1:4
	ds_write2st64_b32 v26, v5, v6 offset0:8 offset1:12
	ds_write2st64_b32 v26, v7, v8 offset0:16 offset1:20
	;; [unrolled: 1-line block ×11, first 2 shown]
	v_mad_u32_u24 v1, v0, s3, v26
	s_waitcnt lgkmcnt(0)
	s_barrier
	ds_read_b128 v[22:25], v1
	ds_read_b128 v[18:21], v1 offset:16
	ds_read_b128 v[14:17], v1 offset:32
	;; [unrolled: 1-line block ×5, first 2 shown]
	s_load_dword s3, s[70:71], 0x0
	s_movk_i32 s60, 0xffa4
	v_mad_i32_i24 v1, v0, s60, v1
	s_movk_i32 s60, 0xff
	v_cmp_ne_u32_e32 vcc, s60, v0
	s_waitcnt lgkmcnt(0)
	v_mov_b32_e32 v76, s3
	ds_write_b32 v1, v22 offset:25600
	s_waitcnt lgkmcnt(0)
	s_barrier
	s_and_saveexec_b64 s[60:61], vcc
	s_cbranch_execz .LBB99_51
; %bb.50:
	ds_read_b32 v76, v26 offset:25604
.LBB99_51:
	s_or_b64 exec, exec, s[60:61]
	v_lshlrev_b32_e32 v26, 1, v0
	v_mov_b32_e32 v27, 0
	v_lshl_add_u64 v[28:29], s[68:69], 0, v[26:27]
	s_waitcnt lgkmcnt(0)
	s_barrier
	s_waitcnt lgkmcnt(0)
                                        ; implicit-def: $vgpr27
	s_and_saveexec_b64 s[60:61], s[4:5]
	s_cbranch_execz .LBB99_207
; %bb.52:
	global_load_ushort v27, v[28:29], off
	s_or_b64 exec, exec, s[60:61]
                                        ; implicit-def: $vgpr30
	s_and_saveexec_b64 s[4:5], s[6:7]
	s_cbranch_execnz .LBB99_208
.LBB99_53:
	s_or_b64 exec, exec, s[4:5]
                                        ; implicit-def: $vgpr31
	s_and_saveexec_b64 s[4:5], s[8:9]
	s_cbranch_execz .LBB99_209
.LBB99_54:
	global_load_ushort v31, v[28:29], off offset:1024
	s_or_b64 exec, exec, s[4:5]
                                        ; implicit-def: $vgpr32
	s_and_saveexec_b64 s[4:5], s[10:11]
	s_cbranch_execnz .LBB99_210
.LBB99_55:
	s_or_b64 exec, exec, s[4:5]
                                        ; implicit-def: $vgpr33
	s_and_saveexec_b64 s[4:5], s[12:13]
	s_cbranch_execz .LBB99_211
.LBB99_56:
	global_load_ushort v33, v[28:29], off offset:2048
	s_or_b64 exec, exec, s[4:5]
                                        ; implicit-def: $vgpr34
	s_and_saveexec_b64 s[4:5], s[14:15]
	s_cbranch_execnz .LBB99_212
.LBB99_57:
	s_or_b64 exec, exec, s[4:5]
                                        ; implicit-def: $vgpr35
	s_and_saveexec_b64 s[4:5], s[16:17]
	s_cbranch_execz .LBB99_213
.LBB99_58:
	global_load_ushort v35, v[28:29], off offset:3072
	s_or_b64 exec, exec, s[4:5]
                                        ; implicit-def: $vgpr36
	s_and_saveexec_b64 s[4:5], s[18:19]
	s_cbranch_execnz .LBB99_214
.LBB99_59:
	s_or_b64 exec, exec, s[4:5]
                                        ; implicit-def: $vgpr37
	s_and_saveexec_b64 s[4:5], s[20:21]
	s_cbranch_execz .LBB99_215
.LBB99_60:
	v_add_co_u32_e32 v38, vcc, 0x1000, v28
	s_nop 1
	v_addc_co_u32_e32 v39, vcc, 0, v29, vcc
	global_load_ushort v37, v[38:39], off
	s_or_b64 exec, exec, s[4:5]
                                        ; implicit-def: $vgpr38
	s_and_saveexec_b64 s[4:5], s[22:23]
	s_cbranch_execnz .LBB99_216
.LBB99_61:
	s_or_b64 exec, exec, s[4:5]
                                        ; implicit-def: $vgpr39
	s_and_saveexec_b64 s[4:5], s[24:25]
	s_cbranch_execz .LBB99_217
.LBB99_62:
	v_add_co_u32_e32 v40, vcc, 0x1000, v28
	s_nop 1
	v_addc_co_u32_e32 v41, vcc, 0, v29, vcc
	global_load_ushort v39, v[40:41], off offset:1024
	s_or_b64 exec, exec, s[4:5]
                                        ; implicit-def: $vgpr40
	s_and_saveexec_b64 s[4:5], s[26:27]
	s_cbranch_execnz .LBB99_218
.LBB99_63:
	s_or_b64 exec, exec, s[4:5]
                                        ; implicit-def: $vgpr41
	s_and_saveexec_b64 s[4:5], s[28:29]
	s_cbranch_execz .LBB99_219
.LBB99_64:
	v_add_co_u32_e32 v42, vcc, 0x1000, v28
	s_nop 1
	v_addc_co_u32_e32 v43, vcc, 0, v29, vcc
	global_load_ushort v41, v[42:43], off offset:2048
	s_or_b64 exec, exec, s[4:5]
                                        ; implicit-def: $vgpr42
	s_and_saveexec_b64 s[4:5], s[30:31]
	s_cbranch_execnz .LBB99_220
.LBB99_65:
	s_or_b64 exec, exec, s[4:5]
                                        ; implicit-def: $vgpr43
	s_and_saveexec_b64 s[4:5], s[34:35]
	s_cbranch_execz .LBB99_221
.LBB99_66:
	v_add_co_u32_e32 v44, vcc, 0x1000, v28
	s_nop 1
	v_addc_co_u32_e32 v45, vcc, 0, v29, vcc
	global_load_ushort v43, v[44:45], off offset:3072
	s_or_b64 exec, exec, s[4:5]
                                        ; implicit-def: $vgpr44
	s_and_saveexec_b64 s[4:5], s[36:37]
	s_cbranch_execnz .LBB99_222
.LBB99_67:
	s_or_b64 exec, exec, s[4:5]
                                        ; implicit-def: $vgpr45
	s_and_saveexec_b64 s[4:5], s[38:39]
	s_cbranch_execz .LBB99_223
.LBB99_68:
	v_add_co_u32_e32 v46, vcc, 0x2000, v28
	s_nop 1
	v_addc_co_u32_e32 v47, vcc, 0, v29, vcc
	global_load_ushort v45, v[46:47], off
	s_or_b64 exec, exec, s[4:5]
                                        ; implicit-def: $vgpr46
	s_and_saveexec_b64 s[4:5], s[40:41]
	s_cbranch_execnz .LBB99_224
.LBB99_69:
	s_or_b64 exec, exec, s[4:5]
                                        ; implicit-def: $vgpr47
	s_and_saveexec_b64 s[4:5], s[42:43]
	s_cbranch_execz .LBB99_225
.LBB99_70:
	v_add_co_u32_e32 v48, vcc, 0x2000, v28
	s_nop 1
	v_addc_co_u32_e32 v49, vcc, 0, v29, vcc
	global_load_ushort v47, v[48:49], off offset:1024
	s_or_b64 exec, exec, s[4:5]
                                        ; implicit-def: $vgpr48
	s_and_saveexec_b64 s[4:5], s[44:45]
	s_cbranch_execnz .LBB99_226
.LBB99_71:
	s_or_b64 exec, exec, s[4:5]
                                        ; implicit-def: $vgpr49
	s_and_saveexec_b64 s[4:5], s[46:47]
	s_cbranch_execz .LBB99_227
.LBB99_72:
	v_add_co_u32_e32 v50, vcc, 0x2000, v28
	s_nop 1
	v_addc_co_u32_e32 v51, vcc, 0, v29, vcc
	global_load_ushort v49, v[50:51], off offset:2048
	s_or_b64 exec, exec, s[4:5]
                                        ; implicit-def: $vgpr50
	s_and_saveexec_b64 s[4:5], s[48:49]
	s_cbranch_execnz .LBB99_228
.LBB99_73:
	s_or_b64 exec, exec, s[4:5]
                                        ; implicit-def: $vgpr51
	s_and_saveexec_b64 s[4:5], s[50:51]
	s_cbranch_execz .LBB99_75
.LBB99_74:
	v_add_co_u32_e32 v52, vcc, 0x2000, v28
	s_nop 1
	v_addc_co_u32_e32 v53, vcc, 0, v29, vcc
	global_load_ushort v51, v[52:53], off offset:3072
.LBB99_75:
	s_or_b64 exec, exec, s[4:5]
	v_mul_u32_u24_e32 v77, 24, v0
                                        ; implicit-def: $vgpr52
	s_and_saveexec_b64 s[4:5], s[52:53]
	s_cbranch_execz .LBB99_77
; %bb.76:
	v_add_co_u32_e32 v28, vcc, 0x2000, v28
	s_nop 1
	v_addc_co_u32_e32 v29, vcc, 0, v29, vcc
	global_load_ushort v52, v[28:29], off offset:3584
.LBB99_77:
	s_or_b64 exec, exec, s[4:5]
	v_sub_u32_e32 v26, v1, v26
	s_waitcnt vmcnt(0)
	ds_write_b16 v26, v27
	ds_write_b16 v26, v30 offset:512
	ds_write_b16 v26, v31 offset:1024
	;; [unrolled: 1-line block ×23, first 2 shown]
	v_cmp_gt_u32_e32 vcc, s59, v77
	s_mov_b64 s[4:5], 0
	s_mov_b32 s3, 0
	v_mov_b32_e32 v37, 0
	v_mov_b32_e32 v31, 0
	v_mov_b32_e32 v1, 0
	v_mov_b32_e32 v36, 0
	v_mov_b32_e32 v74, 0
	v_mov_b32_e32 v30, 0
	v_mov_b32_e32 v35, 0
	v_mov_b32_e32 v73, 0
	v_mov_b32_e32 v38, 0
	v_mov_b32_e32 v34, 0
	v_mov_b32_e32 v72, 0
	v_mov_b32_e32 v39, 0
	v_mov_b32_e32 v71, 0
	v_mov_b32_e32 v70, 0
	v_mov_b32_e32 v41, 0
	v_mov_b32_e32 v69, 0
	v_mov_b32_e32 v68, 0
	v_mov_b32_e32 v32, 0
	v_mov_b32_e32 v67, 0
	v_mov_b32_e32 v66, 0
	v_mov_b32_e32 v50, 0
	v_mov_b32_e32 v65, 0
	v_mov_b32_e32 v64, 0
	v_mov_b32_e32 v33, 0
	s_mov_b64 s[10:11], 0
	v_mov_b32_e32 v47, 0
	v_mov_b32_e32 v49, 0
	;; [unrolled: 1-line block ×22, first 2 shown]
	s_waitcnt lgkmcnt(0)
	s_barrier
	s_waitcnt lgkmcnt(0)
                                        ; implicit-def: $sgpr8_sgpr9
                                        ; implicit-def: $vgpr75
	s_and_saveexec_b64 s[6:7], vcc
	s_cbranch_execz .LBB99_125
; %bb.78:
	v_mad_u32_u24 v1, v0, 46, v26
	ds_read_u16 v1, v1
	v_or_b32_e32 v27, 1, v77
	v_cmp_ne_u32_e32 vcc, v22, v23
	v_mov_b32_e32 v22, s74
	v_mov_b32_e32 v31, 0
	v_cndmask_b32_e64 v37, 0, 1, vcc
	s_waitcnt lgkmcnt(0)
	v_cndmask_b32_e32 v1, v1, v22, vcc
	v_cmp_gt_u32_e32 vcc, s59, v27
	v_mov_b32_e32 v47, 0
	v_mov_b32_e32 v49, 0
	;; [unrolled: 1-line block ×43, first 2 shown]
                                        ; implicit-def: $sgpr14_sgpr15
                                        ; implicit-def: $vgpr75
	s_and_saveexec_b64 s[8:9], vcc
	s_cbranch_execz .LBB99_124
; %bb.79:
	v_mul_u32_u24_e32 v22, 46, v0
	v_add_u32_e32 v22, v26, v22
	ds_read_b128 v[26:29], v22 offset:2
	v_or_b32_e32 v31, 2, v77
	v_cmp_ne_u32_e32 vcc, v23, v24
	v_mov_b32_e32 v23, s74
	s_mov_b64 s[12:13], 0
	v_cndmask_b32_e64 v40, 0, 1, vcc
	s_waitcnt lgkmcnt(0)
	v_cndmask_b32_e32 v30, v26, v23, vcc
	v_cmp_gt_u32_e32 vcc, s59, v31
	v_mov_b32_e32 v31, 0
	v_mov_b32_e32 v47, 0
	;; [unrolled: 1-line block ×42, first 2 shown]
                                        ; implicit-def: $sgpr16_sgpr17
                                        ; implicit-def: $vgpr75
	s_and_saveexec_b64 s[10:11], vcc
	s_cbranch_execz .LBB99_123
; %bb.80:
	v_lshrrev_b32_e32 v23, 16, v26
	v_or_b32_e32 v26, 3, v77
	v_cmp_ne_u32_e32 vcc, v24, v25
	v_mov_b32_e32 v24, s74
	s_mov_b64 s[14:15], 0
	v_cndmask_b32_e64 v42, 0, 1, vcc
	v_cndmask_b32_e32 v38, v23, v24, vcc
	v_cmp_gt_u32_e32 vcc, s59, v26
	v_mov_b32_e32 v31, 0
	v_mov_b32_e32 v47, 0
	;; [unrolled: 1-line block ×40, first 2 shown]
                                        ; implicit-def: $sgpr18_sgpr19
                                        ; implicit-def: $vgpr75
	s_and_saveexec_b64 s[12:13], vcc
	s_cbranch_execz .LBB99_122
; %bb.81:
	v_or_b32_e32 v23, 4, v77
	v_cmp_ne_u32_e32 vcc, v25, v18
	v_mov_b32_e32 v24, s74
	s_mov_b64 s[16:17], 0
	v_cndmask_b32_e64 v43, 0, 1, vcc
	v_cndmask_b32_e32 v39, v27, v24, vcc
	v_cmp_gt_u32_e32 vcc, s59, v23
	v_mov_b32_e32 v31, 0
	v_mov_b32_e32 v47, 0
	;; [unrolled: 1-line block ×38, first 2 shown]
                                        ; implicit-def: $sgpr20_sgpr21
                                        ; implicit-def: $vgpr75
	s_and_saveexec_b64 s[14:15], vcc
	s_cbranch_execz .LBB99_121
; %bb.82:
	v_lshrrev_b32_e32 v23, 16, v27
	v_or_b32_e32 v24, 5, v77
	v_cmp_ne_u32_e32 vcc, v18, v19
	v_mov_b32_e32 v18, s74
	s_mov_b64 s[18:19], 0
	v_cndmask_b32_e64 v44, 0, 1, vcc
	v_cndmask_b32_e32 v41, v23, v18, vcc
	v_cmp_gt_u32_e32 vcc, s59, v24
	v_mov_b32_e32 v31, 0
	v_mov_b32_e32 v47, 0
	;; [unrolled: 1-line block ×36, first 2 shown]
                                        ; implicit-def: $sgpr22_sgpr23
                                        ; implicit-def: $vgpr75
	s_and_saveexec_b64 s[16:17], vcc
	s_cbranch_execz .LBB99_120
; %bb.83:
	v_or_b32_e32 v18, 6, v77
	v_cmp_ne_u32_e32 vcc, v19, v20
	v_mov_b32_e32 v19, s74
	s_mov_b64 s[20:21], 0
	v_cndmask_b32_e64 v45, 0, 1, vcc
	v_cndmask_b32_e32 v32, v28, v19, vcc
	v_cmp_gt_u32_e32 vcc, s59, v18
	v_mov_b32_e32 v31, 0
	v_mov_b32_e32 v47, 0
	;; [unrolled: 1-line block ×34, first 2 shown]
                                        ; implicit-def: $sgpr24_sgpr25
                                        ; implicit-def: $vgpr75
	s_and_saveexec_b64 s[18:19], vcc
	s_cbranch_execz .LBB99_119
; %bb.84:
	v_lshrrev_b32_e32 v18, 16, v28
	v_or_b32_e32 v19, 7, v77
	v_cmp_ne_u32_e32 vcc, v20, v21
	v_mov_b32_e32 v20, s74
	s_mov_b64 s[22:23], 0
	v_cndmask_b32_e64 v46, 0, 1, vcc
	v_cndmask_b32_e32 v50, v18, v20, vcc
	v_cmp_gt_u32_e32 vcc, s59, v19
	v_mov_b32_e32 v31, 0
	v_mov_b32_e32 v47, 0
	;; [unrolled: 1-line block ×32, first 2 shown]
                                        ; implicit-def: $sgpr26_sgpr27
                                        ; implicit-def: $vgpr75
	s_and_saveexec_b64 s[20:21], vcc
	s_cbranch_execz .LBB99_118
; %bb.85:
	v_add_u32_e32 v18, 8, v77
	v_cmp_ne_u32_e32 vcc, v21, v14
	v_mov_b32_e32 v19, s74
	s_mov_b64 s[24:25], 0
	v_cndmask_b32_e64 v48, 0, 1, vcc
	v_cndmask_b32_e32 v33, v29, v19, vcc
	v_cmp_gt_u32_e32 vcc, s59, v18
	v_mov_b32_e32 v31, 0
	v_mov_b32_e32 v47, 0
	;; [unrolled: 1-line block ×30, first 2 shown]
                                        ; implicit-def: $sgpr28_sgpr29
                                        ; implicit-def: $vgpr75
	s_and_saveexec_b64 s[22:23], vcc
	s_cbranch_execz .LBB99_117
; %bb.86:
	v_lshrrev_b32_e32 v18, 16, v29
	v_add_u32_e32 v19, 9, v77
	v_cmp_ne_u32_e32 vcc, v14, v15
	v_mov_b32_e32 v14, s74
	s_mov_b64 s[26:27], 0
	v_cndmask_b32_e64 v53, 0, 1, vcc
	v_cndmask_b32_e32 v64, v18, v14, vcc
	v_cmp_gt_u32_e32 vcc, s59, v19
	v_mov_b32_e32 v31, 0
	v_mov_b32_e32 v47, 0
	;; [unrolled: 1-line block ×28, first 2 shown]
                                        ; implicit-def: $sgpr30_sgpr31
                                        ; implicit-def: $vgpr75
	s_and_saveexec_b64 s[24:25], vcc
	s_cbranch_execz .LBB99_116
; %bb.87:
	ds_read_b128 v[18:21], v22 offset:18
	v_add_u32_e32 v14, 10, v77
	v_cmp_ne_u32_e32 vcc, v15, v16
	v_mov_b32_e32 v15, s74
	s_mov_b64 s[28:29], 0
	v_cndmask_b32_e64 v55, 0, 1, vcc
	s_waitcnt lgkmcnt(0)
	v_cndmask_b32_e32 v65, v18, v15, vcc
	v_cmp_gt_u32_e32 vcc, s59, v14
	v_mov_b32_e32 v31, 0
	v_mov_b32_e32 v47, 0
	;; [unrolled: 1-line block ×26, first 2 shown]
                                        ; implicit-def: $sgpr34_sgpr35
                                        ; implicit-def: $vgpr75
	s_and_saveexec_b64 s[26:27], vcc
	s_cbranch_execz .LBB99_115
; %bb.88:
	v_lshrrev_b32_e32 v14, 16, v18
	v_add_u32_e32 v15, 11, v77
	v_cmp_ne_u32_e32 vcc, v16, v17
	v_mov_b32_e32 v16, s74
	s_mov_b64 s[30:31], 0
	v_cndmask_b32_e64 v57, 0, 1, vcc
	v_cndmask_b32_e32 v66, v14, v16, vcc
	v_cmp_gt_u32_e32 vcc, s59, v15
	v_mov_b32_e32 v31, 0
	v_mov_b32_e32 v47, 0
	v_mov_b32_e32 v49, 0
	v_mov_b32_e32 v51, 0
	v_mov_b32_e32 v52, 0
	v_mov_b32_e32 v54, 0
	v_mov_b32_e32 v56, 0
	v_mov_b32_e32 v58, 0
	v_mov_b32_e32 v60, 0
	v_mov_b32_e32 v63, 0
	v_mov_b32_e32 v61, 0
	v_mov_b32_e32 v62, 0
	v_mov_b32_e32 v59, 0
	v_mov_b32_e32 v36, 0
	v_mov_b32_e32 v74, 0
	v_mov_b32_e32 v35, 0
	v_mov_b32_e32 v73, 0
	v_mov_b32_e32 v34, 0
	v_mov_b32_e32 v72, 0
	v_mov_b32_e32 v71, 0
	v_mov_b32_e32 v70, 0
	v_mov_b32_e32 v69, 0
	v_mov_b32_e32 v68, 0
	v_mov_b32_e32 v67, 0
                                        ; implicit-def: $sgpr36_sgpr37
                                        ; implicit-def: $vgpr75
	s_and_saveexec_b64 s[28:29], vcc
	s_cbranch_execz .LBB99_114
; %bb.89:
	v_add_u32_e32 v14, 12, v77
	v_cmp_ne_u32_e32 vcc, v17, v10
	v_mov_b32_e32 v15, s74
	s_mov_b64 s[34:35], 0
	v_cndmask_b32_e64 v59, 0, 1, vcc
	v_cndmask_b32_e32 v67, v19, v15, vcc
	v_cmp_gt_u32_e32 vcc, s59, v14
	v_mov_b32_e32 v31, 0
	v_mov_b32_e32 v47, 0
	;; [unrolled: 1-line block ×22, first 2 shown]
                                        ; implicit-def: $sgpr38_sgpr39
                                        ; implicit-def: $vgpr75
	s_and_saveexec_b64 s[30:31], vcc
	s_cbranch_execz .LBB99_113
; %bb.90:
	v_lshrrev_b32_e32 v14, 16, v19
	v_add_u32_e32 v15, 13, v77
	v_cmp_ne_u32_e32 vcc, v10, v11
	v_mov_b32_e32 v10, s74
	s_mov_b64 s[36:37], 0
	v_cndmask_b32_e64 v62, 0, 1, vcc
	v_cndmask_b32_e32 v68, v14, v10, vcc
	v_cmp_gt_u32_e32 vcc, s59, v15
	v_mov_b32_e32 v31, 0
	v_mov_b32_e32 v47, 0
	;; [unrolled: 1-line block ×20, first 2 shown]
                                        ; implicit-def: $sgpr40_sgpr41
                                        ; implicit-def: $vgpr75
	s_and_saveexec_b64 s[34:35], vcc
	s_cbranch_execz .LBB99_112
; %bb.91:
	v_add_u32_e32 v10, 14, v77
	v_cmp_ne_u32_e32 vcc, v11, v12
	v_mov_b32_e32 v11, s74
	s_mov_b64 s[38:39], 0
	v_cndmask_b32_e64 v61, 0, 1, vcc
	v_cndmask_b32_e32 v69, v20, v11, vcc
	v_cmp_gt_u32_e32 vcc, s59, v10
	v_mov_b32_e32 v31, 0
	v_mov_b32_e32 v47, 0
	;; [unrolled: 1-line block ×18, first 2 shown]
                                        ; implicit-def: $sgpr42_sgpr43
                                        ; implicit-def: $vgpr75
	s_and_saveexec_b64 s[36:37], vcc
	s_cbranch_execz .LBB99_111
; %bb.92:
	v_lshrrev_b32_e32 v10, 16, v20
	v_add_u32_e32 v11, 15, v77
	v_cmp_ne_u32_e32 vcc, v12, v13
	v_mov_b32_e32 v12, s74
	s_mov_b64 s[40:41], 0
	v_cndmask_b32_e64 v63, 0, 1, vcc
	v_cndmask_b32_e32 v70, v10, v12, vcc
	v_cmp_gt_u32_e32 vcc, s59, v11
	v_mov_b32_e32 v31, 0
	v_mov_b32_e32 v47, 0
	;; [unrolled: 1-line block ×16, first 2 shown]
                                        ; implicit-def: $sgpr44_sgpr45
                                        ; implicit-def: $vgpr75
	s_and_saveexec_b64 s[38:39], vcc
	s_cbranch_execz .LBB99_110
; %bb.93:
	v_add_u32_e32 v10, 16, v77
	v_cmp_ne_u32_e32 vcc, v13, v6
	v_mov_b32_e32 v11, s74
	s_mov_b64 s[42:43], 0
	v_cndmask_b32_e64 v60, 0, 1, vcc
	v_cndmask_b32_e32 v71, v21, v11, vcc
	v_cmp_gt_u32_e32 vcc, s59, v10
	v_mov_b32_e32 v31, 0
	v_mov_b32_e32 v47, 0
	;; [unrolled: 1-line block ×14, first 2 shown]
                                        ; implicit-def: $sgpr46_sgpr47
                                        ; implicit-def: $vgpr75
	s_and_saveexec_b64 s[40:41], vcc
	s_cbranch_execz .LBB99_109
; %bb.94:
	v_lshrrev_b32_e32 v10, 16, v21
	v_add_u32_e32 v11, 17, v77
	v_cmp_ne_u32_e32 vcc, v6, v7
	v_mov_b32_e32 v6, s74
	s_mov_b64 s[44:45], 0
	v_cndmask_b32_e64 v58, 0, 1, vcc
	v_cndmask_b32_e32 v72, v10, v6, vcc
	v_cmp_gt_u32_e32 vcc, s59, v11
	v_mov_b32_e32 v31, 0
	v_mov_b32_e32 v47, 0
	;; [unrolled: 1-line block ×12, first 2 shown]
                                        ; implicit-def: $sgpr48_sgpr49
                                        ; implicit-def: $vgpr75
	s_and_saveexec_b64 s[42:43], vcc
	s_cbranch_execz .LBB99_108
; %bb.95:
	ds_read_b96 v[10:12], v22 offset:34
	v_add_u32_e32 v6, 18, v77
	v_cmp_ne_u32_e32 vcc, v7, v8
	v_mov_b32_e32 v7, s74
	s_mov_b64 s[46:47], 0
	v_cndmask_b32_e64 v56, 0, 1, vcc
	s_waitcnt lgkmcnt(0)
	v_cndmask_b32_e32 v34, v10, v7, vcc
	v_cmp_gt_u32_e32 vcc, s59, v6
	v_mov_b32_e32 v31, 0
	v_mov_b32_e32 v47, 0
	;; [unrolled: 1-line block ×10, first 2 shown]
                                        ; implicit-def: $sgpr50_sgpr51
                                        ; implicit-def: $vgpr75
	s_and_saveexec_b64 s[44:45], vcc
	s_cbranch_execz .LBB99_107
; %bb.96:
	v_lshrrev_b32_e32 v6, 16, v10
	v_add_u32_e32 v7, 19, v77
	v_cmp_ne_u32_e32 vcc, v8, v9
	v_mov_b32_e32 v8, s74
	s_mov_b64 s[48:49], 0
	v_cndmask_b32_e64 v54, 0, 1, vcc
	v_cndmask_b32_e32 v73, v6, v8, vcc
	v_cmp_gt_u32_e32 vcc, s59, v7
	v_mov_b32_e32 v31, 0
	v_mov_b32_e32 v47, 0
	;; [unrolled: 1-line block ×8, first 2 shown]
                                        ; implicit-def: $sgpr50_sgpr51
                                        ; implicit-def: $vgpr75
	s_and_saveexec_b64 s[46:47], vcc
	s_cbranch_execz .LBB99_106
; %bb.97:
	v_add_u32_e32 v6, 20, v77
	v_cmp_ne_u32_e32 vcc, v9, v2
	v_mov_b32_e32 v7, s74
	s_mov_b64 s[52:53], 0
	v_cndmask_b32_e64 v52, 0, 1, vcc
	v_cndmask_b32_e32 v35, v11, v7, vcc
	v_cmp_gt_u32_e32 vcc, s59, v6
	v_mov_b32_e32 v31, 0
	v_mov_b32_e32 v47, 0
	;; [unrolled: 1-line block ×6, first 2 shown]
                                        ; implicit-def: $sgpr50_sgpr51
                                        ; implicit-def: $vgpr75
	s_and_saveexec_b64 s[48:49], vcc
	s_cbranch_execz .LBB99_105
; %bb.98:
	v_lshrrev_b32_e32 v6, 16, v11
	v_add_u32_e32 v7, 21, v77
	v_cmp_ne_u32_e32 vcc, v2, v3
	v_mov_b32_e32 v2, s74
	v_mov_b32_e32 v31, 0
	v_cndmask_b32_e64 v51, 0, 1, vcc
	v_cndmask_b32_e32 v74, v6, v2, vcc
	v_cmp_gt_u32_e32 vcc, s59, v7
	v_mov_b32_e32 v47, 0
	v_mov_b32_e32 v49, 0
	;; [unrolled: 1-line block ×3, first 2 shown]
                                        ; implicit-def: $sgpr60_sgpr61
                                        ; implicit-def: $vgpr75
	s_and_saveexec_b64 s[50:51], vcc
	s_cbranch_execz .LBB99_104
; %bb.99:
	v_add_u32_e32 v2, 22, v77
	v_cmp_ne_u32_e32 vcc, v3, v4
	v_mov_b32_e32 v3, s74
	s_mov_b64 s[62:63], 0
	v_cndmask_b32_e64 v49, 0, 1, vcc
	v_cndmask_b32_e32 v36, v12, v3, vcc
	v_cmp_gt_u32_e32 vcc, s59, v2
	v_mov_b32_e32 v31, 0
	v_mov_b32_e32 v47, 0
                                        ; implicit-def: $sgpr72_sgpr73
                                        ; implicit-def: $vgpr75
	s_and_saveexec_b64 s[52:53], vcc
	s_cbranch_execz .LBB99_103
; %bb.100:
	v_lshrrev_b32_e32 v2, 16, v12
	v_add_u32_e32 v3, 23, v77
	v_cmp_ne_u32_e32 vcc, v4, v5
	v_mov_b32_e32 v4, s74
	s_mov_b64 s[60:61], 0
	v_cndmask_b32_e64 v47, 0, 1, vcc
	v_cndmask_b32_e32 v31, v2, v4, vcc
	v_cmp_gt_u32_e32 vcc, s59, v3
                                        ; implicit-def: $sgpr62_sgpr63
                                        ; implicit-def: $vgpr75
	s_and_saveexec_b64 s[72:73], vcc
	s_xor_b64 s[72:73], exec, s[72:73]
	s_cbranch_execz .LBB99_102
; %bb.101:
	ds_read_u16 v2, v22 offset:46
	v_mov_b32_e32 v3, s74
	v_cmp_ne_u32_e32 vcc, v5, v76
	s_mov_b64 s[60:61], exec
	s_and_b64 s[62:63], vcc, exec
	s_waitcnt lgkmcnt(0)
	v_cndmask_b32_e32 v75, v2, v3, vcc
.LBB99_102:
	s_or_b64 exec, exec, s[72:73]
	s_and_b64 s[72:73], s[62:63], exec
	s_and_b64 s[62:63], s[60:61], exec
.LBB99_103:
	s_or_b64 exec, exec, s[52:53]
	s_and_b64 s[60:61], s[72:73], exec
	s_and_b64 s[52:53], s[62:63], exec
.LBB99_104:
	s_or_b64 exec, exec, s[50:51]
	s_and_b64 s[50:51], s[60:61], exec
	s_and_b64 s[52:53], s[52:53], exec
.LBB99_105:
	s_or_b64 exec, exec, s[48:49]
	s_and_b64 s[50:51], s[50:51], exec
	s_and_b64 s[48:49], s[52:53], exec
.LBB99_106:
	s_or_b64 exec, exec, s[46:47]
	s_and_b64 s[50:51], s[50:51], exec
	s_and_b64 s[46:47], s[48:49], exec
.LBB99_107:
	s_or_b64 exec, exec, s[44:45]
	s_and_b64 s[48:49], s[50:51], exec
	s_and_b64 s[44:45], s[46:47], exec
.LBB99_108:
	s_or_b64 exec, exec, s[42:43]
	s_and_b64 s[46:47], s[48:49], exec
	s_and_b64 s[42:43], s[44:45], exec
.LBB99_109:
	s_or_b64 exec, exec, s[40:41]
	s_and_b64 s[44:45], s[46:47], exec
	s_and_b64 s[40:41], s[42:43], exec
.LBB99_110:
	s_or_b64 exec, exec, s[38:39]
	s_and_b64 s[42:43], s[44:45], exec
	s_and_b64 s[38:39], s[40:41], exec
.LBB99_111:
	s_or_b64 exec, exec, s[36:37]
	s_and_b64 s[40:41], s[42:43], exec
	s_and_b64 s[36:37], s[38:39], exec
.LBB99_112:
	s_or_b64 exec, exec, s[34:35]
	s_and_b64 s[38:39], s[40:41], exec
	s_and_b64 s[34:35], s[36:37], exec
.LBB99_113:
	s_or_b64 exec, exec, s[30:31]
	s_and_b64 s[36:37], s[38:39], exec
	s_and_b64 s[30:31], s[34:35], exec
.LBB99_114:
	s_or_b64 exec, exec, s[28:29]
	s_and_b64 s[34:35], s[36:37], exec
	s_and_b64 s[28:29], s[30:31], exec
.LBB99_115:
	s_or_b64 exec, exec, s[26:27]
	s_and_b64 s[30:31], s[34:35], exec
	s_and_b64 s[26:27], s[28:29], exec
.LBB99_116:
	s_or_b64 exec, exec, s[24:25]
	s_and_b64 s[28:29], s[30:31], exec
	s_and_b64 s[24:25], s[26:27], exec
.LBB99_117:
	s_or_b64 exec, exec, s[22:23]
	s_and_b64 s[26:27], s[28:29], exec
	s_and_b64 s[22:23], s[24:25], exec
.LBB99_118:
	s_or_b64 exec, exec, s[20:21]
	s_and_b64 s[24:25], s[26:27], exec
	s_and_b64 s[20:21], s[22:23], exec
.LBB99_119:
	s_or_b64 exec, exec, s[18:19]
	s_and_b64 s[22:23], s[24:25], exec
	s_and_b64 s[18:19], s[20:21], exec
.LBB99_120:
	s_or_b64 exec, exec, s[16:17]
	s_and_b64 s[20:21], s[22:23], exec
	s_and_b64 s[16:17], s[18:19], exec
.LBB99_121:
	s_or_b64 exec, exec, s[14:15]
	s_and_b64 s[18:19], s[20:21], exec
	s_and_b64 s[14:15], s[16:17], exec
.LBB99_122:
	s_or_b64 exec, exec, s[12:13]
	s_and_b64 s[16:17], s[18:19], exec
	s_and_b64 s[12:13], s[14:15], exec
.LBB99_123:
	s_or_b64 exec, exec, s[10:11]
	s_and_b64 s[14:15], s[16:17], exec
	s_and_b64 s[10:11], s[12:13], exec
.LBB99_124:
	s_or_b64 exec, exec, s[8:9]
	s_and_b64 s[8:9], s[14:15], exec
	s_and_b64 s[10:11], s[10:11], exec
.LBB99_125:
	s_or_b64 exec, exec, s[6:7]
	s_mov_b32 s6, 0
	s_and_b64 vcc, exec, s[4:5]
	s_cbranch_vccnz .LBB99_127
	s_branch .LBB99_132
.LBB99_126:
	s_mov_b64 s[10:11], 0
                                        ; implicit-def: $sgpr8_sgpr9
                                        ; implicit-def: $vgpr75
                                        ; implicit-def: $vgpr37
                                        ; implicit-def: $vgpr31
                                        ; implicit-def: $vgpr47
                                        ; implicit-def: $vgpr1
                                        ; implicit-def: $vgpr36
                                        ; implicit-def: $vgpr49
                                        ; implicit-def: $vgpr40
                                        ; implicit-def: $vgpr74
                                        ; implicit-def: $vgpr51
                                        ; implicit-def: $vgpr30
                                        ; implicit-def: $vgpr35
                                        ; implicit-def: $vgpr52
                                        ; implicit-def: $vgpr42
                                        ; implicit-def: $vgpr73
                                        ; implicit-def: $vgpr54
                                        ; implicit-def: $vgpr38
                                        ; implicit-def: $vgpr34
                                        ; implicit-def: $vgpr56
                                        ; implicit-def: $vgpr43
                                        ; implicit-def: $vgpr72
                                        ; implicit-def: $vgpr58
                                        ; implicit-def: $vgpr39
                                        ; implicit-def: $vgpr71
                                        ; implicit-def: $vgpr60
                                        ; implicit-def: $vgpr44
                                        ; implicit-def: $vgpr70
                                        ; implicit-def: $vgpr63
                                        ; implicit-def: $vgpr41
                                        ; implicit-def: $vgpr69
                                        ; implicit-def: $vgpr61
                                        ; implicit-def: $vgpr45
                                        ; implicit-def: $vgpr68
                                        ; implicit-def: $vgpr62
                                        ; implicit-def: $vgpr32
                                        ; implicit-def: $vgpr67
                                        ; implicit-def: $vgpr59
                                        ; implicit-def: $vgpr46
                                        ; implicit-def: $vgpr66
                                        ; implicit-def: $vgpr57
                                        ; implicit-def: $vgpr50
                                        ; implicit-def: $vgpr65
                                        ; implicit-def: $vgpr55
                                        ; implicit-def: $vgpr48
                                        ; implicit-def: $vgpr64
                                        ; implicit-def: $vgpr53
                                        ; implicit-def: $vgpr33
                                        ; implicit-def: $sgpr6
                                        ; implicit-def: $sgpr3
	s_and_b64 vcc, exec, s[4:5]
	s_cbranch_vccz .LBB99_132
.LBB99_127:
	v_mov_b32_e32 v27, 0
	v_lshlrev_b32_e32 v26, 2, v0
	v_lshl_add_u64 v[2:3], s[70:71], 0, v[26:27]
	v_add_co_u32_e32 v4, vcc, 0x1000, v2
	global_load_dword v8, v26, s[70:71]
	global_load_dword v9, v26, s[70:71] offset:1024
	global_load_dword v10, v26, s[70:71] offset:2048
	;; [unrolled: 1-line block ×3, first 2 shown]
	v_addc_co_u32_e32 v5, vcc, 0, v3, vcc
	v_add_co_u32_e32 v6, vcc, 0x2000, v2
	s_movk_i32 s4, 0x5c
	s_nop 0
	v_addc_co_u32_e32 v7, vcc, 0, v3, vcc
	global_load_dword v12, v[4:5], off
	global_load_dword v13, v[4:5], off offset:1024
	global_load_dword v14, v[4:5], off offset:2048
	;; [unrolled: 1-line block ×3, first 2 shown]
	global_load_dword v16, v[6:7], off
	global_load_dword v17, v[6:7], off offset:1024
	global_load_dword v18, v[6:7], off offset:2048
	;; [unrolled: 1-line block ×3, first 2 shown]
	v_add_co_u32_e32 v4, vcc, 0x3000, v2
	s_movk_i32 s5, 0xffa4
	s_nop 0
	v_addc_co_u32_e32 v5, vcc, 0, v3, vcc
	v_add_co_u32_e32 v6, vcc, 0x4000, v2
	s_movk_i32 s7, 0xff
	s_nop 0
	v_addc_co_u32_e32 v7, vcc, 0, v3, vcc
	v_add_co_u32_e32 v2, vcc, 0x5000, v2
	global_load_dword v20, v[4:5], off
	global_load_dword v21, v[4:5], off offset:1024
	global_load_dword v22, v[4:5], off offset:2048
	;; [unrolled: 1-line block ×3, first 2 shown]
	global_load_dword v24, v[6:7], off
	global_load_dword v25, v[6:7], off offset:1024
	global_load_dword v28, v[6:7], off offset:2048
	;; [unrolled: 1-line block ×3, first 2 shown]
	v_addc_co_u32_e32 v3, vcc, 0, v3, vcc
	global_load_dword v4, v[2:3], off
	global_load_dword v5, v[2:3], off offset:1024
	global_load_dword v6, v[2:3], off offset:2048
	global_load_dword v7, v[2:3], off offset:3072
	v_mad_u32_u24 v2, v0, s4, v26
	v_mad_i32_i24 v1, v0, s5, v2
	s_movk_i32 s6, 0x1000
	s_movk_i32 s3, 0x2000
	v_cmp_ne_u32_e32 vcc, s7, v0
	s_waitcnt vmcnt(22)
	ds_write2st64_b32 v26, v8, v9 offset1:4
	s_waitcnt vmcnt(20)
	ds_write2st64_b32 v26, v10, v11 offset0:8 offset1:12
	s_waitcnt vmcnt(18)
	ds_write2st64_b32 v26, v12, v13 offset0:16 offset1:20
	;; [unrolled: 2-line block ×11, first 2 shown]
	s_waitcnt lgkmcnt(0)
	s_barrier
	ds_read_b128 v[22:25], v2
	ds_read_b128 v[18:21], v2 offset:16
	ds_read_b128 v[14:17], v2 offset:32
	ds_read_b128 v[10:13], v2 offset:48
	ds_read_b128 v[6:9], v2 offset:64
	ds_read_b128 v[2:5], v2 offset:80
	s_load_dword s4, s[70:71], 0x6000
	s_waitcnt lgkmcnt(0)
	ds_write_b32 v1, v22 offset:25600
	s_waitcnt lgkmcnt(0)
	s_barrier
	v_mov_b32_e32 v75, s4
	s_and_saveexec_b64 s[4:5], vcc
	s_cbranch_execz .LBB99_129
; %bb.128:
	ds_read_b32 v75, v26 offset:25604
.LBB99_129:
	s_or_b64 exec, exec, s[4:5]
	v_lshlrev_b32_e32 v26, 1, v0
	v_lshl_add_u64 v[28:29], s[68:69], 0, v[26:27]
	v_add_co_u32_e32 v30, vcc, s6, v28
	s_waitcnt lgkmcnt(0)
	s_nop 0
	v_addc_co_u32_e32 v31, vcc, 0, v29, vcc
	v_add_co_u32_e32 v28, vcc, s3, v28
	s_barrier
	global_load_ushort v27, v26, s[68:69]
	v_addc_co_u32_e32 v29, vcc, 0, v29, vcc
	global_load_ushort v32, v26, s[68:69] offset:512
	global_load_ushort v33, v26, s[68:69] offset:1024
	;; [unrolled: 1-line block ×7, first 2 shown]
	global_load_ushort v40, v[28:29], off offset:-4096
	global_load_ushort v41, v[30:31], off offset:512
	global_load_ushort v42, v[30:31], off offset:1024
	;; [unrolled: 1-line block ×7, first 2 shown]
                                        ; kill: killed $sgpr68 killed $sgpr69
                                        ; kill: killed $vgpr30 killed $vgpr31
	s_nop 0
	global_load_ushort v30, v[28:29], off
	global_load_ushort v31, v[28:29], off offset:512
	global_load_ushort v48, v[28:29], off offset:1024
	;; [unrolled: 1-line block ×7, first 2 shown]
	v_sub_u32_e32 v37, v1, v26
	v_mad_u32_u24 v1, v0, 46, v37
	v_cmp_ne_u32_e32 vcc, v22, v23
	v_cmp_eq_u32_e64 s[4:5], v22, v23
	s_waitcnt vmcnt(23)
	ds_write_b16 v37, v27
	s_waitcnt vmcnt(22)
	ds_write_b16 v37, v32 offset:512
	s_waitcnt vmcnt(21)
	ds_write_b16 v37, v33 offset:1024
	;; [unrolled: 2-line block ×23, first 2 shown]
	s_waitcnt lgkmcnt(0)
	s_barrier
	ds_read_b128 v[30:33], v1 offset:2
	ds_read_b128 v[26:29], v1 offset:18
	ds_read_b96 v[34:36], v1 offset:34
	ds_read_u16 v76, v1 offset:46
	v_mov_b32_e32 v1, s74
	s_and_saveexec_b64 s[6:7], s[4:5]
	s_cbranch_execz .LBB99_131
; %bb.130:
	v_mul_u32_u24_e32 v1, 46, v0
	v_add_u32_e32 v1, v37, v1
	ds_read_u16 v1, v1
.LBB99_131:
	s_or_b64 exec, exec, s[6:7]
	s_waitcnt lgkmcnt(3)
	v_lshrrev_b32_e32 v41, 16, v31
	v_cmp_ne_u32_e64 s[8:9], v18, v19
	v_cmp_ne_u32_e64 s[40:41], v9, v2
	;; [unrolled: 1-line block ×3, first 2 shown]
	v_mov_b32_e32 v2, s74
	v_lshrrev_b32_e32 v22, 16, v30
	v_lshrrev_b32_e32 v50, 16, v32
	;; [unrolled: 1-line block ×3, first 2 shown]
	s_waitcnt lgkmcnt(2)
	v_lshrrev_b32_e32 v66, 16, v26
	v_lshrrev_b32_e32 v68, 16, v27
	;; [unrolled: 1-line block ×4, first 2 shown]
	s_waitcnt lgkmcnt(1)
	v_lshrrev_b32_e32 v73, 16, v34
	v_lshrrev_b32_e32 v74, 16, v35
	;; [unrolled: 1-line block ×3, first 2 shown]
	v_cndmask_b32_e64 v37, 0, 1, vcc
	v_cmp_ne_u32_e32 vcc, v23, v24
	v_cmp_ne_u32_e64 s[4:5], v24, v25
	v_cmp_ne_u32_e64 s[6:7], v25, v18
	v_cndmask_b32_e64 v44, 0, 1, s[8:9]
	v_cmp_ne_u32_e64 s[10:11], v19, v20
	v_cmp_ne_u32_e64 s[12:13], v20, v21
	;; [unrolled: 1-line block ×16, first 2 shown]
	v_cndmask_b32_e64 v41, v41, v2, s[8:9]
	v_cmp_ne_u32_e64 s[8:9], v5, v75
	v_cndmask_b32_e64 v40, 0, 1, vcc
	v_cndmask_b32_e64 v42, 0, 1, s[4:5]
	v_cndmask_b32_e64 v43, 0, 1, s[6:7]
	;; [unrolled: 1-line block ×20, first 2 shown]
	v_cndmask_b32_e32 v30, v30, v2, vcc
	v_cndmask_b32_e64 v38, v22, v2, s[4:5]
	v_cndmask_b32_e64 v39, v31, v2, s[6:7]
	;; [unrolled: 1-line block ×20, first 2 shown]
	s_waitcnt lgkmcnt(0)
	v_cndmask_b32_e64 v75, v76, v2, s[8:9]
	s_mov_b64 s[10:11], -1
                                        ; implicit-def: $sgpr6
                                        ; implicit-def: $sgpr3
.LBB99_132:
	v_mov_b32_e32 v12, s3
	v_mov_b32_e32 v13, s6
	s_and_saveexec_b64 s[4:5], s[10:11]
; %bb.133:
	v_cndmask_b32_e64 v12, 0, 1, s[8:9]
	v_mov_b32_e32 v13, v75
; %bb.134:
	s_or_b64 exec, exec, s[4:5]
	s_cmp_lg_u32 s2, 0
	s_barrier
	s_cbranch_scc0 .LBB99_229
; %bb.135:
	v_mov_b32_e32 v2, 0
	v_cmp_eq_u16_sdwa s[4:5], v40, v2 src0_sel:BYTE_0 src1_sel:DWORD
	v_cmp_ne_u16_sdwa s[6:7], v40, v2 src0_sel:BYTE_0 src1_sel:DWORD
                                        ; implicit-def: $vgpr2
	s_and_saveexec_b64 s[8:9], s[6:7]
	s_xor_b64 s[6:7], exec, s[8:9]
; %bb.136:
	v_mov_b32_e32 v2, v30
; %bb.137:
	s_andn2_saveexec_b64 s[6:7], s[6:7]
; %bb.138:
	v_cmp_gt_f16_e32 vcc, v30, v1
	s_nop 1
	v_cndmask_b32_e32 v2, v1, v30, vcc
; %bb.139:
	s_or_b64 exec, exec, s[6:7]
	v_mov_b32_e32 v3, 0
	v_cmp_lt_f16_e32 vcc, v2, v38
	v_cmp_eq_u16_sdwa s[6:7], v42, v3 src0_sel:BYTE_0 src1_sel:DWORD
	v_cmp_eq_u16_sdwa s[8:9], v43, v3 src0_sel:BYTE_0 src1_sel:DWORD
	v_cndmask_b32_e32 v2, v2, v38, vcc
	v_cndmask_b32_e64 v2, v38, v2, s[6:7]
	v_cmp_lt_f16_e32 vcc, v2, v39
	v_cmp_eq_u16_sdwa s[10:11], v44, v3 src0_sel:BYTE_0 src1_sel:DWORD
	v_cmp_eq_u16_sdwa s[12:13], v45, v3 src0_sel:BYTE_0 src1_sel:DWORD
	v_cndmask_b32_e32 v2, v2, v39, vcc
	v_cndmask_b32_e64 v2, v39, v2, s[8:9]
	;; [unrolled: 5-line block ×10, first 2 shown]
	v_cmp_lt_f16_e32 vcc, v2, v68
	v_cmp_eq_u16_sdwa s[48:49], v47, v3 src0_sel:BYTE_0 src1_sel:DWORD
	v_mbcnt_lo_u32_b32 v4, -1, 0
	v_cndmask_b32_e32 v2, v2, v68, vcc
	v_cndmask_b32_e64 v2, v68, v2, s[26:27]
	v_cmp_lt_f16_e32 vcc, v2, v69
	v_mbcnt_hi_u32_b32 v5, -1, v4
	v_and_b32_e32 v7, 15, v5
	v_cndmask_b32_e32 v2, v2, v69, vcc
	v_cndmask_b32_e64 v2, v69, v2, s[28:29]
	v_cmp_lt_f16_e32 vcc, v2, v70
	s_nop 1
	v_cndmask_b32_e32 v2, v2, v70, vcc
	v_cndmask_b32_e64 v2, v70, v2, s[30:31]
	v_cmp_lt_f16_e32 vcc, v2, v71
	s_nop 1
	;; [unrolled: 4-line block ×10, first 2 shown]
	v_cndmask_b32_e32 v2, v2, v13, vcc
	v_cmp_eq_u16_sdwa vcc, v12, v3 src0_sel:BYTE_0 src1_sel:DWORD
	v_or_b32_e32 v3, v12, v47
	v_or_b32_e32 v3, v3, v49
	;; [unrolled: 1-line block ×22, first 2 shown]
	v_and_b32_e32 v3, 1, v3
	v_cndmask_b32_e32 v2, v13, v2, vcc
	v_cmp_eq_u32_e32 vcc, 1, v3
	v_and_b32_e32 v4, 0xffff, v2
	s_nop 0
	v_cndmask_b32_e64 v3, v37, 1, vcc
	v_and_b32_e32 v8, 0xff, v3
	v_lshl_or_b32 v4, v8, 16, v4
	v_cmp_ne_u32_e32 vcc, 0, v7
	s_nop 0
	v_mov_b32_dpp v6, v4 row_shr:1 row_mask:0xf bank_mask:0xf
	s_and_saveexec_b64 s[50:51], vcc
	s_xor_b64 s[50:51], exec, s[50:51]
; %bb.140:
	v_cmp_gt_f16_e32 vcc, v2, v6
	v_and_b32_e32 v3, 1, v3
	s_nop 0
	v_cndmask_b32_e32 v4, v6, v2, vcc
	v_cmp_eq_u16_e32 vcc, 0, v8
	s_nop 1
	v_cndmask_b32_e32 v2, v2, v4, vcc
	v_mov_b32_e32 v4, 1
	v_and_b32_sdwa v4, v6, v4 dst_sel:DWORD dst_unused:UNUSED_PAD src0_sel:WORD_1 src1_sel:DWORD
	v_cmp_eq_u32_e32 vcc, 1, v3
	s_nop 1
	v_cndmask_b32_e64 v3, v4, 1, vcc
	v_lshlrev_b32_e32 v4, 16, v3
	v_or_b32_sdwa v4, v4, v2 dst_sel:DWORD dst_unused:UNUSED_PAD src0_sel:DWORD src1_sel:WORD_0
; %bb.141:
	s_or_b64 exec, exec, s[50:51]
	v_lshrrev_b32_e32 v6, 16, v4
	v_mov_b32_dpp v8, v4 row_shr:2 row_mask:0xf bank_mask:0xf
	v_cmp_lt_u32_e32 vcc, 1, v7
	s_and_saveexec_b64 s[50:51], vcc
	s_cbranch_execz .LBB99_143
; %bb.142:
	s_mov_b32 s3, 0x10000
	v_cmp_gt_f16_e32 vcc, v2, v8
	s_nop 1
	v_cndmask_b32_e32 v3, v8, v2, vcc
	v_cmp_gt_u32_e32 vcc, s3, v4
	s_nop 1
	v_cndmask_b32_e32 v2, v2, v3, vcc
	v_and_b32_e32 v3, 0x10000, v4
	v_mov_b32_e32 v4, 1
	v_and_b32_sdwa v4, v8, v4 dst_sel:DWORD dst_unused:UNUSED_PAD src0_sel:WORD_1 src1_sel:DWORD
	v_cmp_ne_u32_e32 vcc, 0, v3
	s_nop 1
	v_cndmask_b32_e64 v3, v4, 1, vcc
	v_lshlrev_b32_e32 v4, 16, v3
	v_or_b32_sdwa v4, v4, v2 dst_sel:DWORD dst_unused:UNUSED_PAD src0_sel:DWORD src1_sel:WORD_0
	v_mov_b32_e32 v6, v3
.LBB99_143:
	s_or_b64 exec, exec, s[50:51]
	v_mov_b32_dpp v8, v4 row_shr:4 row_mask:0xf bank_mask:0xf
	v_cmp_lt_u32_e32 vcc, 3, v7
	s_and_saveexec_b64 s[50:51], vcc
	s_cbranch_execz .LBB99_145
; %bb.144:
	v_cmp_gt_f16_e32 vcc, v2, v8
	v_mov_b32_e32 v4, 1
	v_and_b32_sdwa v4, v8, v4 dst_sel:DWORD dst_unused:UNUSED_PAD src0_sel:WORD_1 src1_sel:DWORD
	v_cndmask_b32_e32 v3, v8, v2, vcc
	v_cmp_eq_u16_e32 vcc, 0, v6
	s_nop 1
	v_cndmask_b32_e32 v2, v2, v3, vcc
	v_and_b32_e32 v3, 1, v6
	v_cmp_eq_u32_e32 vcc, 1, v3
	s_nop 1
	v_cndmask_b32_e64 v3, v4, 1, vcc
	v_lshlrev_b32_e32 v4, 16, v3
	v_or_b32_sdwa v4, v4, v2 dst_sel:DWORD dst_unused:UNUSED_PAD src0_sel:DWORD src1_sel:WORD_0
	v_mov_b32_e32 v6, v3
.LBB99_145:
	s_or_b64 exec, exec, s[50:51]
	v_mov_b32_dpp v8, v4 row_shr:8 row_mask:0xf bank_mask:0xf
	v_cmp_lt_u32_e32 vcc, 7, v7
	s_and_saveexec_b64 s[50:51], vcc
	s_cbranch_execz .LBB99_147
; %bb.146:
	v_cmp_gt_f16_e32 vcc, v2, v8
	v_mov_b32_e32 v4, 1
	v_and_b32_sdwa v4, v8, v4 dst_sel:DWORD dst_unused:UNUSED_PAD src0_sel:WORD_1 src1_sel:DWORD
	v_cndmask_b32_e32 v3, v8, v2, vcc
	v_cmp_eq_u16_e32 vcc, 0, v6
	s_nop 1
	v_cndmask_b32_e32 v2, v2, v3, vcc
	v_and_b32_e32 v3, 1, v6
	v_cmp_eq_u32_e32 vcc, 1, v3
	s_nop 1
	v_cndmask_b32_e64 v3, v4, 1, vcc
	v_lshlrev_b32_e32 v4, 16, v3
	v_or_b32_sdwa v4, v4, v2 dst_sel:DWORD dst_unused:UNUSED_PAD src0_sel:DWORD src1_sel:WORD_0
	v_mov_b32_e32 v6, v3
.LBB99_147:
	s_or_b64 exec, exec, s[50:51]
	v_and_b32_e32 v8, 16, v5
	v_mov_b32_dpp v7, v4 row_bcast:15 row_mask:0xf bank_mask:0xf
	v_cmp_ne_u32_e32 vcc, 0, v8
	s_and_saveexec_b64 s[50:51], vcc
	s_cbranch_execz .LBB99_149
; %bb.148:
	v_cmp_gt_f16_e32 vcc, v2, v7
	v_mov_b32_e32 v4, 1
	v_and_b32_sdwa v4, v7, v4 dst_sel:DWORD dst_unused:UNUSED_PAD src0_sel:WORD_1 src1_sel:DWORD
	v_cndmask_b32_e32 v3, v7, v2, vcc
	v_cmp_eq_u16_e32 vcc, 0, v6
	s_nop 1
	v_cndmask_b32_e32 v2, v2, v3, vcc
	v_and_b32_e32 v3, 1, v6
	v_cmp_eq_u32_e32 vcc, 1, v3
	s_nop 1
	v_cndmask_b32_e64 v3, v4, 1, vcc
	v_lshlrev_b32_e32 v4, 16, v3
	v_or_b32_sdwa v4, v4, v2 dst_sel:DWORD dst_unused:UNUSED_PAD src0_sel:DWORD src1_sel:WORD_0
	v_mov_b32_e32 v6, v3
.LBB99_149:
	s_or_b64 exec, exec, s[50:51]
	v_mov_b32_dpp v4, v4 row_bcast:31 row_mask:0xf bank_mask:0xf
	v_cmp_lt_u32_e32 vcc, 31, v5
	s_and_saveexec_b64 s[50:51], vcc
; %bb.150:
	v_and_b32_e32 v3, 1, v6
	v_mov_b32_e32 v7, 1
	v_and_b32_sdwa v7, v4, v7 dst_sel:DWORD dst_unused:UNUSED_PAD src0_sel:WORD_1 src1_sel:DWORD
	v_cmp_eq_u32_e32 vcc, 1, v3
	s_nop 1
	v_cndmask_b32_e64 v3, v7, 1, vcc
	v_cmp_gt_f16_e32 vcc, v2, v4
	s_nop 1
	v_cndmask_b32_e32 v4, v4, v2, vcc
	v_cmp_eq_u16_e32 vcc, 0, v6
	s_nop 1
	v_cndmask_b32_e32 v2, v2, v4, vcc
; %bb.151:
	s_or_b64 exec, exec, s[50:51]
	v_or_b32_e32 v6, 63, v0
	v_lshrrev_b32_e32 v4, 6, v0
	v_cmp_eq_u32_e32 vcc, v6, v0
	s_and_saveexec_b64 s[50:51], vcc
	s_cbranch_execz .LBB99_153
; %bb.152:
	v_lshlrev_b32_e32 v6, 2, v4
	ds_write_b16 v6, v2
	ds_write_b8 v6, v3 offset:2
.LBB99_153:
	s_or_b64 exec, exec, s[50:51]
	v_cmp_gt_u32_e32 vcc, 4, v0
	s_waitcnt lgkmcnt(0)
	s_barrier
	s_and_saveexec_b64 s[52:53], vcc
	s_cbranch_execz .LBB99_157
; %bb.154:
	v_lshlrev_b32_e32 v6, 2, v0
	ds_read_b32 v10, v6
	v_and_b32_e32 v7, 3, v5
	v_cmp_ne_u32_e32 vcc, 0, v7
	s_waitcnt lgkmcnt(0)
	v_lshrrev_b32_e32 v9, 16, v10
	v_mov_b32_dpp v11, v10 row_shr:1 row_mask:0xf bank_mask:0xf
	v_mov_b32_e32 v8, v10
	s_and_saveexec_b64 s[50:51], vcc
	s_cbranch_execz .LBB99_156
; %bb.155:
	v_mov_b32_e32 v8, 0
	v_cmp_gt_f16_e32 vcc, v10, v11
	s_nop 1
	v_cndmask_b32_e32 v14, v11, v10, vcc
	v_cmp_eq_u16_sdwa vcc, v9, v8 src0_sel:BYTE_0 src1_sel:DWORD
	v_and_b32_e32 v9, 0x10000, v10
	s_nop 0
	v_cndmask_b32_e32 v8, v10, v14, vcc
	v_and_b32_e32 v14, 0xff000000, v10
	v_mov_b32_e32 v10, 1
	v_and_b32_sdwa v10, v11, v10 dst_sel:DWORD dst_unused:UNUSED_PAD src0_sel:WORD_1 src1_sel:DWORD
	v_cmp_ne_u32_e32 vcc, 0, v9
	v_and_b32_e32 v11, 0xffff, v8
	s_nop 0
	v_cndmask_b32_e64 v9, v10, 1, vcc
	v_lshlrev_b32_e32 v10, 16, v9
	v_or3_b32 v10, v10, v14, v11
.LBB99_156:
	s_or_b64 exec, exec, s[50:51]
	s_nop 0
	v_mov_b32_dpp v11, v10 row_shr:2 row_mask:0xf bank_mask:0xf
	v_and_b32_e32 v14, 0xff0000, v10
	v_cmp_gt_f16_e64 s[50:51], v8, v11
	v_and_b32_e32 v10, 0x10000, v10
	v_mov_b32_e32 v15, 1
	v_cmp_eq_u32_e32 vcc, 0, v14
	v_cndmask_b32_e64 v14, v11, v8, s[50:51]
	v_and_b32_sdwa v11, v11, v15 dst_sel:DWORD dst_unused:UNUSED_PAD src0_sel:WORD_1 src1_sel:DWORD
	v_cmp_eq_u32_e64 s[50:51], 0, v10
	s_nop 1
	v_cndmask_b32_e64 v10, 1, v11, s[50:51]
	v_cmp_lt_u32_e64 s[50:51], 1, v7
	s_and_b64 vcc, s[50:51], vcc
	v_cndmask_b32_e32 v8, v8, v14, vcc
	v_cndmask_b32_e64 v7, v9, v10, s[50:51]
	ds_write_b16 v6, v8
	ds_write_b8 v6, v7 offset:2
.LBB99_157:
	s_or_b64 exec, exec, s[52:53]
	v_cmp_gt_u32_e32 vcc, 64, v0
	v_cmp_lt_u32_e64 s[50:51], 63, v0
	v_mov_b32_e32 v14, 0
	v_mov_b32_e32 v15, 0
	s_waitcnt lgkmcnt(0)
	s_barrier
	s_and_saveexec_b64 s[52:53], s[50:51]
	s_cbranch_execz .LBB99_159
; %bb.158:
	v_lshl_add_u32 v4, v4, 2, -4
	ds_read_u16 v14, v4
	ds_read_u8 v15, v4 offset:2
	v_mov_b32_e32 v6, 0
	s_waitcnt lgkmcnt(1)
	v_cmp_gt_f16_e64 s[50:51], v2, v14
	s_nop 1
	v_cndmask_b32_e64 v4, v14, v2, s[50:51]
	v_cmp_eq_u16_sdwa s[50:51], v3, v6 src0_sel:BYTE_0 src1_sel:DWORD
	v_and_b32_e32 v3, 1, v3
	s_nop 0
	v_cndmask_b32_e64 v2, v2, v4, s[50:51]
	v_cmp_eq_u32_e64 s[50:51], 1, v3
	s_waitcnt lgkmcnt(0)
	s_nop 0
	v_cndmask_b32_e64 v3, v15, 1, s[50:51]
.LBB99_159:
	s_or_b64 exec, exec, s[52:53]
	v_and_b32_e32 v3, 0xff, v3
	v_and_b32_e32 v2, 0xffff, v2
	v_lshl_or_b32 v2, v3, 16, v2
	v_add_u32_e32 v3, -1, v5
	v_and_b32_e32 v4, 64, v5
	v_cmp_lt_i32_e64 s[50:51], v3, v4
	s_nop 1
	v_cndmask_b32_e64 v3, v3, v5, s[50:51]
	v_lshlrev_b32_e32 v3, 2, v3
	ds_bpermute_b32 v16, v3, v2
	v_cmp_eq_u32_e64 s[50:51], 0, v5
	s_and_saveexec_b64 s[52:53], vcc
	s_cbranch_execz .LBB99_206
; %bb.160:
	v_mov_b32_e32 v9, 0
	ds_read_b32 v2, v9 offset:12
	s_and_saveexec_b64 s[60:61], s[50:51]
	s_cbranch_execz .LBB99_162
; %bb.161:
	s_add_i32 s62, s2, 64
	s_mov_b32 s63, 0
	s_lshl_b64 s[62:63], s[62:63], 3
	s_add_u32 s62, s56, s62
	s_addc_u32 s63, s57, s63
	v_mov_b32_e32 v3, 1
	s_waitcnt lgkmcnt(0)
	global_store_dwordx2 v9, v[2:3], s[62:63] sc1
.LBB99_162:
	s_or_b64 exec, exec, s[60:61]
	v_xad_u32 v4, v5, -1, s2
	v_add_u32_e32 v8, 64, v4
	v_lshl_add_u64 v[10:11], v[8:9], 3, s[56:57]
	global_load_dwordx2 v[6:7], v[10:11], off sc1
	s_waitcnt vmcnt(0)
	v_cmp_eq_u16_sdwa s[62:63], v7, v9 src0_sel:BYTE_0 src1_sel:DWORD
	s_and_saveexec_b64 s[60:61], s[62:63]
	s_cbranch_execz .LBB99_166
; %bb.163:
	s_mov_b64 s[62:63], 0
	v_mov_b32_e32 v3, 0
.LBB99_164:                             ; =>This Inner Loop Header: Depth=1
	global_load_dwordx2 v[6:7], v[10:11], off sc1
	s_waitcnt vmcnt(0)
	v_cmp_ne_u16_sdwa s[68:69], v7, v3 src0_sel:BYTE_0 src1_sel:DWORD
	s_or_b64 s[62:63], s[68:69], s[62:63]
	s_andn2_b64 exec, exec, s[62:63]
	s_cbranch_execnz .LBB99_164
; %bb.165:
	s_or_b64 exec, exec, s[62:63]
.LBB99_166:
	s_or_b64 exec, exec, s[60:61]
	v_mov_b32_e32 v3, 2
	v_cmp_eq_u16_sdwa s[60:61], v7, v3 src0_sel:BYTE_0 src1_sel:DWORD
	v_lshlrev_b64 v[8:9], v5, -1
	v_and_b32_e32 v11, 63, v5
	v_and_b32_e32 v3, s61, v9
	v_or_b32_e32 v3, 0x80000000, v3
	v_and_b32_e32 v10, s60, v8
	v_ffbl_b32_e32 v3, v3
	v_add_u32_e32 v3, 32, v3
	v_ffbl_b32_e32 v10, v10
	v_cmp_ne_u32_e32 vcc, 63, v11
	v_min_u32_e32 v10, v10, v3
	v_and_b32_e32 v26, 0xffffff, v6
	v_addc_co_u32_e32 v3, vcc, 0, v5, vcc
	v_lshlrev_b32_e32 v3, 2, v3
	ds_bpermute_b32 v18, v3, v26
	v_add_u32_e32 v17, 1, v5
	v_lshrrev_b32_e32 v77, 16, v6
	v_cmp_le_u32_e32 vcc, v17, v10
	v_bfe_u32 v27, v6, 16, 8
	s_and_saveexec_b64 s[60:61], vcc
	s_cbranch_execz .LBB99_168
; %bb.167:
	v_and_b32_e32 v19, 0xff0000, v6
	s_waitcnt lgkmcnt(0)
	v_cmp_gt_f16_e32 vcc, v6, v18
	s_nop 1
	v_cndmask_b32_e32 v20, v18, v6, vcc
	v_cmp_eq_u32_e32 vcc, 0, v19
	v_and_b32_e32 v19, 0x10000, v19
	s_nop 0
	v_cndmask_b32_e32 v6, v6, v20, vcc
	v_mov_b32_e32 v20, 1
	v_and_b32_sdwa v18, v18, v20 dst_sel:DWORD dst_unused:UNUSED_PAD src0_sel:WORD_1 src1_sel:DWORD
	v_cmp_ne_u32_e32 vcc, 0, v19
	s_nop 1
	v_cndmask_b32_e64 v77, v18, 1, vcc
	v_lshlrev_b32_e32 v18, 16, v77
	v_or_b32_sdwa v26, v18, v6 dst_sel:DWORD dst_unused:UNUSED_PAD src0_sel:DWORD src1_sel:WORD_0
	v_mov_b32_e32 v27, v77
.LBB99_168:
	s_or_b64 exec, exec, s[60:61]
	v_cmp_gt_u32_e32 vcc, 62, v11
	v_add_u32_e32 v19, 2, v5
	s_waitcnt lgkmcnt(0)
	v_cndmask_b32_e64 v18, 0, 1, vcc
	v_lshlrev_b32_e32 v18, 1, v18
	v_add_lshl_u32 v18, v18, v5, 2
	ds_bpermute_b32 v20, v18, v26
	v_cmp_le_u32_e32 vcc, v19, v10
	s_and_saveexec_b64 s[60:61], vcc
	s_cbranch_execz .LBB99_170
; %bb.169:
	s_waitcnt lgkmcnt(0)
	v_cmp_gt_f16_e32 vcc, v6, v20
	v_mov_b32_e32 v22, 1
	s_nop 0
	v_cndmask_b32_e32 v21, v20, v6, vcc
	v_cmp_eq_u16_e32 vcc, 0, v27
	v_and_b32_sdwa v20, v20, v22 dst_sel:DWORD dst_unused:UNUSED_PAD src0_sel:WORD_1 src1_sel:DWORD
	s_nop 0
	v_cndmask_b32_e32 v6, v6, v21, vcc
	v_and_b32_e32 v21, 1, v27
	v_cmp_eq_u32_e32 vcc, 1, v21
	s_nop 1
	v_cndmask_b32_e64 v77, v20, 1, vcc
	v_lshlrev_b32_e32 v20, 16, v77
	v_or_b32_sdwa v26, v20, v6 dst_sel:DWORD dst_unused:UNUSED_PAD src0_sel:DWORD src1_sel:WORD_0
	v_mov_b32_e32 v27, v77
.LBB99_170:
	s_or_b64 exec, exec, s[60:61]
	v_cmp_gt_u32_e32 vcc, 60, v11
	v_add_u32_e32 v21, 4, v5
	s_waitcnt lgkmcnt(0)
	v_cndmask_b32_e64 v20, 0, 1, vcc
	v_lshlrev_b32_e32 v20, 2, v20
	v_add_lshl_u32 v20, v20, v5, 2
	ds_bpermute_b32 v22, v20, v26
	v_cmp_le_u32_e32 vcc, v21, v10
	s_and_saveexec_b64 s[60:61], vcc
	s_cbranch_execz .LBB99_172
; %bb.171:
	s_waitcnt lgkmcnt(0)
	v_cmp_gt_f16_e32 vcc, v6, v22
	v_mov_b32_e32 v24, 1
	s_nop 0
	v_cndmask_b32_e32 v23, v22, v6, vcc
	v_cmp_eq_u16_e32 vcc, 0, v27
	v_and_b32_sdwa v22, v22, v24 dst_sel:DWORD dst_unused:UNUSED_PAD src0_sel:WORD_1 src1_sel:DWORD
	s_nop 0
	v_cndmask_b32_e32 v6, v6, v23, vcc
	v_and_b32_e32 v23, 1, v27
	v_cmp_eq_u32_e32 vcc, 1, v23
	s_nop 1
	v_cndmask_b32_e64 v77, v22, 1, vcc
	v_lshlrev_b32_e32 v22, 16, v77
	v_or_b32_sdwa v26, v22, v6 dst_sel:DWORD dst_unused:UNUSED_PAD src0_sel:DWORD src1_sel:WORD_0
	v_mov_b32_e32 v27, v77
.LBB99_172:
	;; [unrolled: 29-line block ×3, first 2 shown]
	s_or_b64 exec, exec, s[60:61]
	v_cmp_gt_u32_e32 vcc, 48, v11
	v_add_u32_e32 v25, 16, v5
	s_waitcnt lgkmcnt(0)
	v_cndmask_b32_e64 v24, 0, 1, vcc
	v_lshlrev_b32_e32 v24, 4, v24
	v_add_lshl_u32 v24, v24, v5, 2
	ds_bpermute_b32 v28, v24, v26
	v_cmp_le_u32_e32 vcc, v25, v10
	s_and_saveexec_b64 s[60:61], vcc
	s_xor_b64 s[60:61], exec, s[60:61]
	s_cbranch_execz .LBB99_176
; %bb.175:
	s_waitcnt lgkmcnt(0)
	v_cmp_gt_f16_e32 vcc, v6, v28
	s_nop 1
	v_cndmask_b32_e32 v26, v28, v6, vcc
	v_cmp_eq_u16_e32 vcc, 0, v27
	s_nop 1
	v_cndmask_b32_e32 v6, v6, v26, vcc
	v_and_b32_e32 v26, 1, v27
	v_mov_b32_e32 v27, 1
	v_and_b32_sdwa v27, v28, v27 dst_sel:DWORD dst_unused:UNUSED_PAD src0_sel:WORD_1 src1_sel:DWORD
	v_cmp_eq_u32_e32 vcc, 1, v26
	s_nop 1
	v_cndmask_b32_e64 v77, v27, 1, vcc
	v_lshlrev_b32_e32 v26, 16, v77
	v_or_b32_sdwa v26, v26, v6 dst_sel:DWORD dst_unused:UNUSED_PAD src0_sel:DWORD src1_sel:WORD_0
                                        ; implicit-def: $vgpr27
.LBB99_176:
	s_or_saveexec_b64 s[60:61], s[60:61]
	v_mov_b32_e32 v29, v77
	s_xor_b64 exec, exec, s[60:61]
; %bb.177:
	v_mov_b32_e32 v29, v27
; %bb.178:
	s_or_b64 exec, exec, s[60:61]
	v_cmp_gt_u32_e32 vcc, 32, v11
	s_waitcnt lgkmcnt(0)
	v_add_u32_e32 v28, 32, v5
	v_cndmask_b32_e64 v11, 0, 1, vcc
	v_lshlrev_b32_e32 v11, 5, v11
	v_add_lshl_u32 v27, v11, v5, 2
	ds_bpermute_b32 v11, v27, v26
	v_cmp_le_u32_e32 vcc, v28, v10
	s_and_saveexec_b64 s[60:61], vcc
	s_cbranch_execz .LBB99_180
; %bb.179:
	s_waitcnt lgkmcnt(0)
	v_cmp_gt_f16_e32 vcc, v6, v11
	v_and_b32_e32 v26, 1, v29
	v_mov_b32_e32 v75, 1
	v_mov_b32_e32 v5, 0
	v_cndmask_b32_e32 v10, v11, v6, vcc
	v_and_b32_sdwa v11, v11, v75 dst_sel:DWORD dst_unused:UNUSED_PAD src0_sel:WORD_1 src1_sel:DWORD
	v_cmp_eq_u32_e32 vcc, 1, v26
	s_nop 1
	v_cndmask_b32_e64 v77, v11, 1, vcc
	v_cmp_eq_u16_sdwa vcc, v29, v5 src0_sel:BYTE_0 src1_sel:DWORD
	s_nop 1
	v_cndmask_b32_e32 v6, v6, v10, vcc
.LBB99_180:
	s_or_b64 exec, exec, s[60:61]
	v_mov_b32_e32 v5, 0
	v_mov_b32_e32 v75, 2
	;; [unrolled: 1-line block ×3, first 2 shown]
	s_branch .LBB99_182
.LBB99_181:                             ;   in Loop: Header=BB99_182 Depth=1
	s_or_b64 exec, exec, s[60:61]
	v_cmp_gt_f16_e32 vcc, v29, v6
	v_and_b32_e32 v10, 1, v26
	v_and_b32_e32 v11, 1, v11
	v_cndmask_b32_e32 v6, v6, v29, vcc
	v_cmp_eq_u16_sdwa vcc, v26, v5 src0_sel:BYTE_0 src1_sel:DWORD
	v_subrev_u32_e32 v4, 64, v4
	s_nop 0
	v_cndmask_b32_e32 v6, v29, v6, vcc
	v_cmp_eq_u32_e32 vcc, 1, v10
	s_waitcnt lgkmcnt(0)
	s_nop 0
	v_cndmask_b32_e64 v77, v11, 1, vcc
.LBB99_182:                             ; =>This Loop Header: Depth=1
                                        ;     Child Loop BB99_185 Depth 2
	v_cmp_ne_u16_sdwa s[60:61], v7, v75 src0_sel:BYTE_0 src1_sel:DWORD
	v_mov_b32_e32 v26, v77
	v_mov_b32_e32 v29, v6
	v_cndmask_b32_e64 v7, 0, 1, s[60:61]
	;;#ASMSTART
	;;#ASMEND
	s_nop 0
	v_cmp_ne_u32_e32 vcc, 0, v7
	s_cmp_lg_u64 vcc, exec
	s_cbranch_scc1 .LBB99_201
; %bb.183:                              ;   in Loop: Header=BB99_182 Depth=1
	s_waitcnt lgkmcnt(0)
	v_lshl_add_u64 v[10:11], v[4:5], 3, s[56:57]
	global_load_dwordx2 v[6:7], v[10:11], off sc1
	s_waitcnt vmcnt(0)
	v_cmp_eq_u16_sdwa s[62:63], v7, v5 src0_sel:BYTE_0 src1_sel:DWORD
	s_and_saveexec_b64 s[60:61], s[62:63]
	s_cbranch_execz .LBB99_187
; %bb.184:                              ;   in Loop: Header=BB99_182 Depth=1
	s_mov_b64 s[62:63], 0
.LBB99_185:                             ;   Parent Loop BB99_182 Depth=1
                                        ; =>  This Inner Loop Header: Depth=2
	global_load_dwordx2 v[6:7], v[10:11], off sc1
	s_waitcnt vmcnt(0)
	v_cmp_ne_u16_sdwa s[68:69], v7, v5 src0_sel:BYTE_0 src1_sel:DWORD
	s_or_b64 s[62:63], s[68:69], s[62:63]
	s_andn2_b64 exec, exec, s[62:63]
	s_cbranch_execnz .LBB99_185
; %bb.186:                              ;   in Loop: Header=BB99_182 Depth=1
	s_or_b64 exec, exec, s[62:63]
.LBB99_187:                             ;   in Loop: Header=BB99_182 Depth=1
	s_or_b64 exec, exec, s[60:61]
	v_cmp_eq_u16_sdwa s[60:61], v7, v75 src0_sel:BYTE_0 src1_sel:DWORD
	v_and_b32_e32 v77, 0xffffff, v6
	ds_bpermute_b32 v79, v3, v77
	v_and_b32_e32 v10, s61, v9
	v_or_b32_e32 v10, 0x80000000, v10
	v_and_b32_e32 v11, s60, v8
	v_ffbl_b32_e32 v10, v10
	v_add_u32_e32 v10, 32, v10
	v_ffbl_b32_e32 v11, v11
	v_min_u32_e32 v10, v11, v10
	v_lshrrev_b32_e32 v11, 16, v6
	v_cmp_le_u32_e32 vcc, v17, v10
	v_bfe_u32 v78, v6, 16, 8
	s_and_saveexec_b64 s[60:61], vcc
	s_cbranch_execz .LBB99_189
; %bb.188:                              ;   in Loop: Header=BB99_182 Depth=1
	v_and_b32_e32 v11, 0xff0000, v6
	s_waitcnt lgkmcnt(0)
	v_cmp_gt_f16_e32 vcc, v6, v79
	s_nop 1
	v_cndmask_b32_e32 v77, v79, v6, vcc
	v_cmp_eq_u32_e32 vcc, 0, v11
	v_and_b32_e32 v11, 0x10000, v11
	s_nop 0
	v_cndmask_b32_e32 v6, v6, v77, vcc
	v_and_b32_sdwa v77, v79, v76 dst_sel:DWORD dst_unused:UNUSED_PAD src0_sel:WORD_1 src1_sel:DWORD
	v_cmp_ne_u32_e32 vcc, 0, v11
	s_nop 1
	v_cndmask_b32_e64 v11, v77, 1, vcc
	v_lshlrev_b32_e32 v77, 16, v11
	v_or_b32_sdwa v77, v77, v6 dst_sel:DWORD dst_unused:UNUSED_PAD src0_sel:DWORD src1_sel:WORD_0
	v_mov_b32_e32 v78, v11
.LBB99_189:                             ;   in Loop: Header=BB99_182 Depth=1
	s_or_b64 exec, exec, s[60:61]
	s_waitcnt lgkmcnt(0)
	ds_bpermute_b32 v79, v18, v77
	v_cmp_le_u32_e32 vcc, v19, v10
	s_and_saveexec_b64 s[60:61], vcc
	s_cbranch_execz .LBB99_191
; %bb.190:                              ;   in Loop: Header=BB99_182 Depth=1
	s_waitcnt lgkmcnt(0)
	v_cmp_gt_f16_e32 vcc, v6, v79
	v_and_b32_sdwa v77, v79, v76 dst_sel:DWORD dst_unused:UNUSED_PAD src0_sel:WORD_1 src1_sel:DWORD
	s_nop 0
	v_cndmask_b32_e32 v11, v79, v6, vcc
	v_cmp_eq_u16_e32 vcc, 0, v78
	s_nop 1
	v_cndmask_b32_e32 v6, v6, v11, vcc
	v_and_b32_e32 v11, 1, v78
	v_cmp_eq_u32_e32 vcc, 1, v11
	s_nop 1
	v_cndmask_b32_e64 v11, v77, 1, vcc
	v_lshlrev_b32_e32 v77, 16, v11
	v_or_b32_sdwa v77, v77, v6 dst_sel:DWORD dst_unused:UNUSED_PAD src0_sel:DWORD src1_sel:WORD_0
	v_mov_b32_e32 v78, v11
.LBB99_191:                             ;   in Loop: Header=BB99_182 Depth=1
	s_or_b64 exec, exec, s[60:61]
	s_waitcnt lgkmcnt(0)
	ds_bpermute_b32 v79, v20, v77
	v_cmp_le_u32_e32 vcc, v21, v10
	s_and_saveexec_b64 s[60:61], vcc
	s_cbranch_execz .LBB99_193
; %bb.192:                              ;   in Loop: Header=BB99_182 Depth=1
	s_waitcnt lgkmcnt(0)
	v_cmp_gt_f16_e32 vcc, v6, v79
	v_and_b32_sdwa v77, v79, v76 dst_sel:DWORD dst_unused:UNUSED_PAD src0_sel:WORD_1 src1_sel:DWORD
	s_nop 0
	v_cndmask_b32_e32 v11, v79, v6, vcc
	v_cmp_eq_u16_e32 vcc, 0, v78
	s_nop 1
	v_cndmask_b32_e32 v6, v6, v11, vcc
	v_and_b32_e32 v11, 1, v78
	v_cmp_eq_u32_e32 vcc, 1, v11
	s_nop 1
	v_cndmask_b32_e64 v11, v77, 1, vcc
	v_lshlrev_b32_e32 v77, 16, v11
	v_or_b32_sdwa v77, v77, v6 dst_sel:DWORD dst_unused:UNUSED_PAD src0_sel:DWORD src1_sel:WORD_0
	v_mov_b32_e32 v78, v11
.LBB99_193:                             ;   in Loop: Header=BB99_182 Depth=1
	;; [unrolled: 23-line block ×3, first 2 shown]
	s_or_b64 exec, exec, s[60:61]
	s_waitcnt lgkmcnt(0)
	ds_bpermute_b32 v79, v24, v77
	v_cmp_le_u32_e32 vcc, v25, v10
	s_and_saveexec_b64 s[60:61], vcc
	s_xor_b64 s[60:61], exec, s[60:61]
	s_cbranch_execz .LBB99_197
; %bb.196:                              ;   in Loop: Header=BB99_182 Depth=1
	s_waitcnt lgkmcnt(0)
	v_cmp_gt_f16_e32 vcc, v6, v79
	v_and_b32_sdwa v77, v79, v76 dst_sel:DWORD dst_unused:UNUSED_PAD src0_sel:WORD_1 src1_sel:DWORD
	s_nop 0
	v_cndmask_b32_e32 v11, v79, v6, vcc
	v_cmp_eq_u16_e32 vcc, 0, v78
	s_nop 1
	v_cndmask_b32_e32 v6, v6, v11, vcc
	v_and_b32_e32 v11, 1, v78
	v_cmp_eq_u32_e32 vcc, 1, v11
                                        ; implicit-def: $vgpr78
	s_nop 1
	v_cndmask_b32_e64 v11, v77, 1, vcc
	v_lshlrev_b32_e32 v77, 16, v11
	v_or_b32_sdwa v77, v77, v6 dst_sel:DWORD dst_unused:UNUSED_PAD src0_sel:DWORD src1_sel:WORD_0
.LBB99_197:                             ;   in Loop: Header=BB99_182 Depth=1
	s_or_saveexec_b64 s[60:61], s[60:61]
	s_waitcnt lgkmcnt(0)
	v_mov_b32_e32 v79, v11
	s_xor_b64 exec, exec, s[60:61]
; %bb.198:                              ;   in Loop: Header=BB99_182 Depth=1
	v_mov_b32_e32 v79, v78
; %bb.199:                              ;   in Loop: Header=BB99_182 Depth=1
	s_or_b64 exec, exec, s[60:61]
	ds_bpermute_b32 v77, v27, v77
	v_cmp_le_u32_e32 vcc, v28, v10
	s_and_saveexec_b64 s[60:61], vcc
	s_cbranch_execz .LBB99_181
; %bb.200:                              ;   in Loop: Header=BB99_182 Depth=1
	s_waitcnt lgkmcnt(0)
	v_cmp_gt_f16_e32 vcc, v6, v77
	v_and_b32_e32 v11, 1, v79
	s_nop 0
	v_cndmask_b32_e32 v10, v77, v6, vcc
	v_lshrrev_b32_e32 v77, 16, v77
	v_cmp_eq_u32_e32 vcc, 1, v11
	s_nop 1
	v_cndmask_b32_e64 v11, v77, 1, vcc
	v_cmp_eq_u16_sdwa vcc, v79, v5 src0_sel:BYTE_0 src1_sel:DWORD
	s_nop 1
	v_cndmask_b32_e32 v6, v6, v10, vcc
	s_branch .LBB99_181
.LBB99_201:                             ;   in Loop: Header=BB99_182 Depth=1
                                        ; implicit-def: $vgpr77
                                        ; implicit-def: $vgpr6
	s_cbranch_execz .LBB99_182
; %bb.202:
	s_and_saveexec_b64 s[60:61], s[50:51]
	s_cbranch_execz .LBB99_204
; %bb.203:
	v_and_b32_e32 v3, 0xff0000, v2
	v_cmp_lt_f16_e32 vcc, v29, v2
	s_mov_b32 s3, 0
	s_add_i32 s2, s2, 64
	v_cndmask_b32_e32 v4, v29, v2, vcc
	v_cmp_eq_u32_e32 vcc, 0, v3
	v_mov_b32_e32 v5, 0x10000
	s_lshl_b64 s[2:3], s[2:3], 3
	v_cndmask_b32_e32 v3, v2, v4, vcc
	v_and_b32_e32 v2, 0x10000, v2
	v_mov_b32_e32 v4, 1
	v_and_b32_sdwa v4, v26, v4 dst_sel:WORD_1 dst_unused:UNUSED_PAD src0_sel:DWORD src1_sel:DWORD
	v_cmp_eq_u32_e32 vcc, 0, v2
	s_add_u32 s2, s56, s2
	s_addc_u32 s3, s57, s3
	v_cndmask_b32_e32 v2, v5, v4, vcc
	v_mov_b32_e32 v4, 0
	v_or_b32_sdwa v2, v2, v3 dst_sel:DWORD dst_unused:UNUSED_PAD src0_sel:DWORD src1_sel:WORD_0
	v_mov_b32_e32 v3, 2
	global_store_dwordx2 v4, v[2:3], s[2:3] sc1
.LBB99_204:
	s_or_b64 exec, exec, s[60:61]
	v_cmp_eq_u32_e32 vcc, 0, v0
	s_and_b64 exec, exec, vcc
	s_cbranch_execz .LBB99_206
; %bb.205:
	v_mov_b32_e32 v2, 0
	ds_write_b16 v2, v29 offset:12
	ds_write_b8 v2, v26 offset:14
.LBB99_206:
	s_or_b64 exec, exec, s[52:53]
	v_mov_b32_e32 v2, 0
	s_waitcnt lgkmcnt(0)
	s_barrier
	ds_read_u16 v3, v2 offset:12
	v_lshrrev_b32_e32 v4, 16, v16
	v_cndmask_b32_e64 v5, v16, v14, s[50:51]
	v_cndmask_b32_e64 v4, v4, v15, s[50:51]
	s_waitcnt lgkmcnt(0)
	v_cmp_gt_f16_e32 vcc, v5, v3
	s_nop 1
	v_cndmask_b32_e32 v6, v3, v5, vcc
	v_cmp_eq_u16_sdwa vcc, v4, v2 src0_sel:BYTE_0 src1_sel:DWORD
	s_nop 1
	v_cndmask_b32_e32 v4, v5, v6, vcc
	v_cmp_eq_u32_e32 vcc, 0, v0
	s_nop 1
	v_cndmask_b32_e32 v7, v4, v3, vcc
	v_cmp_lt_f16_e32 vcc, v7, v1
	s_nop 1
	v_cndmask_b32_e32 v3, v7, v1, vcc
	v_cmp_eq_u16_sdwa vcc, v37, v2 src0_sel:BYTE_0 src1_sel:DWORD
	s_nop 1
	v_cndmask_b32_e32 v6, v1, v3, vcc
	v_cmp_lt_f16_e32 vcc, v6, v30
	s_nop 1
	v_cndmask_b32_e32 v2, v6, v30, vcc
	v_cndmask_b32_e64 v8, v30, v2, s[4:5]
	v_cmp_lt_f16_e32 vcc, v8, v38
	s_nop 1
	v_cndmask_b32_e32 v2, v8, v38, vcc
	v_cndmask_b32_e64 v9, v38, v2, s[6:7]
	;; [unrolled: 4-line block ×22, first 2 shown]
	s_branch .LBB99_259
.LBB99_207:
	s_or_b64 exec, exec, s[60:61]
                                        ; implicit-def: $vgpr30
	s_and_saveexec_b64 s[4:5], s[6:7]
	s_cbranch_execz .LBB99_53
.LBB99_208:
	global_load_ushort v30, v[28:29], off offset:512
	s_or_b64 exec, exec, s[4:5]
                                        ; implicit-def: $vgpr31
	s_and_saveexec_b64 s[4:5], s[8:9]
	s_cbranch_execnz .LBB99_54
.LBB99_209:
	s_or_b64 exec, exec, s[4:5]
                                        ; implicit-def: $vgpr32
	s_and_saveexec_b64 s[4:5], s[10:11]
	s_cbranch_execz .LBB99_55
.LBB99_210:
	global_load_ushort v32, v[28:29], off offset:1536
	s_or_b64 exec, exec, s[4:5]
                                        ; implicit-def: $vgpr33
	s_and_saveexec_b64 s[4:5], s[12:13]
	s_cbranch_execnz .LBB99_56
.LBB99_211:
	s_or_b64 exec, exec, s[4:5]
                                        ; implicit-def: $vgpr34
	s_and_saveexec_b64 s[4:5], s[14:15]
	s_cbranch_execz .LBB99_57
.LBB99_212:
	global_load_ushort v34, v[28:29], off offset:2560
	s_or_b64 exec, exec, s[4:5]
                                        ; implicit-def: $vgpr35
	s_and_saveexec_b64 s[4:5], s[16:17]
	s_cbranch_execnz .LBB99_58
.LBB99_213:
	s_or_b64 exec, exec, s[4:5]
                                        ; implicit-def: $vgpr36
	s_and_saveexec_b64 s[4:5], s[18:19]
	s_cbranch_execz .LBB99_59
.LBB99_214:
	global_load_ushort v36, v[28:29], off offset:3584
	s_or_b64 exec, exec, s[4:5]
                                        ; implicit-def: $vgpr37
	s_and_saveexec_b64 s[4:5], s[20:21]
	s_cbranch_execnz .LBB99_60
.LBB99_215:
	s_or_b64 exec, exec, s[4:5]
                                        ; implicit-def: $vgpr38
	s_and_saveexec_b64 s[4:5], s[22:23]
	s_cbranch_execz .LBB99_61
.LBB99_216:
	v_add_co_u32_e32 v38, vcc, 0x1000, v28
	s_nop 1
	v_addc_co_u32_e32 v39, vcc, 0, v29, vcc
	global_load_ushort v38, v[38:39], off offset:512
	s_or_b64 exec, exec, s[4:5]
                                        ; implicit-def: $vgpr39
	s_and_saveexec_b64 s[4:5], s[24:25]
	s_cbranch_execnz .LBB99_62
.LBB99_217:
	s_or_b64 exec, exec, s[4:5]
                                        ; implicit-def: $vgpr40
	s_and_saveexec_b64 s[4:5], s[26:27]
	s_cbranch_execz .LBB99_63
.LBB99_218:
	v_add_co_u32_e32 v40, vcc, 0x1000, v28
	s_nop 1
	v_addc_co_u32_e32 v41, vcc, 0, v29, vcc
	global_load_ushort v40, v[40:41], off offset:1536
	s_or_b64 exec, exec, s[4:5]
                                        ; implicit-def: $vgpr41
	s_and_saveexec_b64 s[4:5], s[28:29]
	s_cbranch_execnz .LBB99_64
.LBB99_219:
	s_or_b64 exec, exec, s[4:5]
                                        ; implicit-def: $vgpr42
	s_and_saveexec_b64 s[4:5], s[30:31]
	s_cbranch_execz .LBB99_65
.LBB99_220:
	v_add_co_u32_e32 v42, vcc, 0x1000, v28
	s_nop 1
	v_addc_co_u32_e32 v43, vcc, 0, v29, vcc
	global_load_ushort v42, v[42:43], off offset:2560
	s_or_b64 exec, exec, s[4:5]
                                        ; implicit-def: $vgpr43
	s_and_saveexec_b64 s[4:5], s[34:35]
	s_cbranch_execnz .LBB99_66
.LBB99_221:
	s_or_b64 exec, exec, s[4:5]
                                        ; implicit-def: $vgpr44
	s_and_saveexec_b64 s[4:5], s[36:37]
	s_cbranch_execz .LBB99_67
.LBB99_222:
	v_add_co_u32_e32 v44, vcc, 0x1000, v28
	s_nop 1
	v_addc_co_u32_e32 v45, vcc, 0, v29, vcc
	global_load_ushort v44, v[44:45], off offset:3584
	s_or_b64 exec, exec, s[4:5]
                                        ; implicit-def: $vgpr45
	s_and_saveexec_b64 s[4:5], s[38:39]
	s_cbranch_execnz .LBB99_68
.LBB99_223:
	s_or_b64 exec, exec, s[4:5]
                                        ; implicit-def: $vgpr46
	s_and_saveexec_b64 s[4:5], s[40:41]
	s_cbranch_execz .LBB99_69
.LBB99_224:
	v_add_co_u32_e32 v46, vcc, 0x2000, v28
	s_nop 1
	v_addc_co_u32_e32 v47, vcc, 0, v29, vcc
	global_load_ushort v46, v[46:47], off offset:512
	s_or_b64 exec, exec, s[4:5]
                                        ; implicit-def: $vgpr47
	s_and_saveexec_b64 s[4:5], s[42:43]
	s_cbranch_execnz .LBB99_70
.LBB99_225:
	s_or_b64 exec, exec, s[4:5]
                                        ; implicit-def: $vgpr48
	s_and_saveexec_b64 s[4:5], s[44:45]
	s_cbranch_execz .LBB99_71
.LBB99_226:
	v_add_co_u32_e32 v48, vcc, 0x2000, v28
	s_nop 1
	v_addc_co_u32_e32 v49, vcc, 0, v29, vcc
	global_load_ushort v48, v[48:49], off offset:1536
	s_or_b64 exec, exec, s[4:5]
                                        ; implicit-def: $vgpr49
	s_and_saveexec_b64 s[4:5], s[46:47]
	s_cbranch_execnz .LBB99_72
.LBB99_227:
	s_or_b64 exec, exec, s[4:5]
                                        ; implicit-def: $vgpr50
	s_and_saveexec_b64 s[4:5], s[48:49]
	s_cbranch_execz .LBB99_73
.LBB99_228:
	v_add_co_u32_e32 v50, vcc, 0x2000, v28
	s_nop 1
	v_addc_co_u32_e32 v51, vcc, 0, v29, vcc
	global_load_ushort v50, v[50:51], off offset:2560
	s_or_b64 exec, exec, s[4:5]
                                        ; implicit-def: $vgpr51
	s_and_saveexec_b64 s[4:5], s[50:51]
	s_cbranch_execz .LBB99_75
	s_branch .LBB99_74
.LBB99_229:
                                        ; implicit-def: $vgpr76
                                        ; implicit-def: $vgpr75
                                        ; implicit-def: $vgpr7
                                        ; implicit-def: $vgpr29
                                        ; implicit-def: $vgpr28
                                        ; implicit-def: $vgpr6
                                        ; implicit-def: $vgpr27
                                        ; implicit-def: $vgpr26
                                        ; implicit-def: $vgpr8
                                        ; implicit-def: $vgpr24
                                        ; implicit-def: $vgpr22
                                        ; implicit-def: $vgpr9
                                        ; implicit-def: $vgpr25
                                        ; implicit-def: $vgpr23
                                        ; implicit-def: $vgpr10
                                        ; implicit-def: $vgpr21
                                        ; implicit-def: $vgpr20
                                        ; implicit-def: $vgpr11
                                        ; implicit-def: $vgpr19
                                        ; implicit-def: $vgpr18
                                        ; implicit-def: $vgpr14
                                        ; implicit-def: $vgpr16
                                        ; implicit-def: $vgpr15
                                        ; implicit-def: $vgpr17
	s_cbranch_execz .LBB99_259
; %bb.230:
	s_cmp_eq_u64 s[66:67], 0
	v_mov_b32_e32 v2, s74
	s_cbranch_scc1 .LBB99_232
; %bb.231:
	v_mov_b32_e32 v2, 0
	global_load_ushort v2, v2, s[66:67]
.LBB99_232:
	v_mov_b32_e32 v3, 0
	v_cmp_eq_u16_sdwa vcc, v40, v3 src0_sel:BYTE_0 src1_sel:DWORD
	v_cmp_ne_u16_sdwa s[2:3], v40, v3 src0_sel:BYTE_0 src1_sel:DWORD
                                        ; implicit-def: $vgpr3
	s_and_saveexec_b64 s[4:5], s[2:3]
	s_xor_b64 s[2:3], exec, s[4:5]
; %bb.233:
	v_mov_b32_e32 v3, v30
; %bb.234:
	s_andn2_saveexec_b64 s[4:5], s[2:3]
; %bb.235:
	v_cmp_gt_f16_e64 s[2:3], v30, v1
	s_nop 1
	v_cndmask_b32_e64 v3, v1, v30, s[2:3]
; %bb.236:
	s_or_b64 exec, exec, s[4:5]
	v_mov_b32_e32 v4, 0
	v_cmp_lt_f16_e64 s[2:3], v3, v38
	v_cmp_eq_u16_sdwa s[4:5], v42, v4 src0_sel:BYTE_0 src1_sel:DWORD
	v_cmp_eq_u16_sdwa s[6:7], v43, v4 src0_sel:BYTE_0 src1_sel:DWORD
	v_cndmask_b32_e64 v3, v3, v38, s[2:3]
	v_cndmask_b32_e64 v3, v38, v3, s[4:5]
	v_cmp_lt_f16_e64 s[2:3], v3, v39
	v_cmp_eq_u16_sdwa s[8:9], v44, v4 src0_sel:BYTE_0 src1_sel:DWORD
	v_cmp_eq_u16_sdwa s[10:11], v45, v4 src0_sel:BYTE_0 src1_sel:DWORD
	v_cndmask_b32_e64 v3, v3, v39, s[2:3]
	v_cndmask_b32_e64 v3, v39, v3, s[6:7]
	;; [unrolled: 5-line block ×10, first 2 shown]
	v_cmp_lt_f16_e64 s[2:3], v3, v68
	v_cmp_eq_u16_sdwa s[18:19], v47, v4 src0_sel:BYTE_0 src1_sel:DWORD
	s_nop 0
	v_cndmask_b32_e64 v3, v3, v68, s[2:3]
	v_cndmask_b32_e64 v3, v68, v3, s[26:27]
	v_cmp_lt_f16_e64 s[2:3], v3, v69
	s_nop 1
	v_cndmask_b32_e64 v3, v3, v69, s[2:3]
	v_cndmask_b32_e64 v3, v69, v3, s[28:29]
	v_cmp_lt_f16_e64 s[2:3], v3, v70
	;; [unrolled: 4-line block ×11, first 2 shown]
	s_nop 1
	v_cndmask_b32_e64 v3, v3, v13, s[2:3]
	v_cmp_eq_u16_sdwa s[2:3], v12, v4 src0_sel:BYTE_0 src1_sel:DWORD
	v_or_b32_e32 v4, v12, v47
	v_or_b32_e32 v4, v4, v49
	;; [unrolled: 1-line block ×22, first 2 shown]
	v_and_b32_e32 v4, 1, v4
	v_cndmask_b32_e64 v3, v13, v3, s[2:3]
	v_cmp_eq_u32_e64 s[2:3], 1, v4
	v_mbcnt_lo_u32_b32 v4, -1, 0
	v_mbcnt_hi_u32_b32 v4, -1, v4
	v_cndmask_b32_e64 v5, v37, 1, s[2:3]
	v_and_b32_e32 v9, 0xff, v5
	v_and_b32_e32 v6, 0xffff, v3
	;; [unrolled: 1-line block ×3, first 2 shown]
	v_lshl_or_b32 v6, v9, 16, v6
	v_cmp_ne_u32_e64 s[2:3], 0, v8
	s_nop 0
	v_mov_b32_dpp v7, v6 row_shr:1 row_mask:0xf bank_mask:0xf
	s_and_saveexec_b64 s[48:49], s[2:3]
	s_xor_b64 s[48:49], exec, s[48:49]
; %bb.237:
	v_cmp_gt_f16_e64 s[2:3], v3, v7
	v_and_b32_e32 v5, 1, v5
	s_nop 0
	v_cndmask_b32_e64 v6, v7, v3, s[2:3]
	v_cmp_eq_u16_e64 s[2:3], 0, v9
	s_nop 1
	v_cndmask_b32_e64 v3, v3, v6, s[2:3]
	v_mov_b32_e32 v6, 1
	v_and_b32_sdwa v6, v7, v6 dst_sel:DWORD dst_unused:UNUSED_PAD src0_sel:WORD_1 src1_sel:DWORD
	v_cmp_eq_u32_e64 s[2:3], 1, v5
	s_nop 1
	v_cndmask_b32_e64 v5, v6, 1, s[2:3]
	v_lshlrev_b32_e32 v6, 16, v5
	v_or_b32_sdwa v6, v6, v3 dst_sel:DWORD dst_unused:UNUSED_PAD src0_sel:DWORD src1_sel:WORD_0
; %bb.238:
	s_or_b64 exec, exec, s[48:49]
	v_lshrrev_b32_e32 v7, 16, v6
	v_mov_b32_dpp v9, v6 row_shr:2 row_mask:0xf bank_mask:0xf
	v_cmp_lt_u32_e64 s[2:3], 1, v8
	s_and_saveexec_b64 s[48:49], s[2:3]
	s_cbranch_execz .LBB99_240
; %bb.239:
	s_mov_b32 s50, 0x10000
	v_cmp_gt_f16_e64 s[2:3], v3, v9
	s_nop 1
	v_cndmask_b32_e64 v5, v9, v3, s[2:3]
	v_cmp_gt_u32_e64 s[2:3], s50, v6
	s_nop 1
	v_cndmask_b32_e64 v3, v3, v5, s[2:3]
	v_and_b32_e32 v5, 0x10000, v6
	v_mov_b32_e32 v6, 1
	v_and_b32_sdwa v6, v9, v6 dst_sel:DWORD dst_unused:UNUSED_PAD src0_sel:WORD_1 src1_sel:DWORD
	v_cmp_ne_u32_e64 s[2:3], 0, v5
	s_nop 1
	v_cndmask_b32_e64 v5, v6, 1, s[2:3]
	v_lshlrev_b32_e32 v6, 16, v5
	v_or_b32_sdwa v6, v6, v3 dst_sel:DWORD dst_unused:UNUSED_PAD src0_sel:DWORD src1_sel:WORD_0
	v_mov_b32_e32 v7, v5
.LBB99_240:
	s_or_b64 exec, exec, s[48:49]
	v_mov_b32_dpp v9, v6 row_shr:4 row_mask:0xf bank_mask:0xf
	v_cmp_lt_u32_e64 s[2:3], 3, v8
	s_and_saveexec_b64 s[48:49], s[2:3]
	s_cbranch_execz .LBB99_242
; %bb.241:
	v_cmp_gt_f16_e64 s[2:3], v3, v9
	v_mov_b32_e32 v6, 1
	v_and_b32_sdwa v6, v9, v6 dst_sel:DWORD dst_unused:UNUSED_PAD src0_sel:WORD_1 src1_sel:DWORD
	v_cndmask_b32_e64 v5, v9, v3, s[2:3]
	v_cmp_eq_u16_e64 s[2:3], 0, v7
	s_nop 1
	v_cndmask_b32_e64 v3, v3, v5, s[2:3]
	v_and_b32_e32 v5, 1, v7
	v_cmp_eq_u32_e64 s[2:3], 1, v5
	s_nop 1
	v_cndmask_b32_e64 v5, v6, 1, s[2:3]
	v_lshlrev_b32_e32 v6, 16, v5
	v_or_b32_sdwa v6, v6, v3 dst_sel:DWORD dst_unused:UNUSED_PAD src0_sel:DWORD src1_sel:WORD_0
	v_mov_b32_e32 v7, v5
.LBB99_242:
	s_or_b64 exec, exec, s[48:49]
	v_mov_b32_dpp v9, v6 row_shr:8 row_mask:0xf bank_mask:0xf
	v_cmp_lt_u32_e64 s[2:3], 7, v8
	s_and_saveexec_b64 s[48:49], s[2:3]
	s_cbranch_execz .LBB99_244
; %bb.243:
	v_cmp_gt_f16_e64 s[2:3], v3, v9
	v_mov_b32_e32 v6, 1
	v_and_b32_sdwa v6, v9, v6 dst_sel:DWORD dst_unused:UNUSED_PAD src0_sel:WORD_1 src1_sel:DWORD
	v_cndmask_b32_e64 v5, v9, v3, s[2:3]
	v_cmp_eq_u16_e64 s[2:3], 0, v7
	s_nop 1
	v_cndmask_b32_e64 v3, v3, v5, s[2:3]
	v_and_b32_e32 v5, 1, v7
	v_cmp_eq_u32_e64 s[2:3], 1, v5
	s_nop 1
	v_cndmask_b32_e64 v5, v6, 1, s[2:3]
	v_lshlrev_b32_e32 v6, 16, v5
	v_or_b32_sdwa v6, v6, v3 dst_sel:DWORD dst_unused:UNUSED_PAD src0_sel:DWORD src1_sel:WORD_0
	v_mov_b32_e32 v7, v5
.LBB99_244:
	s_or_b64 exec, exec, s[48:49]
	v_and_b32_e32 v9, 16, v4
	v_mov_b32_dpp v8, v6 row_bcast:15 row_mask:0xf bank_mask:0xf
	v_cmp_ne_u32_e64 s[2:3], 0, v9
	s_and_saveexec_b64 s[48:49], s[2:3]
	s_cbranch_execz .LBB99_246
; %bb.245:
	v_cmp_gt_f16_e64 s[2:3], v3, v8
	v_mov_b32_e32 v6, 1
	v_and_b32_sdwa v6, v8, v6 dst_sel:DWORD dst_unused:UNUSED_PAD src0_sel:WORD_1 src1_sel:DWORD
	v_cndmask_b32_e64 v5, v8, v3, s[2:3]
	v_cmp_eq_u16_e64 s[2:3], 0, v7
	s_nop 1
	v_cndmask_b32_e64 v3, v3, v5, s[2:3]
	v_and_b32_e32 v5, 1, v7
	v_cmp_eq_u32_e64 s[2:3], 1, v5
	s_nop 1
	v_cndmask_b32_e64 v5, v6, 1, s[2:3]
	v_lshlrev_b32_e32 v6, 16, v5
	v_or_b32_sdwa v6, v6, v3 dst_sel:DWORD dst_unused:UNUSED_PAD src0_sel:DWORD src1_sel:WORD_0
	v_mov_b32_e32 v7, v5
.LBB99_246:
	s_or_b64 exec, exec, s[48:49]
	v_mov_b32_dpp v6, v6 row_bcast:31 row_mask:0xf bank_mask:0xf
	v_cmp_lt_u32_e64 s[2:3], 31, v4
	s_and_saveexec_b64 s[48:49], s[2:3]
; %bb.247:
	v_and_b32_e32 v5, 1, v7
	v_mov_b32_e32 v8, 1
	v_and_b32_sdwa v8, v6, v8 dst_sel:DWORD dst_unused:UNUSED_PAD src0_sel:WORD_1 src1_sel:DWORD
	v_cmp_eq_u32_e64 s[2:3], 1, v5
	s_nop 1
	v_cndmask_b32_e64 v5, v8, 1, s[2:3]
	v_cmp_gt_f16_e64 s[2:3], v3, v6
	s_nop 1
	v_cndmask_b32_e64 v6, v6, v3, s[2:3]
	v_cmp_eq_u16_e64 s[2:3], 0, v7
	s_nop 1
	v_cndmask_b32_e64 v3, v3, v6, s[2:3]
; %bb.248:
	s_or_b64 exec, exec, s[48:49]
	v_or_b32_e32 v7, 63, v0
	v_lshrrev_b32_e32 v6, 6, v0
	v_cmp_eq_u32_e64 s[2:3], v7, v0
	s_and_saveexec_b64 s[48:49], s[2:3]
	s_cbranch_execz .LBB99_250
; %bb.249:
	v_lshlrev_b32_e32 v7, 2, v6
	ds_write_b16 v7, v3
	ds_write_b8 v7, v5 offset:2
.LBB99_250:
	s_or_b64 exec, exec, s[48:49]
	v_cmp_gt_u32_e64 s[2:3], 4, v0
	s_waitcnt lgkmcnt(0)
	s_barrier
	s_and_saveexec_b64 s[50:51], s[2:3]
	s_cbranch_execz .LBB99_254
; %bb.251:
	v_lshlrev_b32_e32 v7, 2, v0
	ds_read_b32 v11, v7
	v_and_b32_e32 v8, 3, v4
	v_cmp_ne_u32_e64 s[2:3], 0, v8
	s_waitcnt lgkmcnt(0)
	v_lshrrev_b32_e32 v10, 16, v11
	v_mov_b32_dpp v12, v11 row_shr:1 row_mask:0xf bank_mask:0xf
	v_mov_b32_e32 v9, v11
	s_and_saveexec_b64 s[48:49], s[2:3]
	s_cbranch_execz .LBB99_253
; %bb.252:
	v_mov_b32_e32 v9, 0
	v_cmp_gt_f16_e64 s[2:3], v11, v12
	s_nop 1
	v_cndmask_b32_e64 v13, v12, v11, s[2:3]
	v_cmp_eq_u16_sdwa s[2:3], v10, v9 src0_sel:BYTE_0 src1_sel:DWORD
	v_and_b32_e32 v10, 0x10000, v11
	s_nop 0
	v_cndmask_b32_e64 v9, v11, v13, s[2:3]
	v_and_b32_e32 v13, 0xff000000, v11
	v_mov_b32_e32 v11, 1
	v_and_b32_sdwa v11, v12, v11 dst_sel:DWORD dst_unused:UNUSED_PAD src0_sel:WORD_1 src1_sel:DWORD
	v_cmp_ne_u32_e64 s[2:3], 0, v10
	v_and_b32_e32 v12, 0xffff, v9
	s_nop 0
	v_cndmask_b32_e64 v10, v11, 1, s[2:3]
	v_lshlrev_b32_e32 v11, 16, v10
	v_or3_b32 v11, v11, v13, v12
.LBB99_253:
	s_or_b64 exec, exec, s[48:49]
	s_nop 0
	v_mov_b32_dpp v12, v11 row_shr:2 row_mask:0xf bank_mask:0xf
	v_and_b32_e32 v13, 0xff0000, v11
	v_cmp_gt_f16_e64 s[48:49], v9, v12
	v_and_b32_e32 v11, 0x10000, v11
	v_mov_b32_e32 v14, 1
	v_cmp_eq_u32_e64 s[2:3], 0, v13
	v_cndmask_b32_e64 v13, v12, v9, s[48:49]
	v_and_b32_sdwa v12, v12, v14 dst_sel:DWORD dst_unused:UNUSED_PAD src0_sel:WORD_1 src1_sel:DWORD
	v_cmp_eq_u32_e64 s[48:49], 0, v11
	s_nop 1
	v_cndmask_b32_e64 v11, 1, v12, s[48:49]
	v_cmp_lt_u32_e64 s[48:49], 1, v8
	s_and_b64 s[2:3], s[48:49], s[2:3]
	v_cndmask_b32_e64 v9, v9, v13, s[2:3]
	v_cndmask_b32_e64 v8, v10, v11, s[48:49]
	ds_write_b16 v7, v9
	ds_write_b8 v7, v8 offset:2
.LBB99_254:
	s_or_b64 exec, exec, s[50:51]
	v_cmp_lt_u32_e64 s[2:3], 63, v0
	v_mov_b32_e32 v8, 0
	v_mov_b32_e32 v9, 0
	s_waitcnt vmcnt(0)
	v_mov_b32_e32 v7, v2
	s_waitcnt lgkmcnt(0)
	s_barrier
	s_and_saveexec_b64 s[48:49], s[2:3]
	s_cbranch_execz .LBB99_256
; %bb.255:
	v_lshl_add_u32 v6, v6, 2, -4
	ds_read_u16 v7, v6
	ds_read_u8 v9, v6 offset:2
	s_waitcnt lgkmcnt(1)
	v_cmp_gt_f16_e64 s[2:3], v7, v2
	s_nop 1
	v_cndmask_b32_e64 v6, v2, v7, s[2:3]
	s_waitcnt lgkmcnt(0)
	v_cmp_eq_u16_e64 s[2:3], 0, v9
	s_nop 1
	v_cndmask_b32_e64 v7, v7, v6, s[2:3]
.LBB99_256:
	s_or_b64 exec, exec, s[48:49]
	v_cmp_gt_f16_e64 s[2:3], v3, v7
	s_nop 1
	v_cndmask_b32_e64 v6, v7, v3, s[2:3]
	v_cmp_eq_u16_sdwa s[2:3], v5, v8 src0_sel:BYTE_0 src1_sel:DWORD
	v_and_b32_e32 v5, 1, v5
	s_nop 0
	v_cndmask_b32_e64 v3, v3, v6, s[2:3]
	v_lshlrev_b32_e32 v6, 16, v9
	v_mov_b32_e32 v9, 0x10000
	v_cmp_eq_u32_e64 s[2:3], 1, v5
	s_nop 1
	v_cndmask_b32_e64 v5, v6, v9, s[2:3]
	v_or_b32_sdwa v3, v5, v3 dst_sel:DWORD dst_unused:UNUSED_PAD src0_sel:DWORD src1_sel:WORD_0
	v_add_u32_e32 v5, -1, v4
	v_and_b32_e32 v6, 64, v4
	v_cmp_lt_i32_e64 s[2:3], v5, v6
	s_nop 1
	v_cndmask_b32_e64 v5, v5, v4, s[2:3]
	v_lshlrev_b32_e32 v5, 2, v5
	ds_bpermute_b32 v3, v5, v3
	v_cmp_eq_u32_e64 s[2:3], 0, v4
	s_waitcnt lgkmcnt(0)
	s_nop 0
	v_cndmask_b32_e64 v7, v3, v7, s[2:3]
	v_cmp_eq_u32_e64 s[2:3], 0, v0
	s_nop 1
	v_cndmask_b32_e64 v3, v7, v2, s[2:3]
	v_cmp_lt_f16_e64 s[48:49], v3, v1
	s_nop 1
	v_cndmask_b32_e64 v3, v3, v1, s[48:49]
	v_cmp_eq_u16_sdwa s[48:49], v37, v8 src0_sel:BYTE_0 src1_sel:DWORD
	s_nop 1
	v_cndmask_b32_e64 v6, v1, v3, s[48:49]
	v_cmp_lt_f16_e64 s[48:49], v6, v30
	s_nop 1
	v_cndmask_b32_e64 v1, v6, v30, s[48:49]
	v_cndmask_b32_e32 v8, v30, v1, vcc
	v_cmp_lt_f16_e32 vcc, v8, v38
	s_nop 1
	v_cndmask_b32_e32 v1, v8, v38, vcc
	v_cndmask_b32_e64 v9, v38, v1, s[4:5]
	v_cmp_lt_f16_e32 vcc, v9, v39
	s_nop 1
	v_cndmask_b32_e32 v1, v9, v39, vcc
	v_cndmask_b32_e64 v10, v39, v1, s[6:7]
	;; [unrolled: 4-line block ×20, first 2 shown]
	v_cmp_lt_f16_e32 vcc, v75, v31
	s_nop 1
	v_cndmask_b32_e32 v1, v75, v31, vcc
	s_and_saveexec_b64 s[4:5], s[2:3]
	s_cbranch_execz .LBB99_258
; %bb.257:
	v_mov_b32_e32 v3, 0
	ds_read_u8 v4, v3 offset:14
	ds_read_u16 v5, v3 offset:12
	s_waitcnt lgkmcnt(1)
	v_lshlrev_b32_e32 v7, 16, v4
	s_waitcnt lgkmcnt(0)
	v_cmp_gt_f16_e32 vcc, v5, v2
	s_nop 1
	v_cndmask_b32_e32 v12, v2, v5, vcc
	v_cmp_eq_u32_e32 vcc, 0, v4
	s_nop 1
	v_cndmask_b32_e32 v4, v5, v12, vcc
	v_or_b32_sdwa v4, v7, v4 dst_sel:DWORD dst_unused:UNUSED_PAD src0_sel:DWORD src1_sel:WORD_0
	v_mov_b32_e32 v5, 2
	v_mov_b32_e32 v7, v2
	global_store_dwordx2 v3, v[4:5], s[56:57] offset:512 sc1
.LBB99_258:
	s_or_b64 exec, exec, s[4:5]
	v_cndmask_b32_e64 v76, v31, v1, s[18:19]
.LBB99_259:
	s_load_dwordx2 s[0:1], s[0:1], 0x18
	v_mul_u32_u24_e32 v1, 24, v0
	v_lshlrev_b32_e32 v12, 1, v1
	v_lshlrev_b32_e32 v2, 1, v0
	s_waitcnt lgkmcnt(0)
	s_add_u32 s0, s0, s64
	s_addc_u32 s1, s1, s65
	s_and_b64 vcc, exec, s[54:55]
	s_cbranch_vccz .LBB99_307
; %bb.260:
	s_mov_b32 s2, 0x5040100
	v_perm_b32 v33, v17, v14, s2
	v_perm_b32 v32, v11, v10, s2
	;; [unrolled: 1-line block ×4, first 2 shown]
	s_barrier
	ds_write_b128 v12, v[30:33]
	v_perm_b32 v33, v25, v23, s2
	v_perm_b32 v32, v21, v20, s2
	;; [unrolled: 1-line block ×4, first 2 shown]
	ds_write_b128 v12, v[30:33] offset:16
	v_perm_b32 v33, v76, v75, s2
	v_perm_b32 v32, v29, v28, s2
	;; [unrolled: 1-line block ×4, first 2 shown]
	s_movk_i32 s2, 0xffd2
	v_mad_i32_i24 v3, v0, s2, v12
	ds_write_b128 v12, v[30:33] offset:32
	s_waitcnt lgkmcnt(0)
	s_barrier
	ds_read_u16 v50, v3 offset:512
	ds_read_u16 v49, v3 offset:1024
	ds_read_u16 v48, v3 offset:1536
	ds_read_u16 v47, v3 offset:2048
	ds_read_u16 v46, v3 offset:2560
	ds_read_u16 v45, v3 offset:3072
	ds_read_u16 v44, v3 offset:3584
	ds_read_u16 v43, v3 offset:4096
	ds_read_u16 v42, v3 offset:4608
	ds_read_u16 v41, v3 offset:5120
	ds_read_u16 v40, v3 offset:5632
	ds_read_u16 v39, v3 offset:6144
	ds_read_u16 v38, v3 offset:6656
	ds_read_u16 v37, v3 offset:7168
	ds_read_u16 v36, v3 offset:7680
	ds_read_u16 v35, v3 offset:8192
	ds_read_u16 v34, v3 offset:8704
	ds_read_u16 v33, v3 offset:9216
	ds_read_u16 v32, v3 offset:9728
	ds_read_u16 v31, v3 offset:10240
	ds_read_u16 v30, v3 offset:10752
	ds_read_u16 v1, v3 offset:11264
	ds_read_u16 v13, v3 offset:11776
	s_add_i32 s33, s33, s58
	v_mov_b32_e32 v3, 0
	v_lshl_add_u64 v[4:5], s[0:1], 0, v[2:3]
	v_cmp_gt_u32_e32 vcc, s33, v0
	s_and_saveexec_b64 s[2:3], vcc
	s_cbranch_execz .LBB99_262
; %bb.261:
	v_mul_i32_i24_e32 v51, 0xffffffd2, v0
	v_add_u32_e32 v51, v12, v51
	ds_read_u16 v51, v51
	s_waitcnt lgkmcnt(0)
	global_store_short v[4:5], v51, off
.LBB99_262:
	s_or_b64 exec, exec, s[2:3]
	v_or_b32_e32 v51, 0x100, v0
	v_cmp_gt_u32_e32 vcc, s33, v51
	s_and_saveexec_b64 s[2:3], vcc
	s_cbranch_execz .LBB99_264
; %bb.263:
	s_waitcnt lgkmcnt(14)
	global_store_short v[4:5], v50, off offset:512
.LBB99_264:
	s_or_b64 exec, exec, s[2:3]
	s_waitcnt lgkmcnt(14)
	v_or_b32_e32 v50, 0x200, v0
	v_cmp_gt_u32_e32 vcc, s33, v50
	s_and_saveexec_b64 s[2:3], vcc
	s_cbranch_execz .LBB99_266
; %bb.265:
	global_store_short v[4:5], v49, off offset:1024
.LBB99_266:
	s_or_b64 exec, exec, s[2:3]
	v_or_b32_e32 v49, 0x300, v0
	v_cmp_gt_u32_e32 vcc, s33, v49
	s_and_saveexec_b64 s[2:3], vcc
	s_cbranch_execz .LBB99_268
; %bb.267:
	global_store_short v[4:5], v48, off offset:1536
.LBB99_268:
	s_or_b64 exec, exec, s[2:3]
	;; [unrolled: 8-line block ×6, first 2 shown]
	v_or_b32_e32 v44, 0x800, v0
	v_cmp_gt_u32_e32 vcc, s33, v44
	s_and_saveexec_b64 s[2:3], vcc
	s_cbranch_execz .LBB99_278
; %bb.277:
	v_add_co_u32_e32 v44, vcc, 0x1000, v4
	s_nop 1
	v_addc_co_u32_e32 v45, vcc, 0, v5, vcc
	global_store_short v[44:45], v43, off
.LBB99_278:
	s_or_b64 exec, exec, s[2:3]
	v_or_b32_e32 v43, 0x900, v0
	v_cmp_gt_u32_e32 vcc, s33, v43
	s_and_saveexec_b64 s[2:3], vcc
	s_cbranch_execz .LBB99_280
; %bb.279:
	v_add_co_u32_e32 v44, vcc, 0x1000, v4
	s_nop 1
	v_addc_co_u32_e32 v45, vcc, 0, v5, vcc
	global_store_short v[44:45], v42, off offset:512
.LBB99_280:
	s_or_b64 exec, exec, s[2:3]
	v_or_b32_e32 v42, 0xa00, v0
	v_cmp_gt_u32_e32 vcc, s33, v42
	s_and_saveexec_b64 s[2:3], vcc
	s_cbranch_execz .LBB99_282
; %bb.281:
	v_add_co_u32_e32 v42, vcc, 0x1000, v4
	s_nop 1
	v_addc_co_u32_e32 v43, vcc, 0, v5, vcc
	s_waitcnt lgkmcnt(13)
	global_store_short v[42:43], v41, off offset:1024
.LBB99_282:
	s_or_b64 exec, exec, s[2:3]
	s_waitcnt lgkmcnt(13)
	v_or_b32_e32 v41, 0xb00, v0
	v_cmp_gt_u32_e32 vcc, s33, v41
	s_and_saveexec_b64 s[2:3], vcc
	s_cbranch_execz .LBB99_284
; %bb.283:
	v_add_co_u32_e32 v42, vcc, 0x1000, v4
	s_nop 1
	v_addc_co_u32_e32 v43, vcc, 0, v5, vcc
	s_waitcnt lgkmcnt(12)
	global_store_short v[42:43], v40, off offset:1536
.LBB99_284:
	s_or_b64 exec, exec, s[2:3]
	s_waitcnt lgkmcnt(12)
	;; [unrolled: 13-line block ×6, first 2 shown]
	v_or_b32_e32 v36, 0x1000, v0
	v_cmp_gt_u32_e32 vcc, s33, v36
	s_and_saveexec_b64 s[2:3], vcc
	s_cbranch_execz .LBB99_294
; %bb.293:
	v_add_co_u32_e32 v36, vcc, 0x2000, v4
	s_nop 1
	v_addc_co_u32_e32 v37, vcc, 0, v5, vcc
	s_waitcnt lgkmcnt(7)
	global_store_short v[36:37], v35, off
.LBB99_294:
	s_or_b64 exec, exec, s[2:3]
	s_waitcnt lgkmcnt(7)
	v_or_b32_e32 v35, 0x1100, v0
	v_cmp_gt_u32_e32 vcc, s33, v35
	s_and_saveexec_b64 s[2:3], vcc
	s_cbranch_execz .LBB99_296
; %bb.295:
	v_add_co_u32_e32 v36, vcc, 0x2000, v4
	s_nop 1
	v_addc_co_u32_e32 v37, vcc, 0, v5, vcc
	s_waitcnt lgkmcnt(6)
	global_store_short v[36:37], v34, off offset:512
.LBB99_296:
	s_or_b64 exec, exec, s[2:3]
	s_waitcnt lgkmcnt(6)
	v_or_b32_e32 v34, 0x1200, v0
	v_cmp_gt_u32_e32 vcc, s33, v34
	s_and_saveexec_b64 s[2:3], vcc
	s_cbranch_execz .LBB99_298
; %bb.297:
	v_add_co_u32_e32 v34, vcc, 0x2000, v4
	s_nop 1
	v_addc_co_u32_e32 v35, vcc, 0, v5, vcc
	s_waitcnt lgkmcnt(5)
	global_store_short v[34:35], v33, off offset:1024
.LBB99_298:
	;; [unrolled: 13-line block ×6, first 2 shown]
	s_or_b64 exec, exec, s[2:3]
	s_waitcnt lgkmcnt(1)
	v_mov_b32_e32 v1, v3
	v_or_b32_e32 v3, 0x1700, v0
	v_cmp_gt_u32_e64 s[2:3], s33, v3
	s_branch .LBB99_309
.LBB99_307:
	s_mov_b64 s[2:3], 0
                                        ; implicit-def: $vgpr13
	s_cbranch_execz .LBB99_309
; %bb.308:
	s_mov_b32 s4, 0x5040100
	v_perm_b32 v30, v6, v7, s4
	v_perm_b32 v7, v25, v23, s4
	;; [unrolled: 1-line block ×5, first 2 shown]
	s_waitcnt lgkmcnt(0)
	s_barrier
	v_perm_b32 v33, v17, v14, s4
	v_perm_b32 v32, v11, v10, s4
	;; [unrolled: 1-line block ×3, first 2 shown]
	ds_write_b128 v12, v[4:7] offset:16
	v_perm_b32 v7, v76, v75, s4
	v_perm_b32 v6, v29, v28, s4
	;; [unrolled: 1-line block ×4, first 2 shown]
	s_movk_i32 s4, 0xffd2
	v_mov_b32_e32 v1, 0
	v_mad_i32_i24 v3, v0, s4, v12
	ds_write_b128 v12, v[30:33]
	ds_write_b128 v12, v[4:7] offset:32
	s_waitcnt lgkmcnt(0)
	s_barrier
	ds_read_u16 v6, v3
	ds_read_u16 v7, v3 offset:512
	ds_read_u16 v8, v3 offset:1024
	;; [unrolled: 1-line block ×23, first 2 shown]
	v_mov_b32_e32 v3, v1
	v_lshl_add_u64 v[4:5], s[0:1], 0, v[2:3]
	s_movk_i32 s4, 0x1000
	s_waitcnt lgkmcnt(14)
	global_store_short v2, v6, s[0:1]
	global_store_short v2, v7, s[0:1] offset:512
	global_store_short v2, v8, s[0:1] offset:1024
	;; [unrolled: 1-line block ×7, first 2 shown]
	v_add_co_u32_e32 v2, vcc, s4, v4
	s_or_b64 s[2:3], s[2:3], exec
	s_nop 0
	v_addc_co_u32_e32 v3, vcc, 0, v5, vcc
	global_store_short v[2:3], v15, off
	global_store_short v[2:3], v16, off offset:512
	s_waitcnt lgkmcnt(13)
	global_store_short v[2:3], v17, off offset:1024
	s_waitcnt lgkmcnt(12)
	;; [unrolled: 2-line block ×6, first 2 shown]
	global_store_short v[2:3], v22, off offset:3584
	v_add_co_u32_e32 v2, vcc, 0x2000, v4
	s_nop 1
	v_addc_co_u32_e32 v3, vcc, 0, v5, vcc
	s_waitcnt lgkmcnt(7)
	global_store_short v[2:3], v23, off
	s_waitcnt lgkmcnt(6)
	global_store_short v[2:3], v24, off offset:512
	s_waitcnt lgkmcnt(5)
	global_store_short v[2:3], v25, off offset:1024
	;; [unrolled: 2-line block ×6, first 2 shown]
.LBB99_309:
	s_and_saveexec_b64 s[4:5], s[2:3]
	s_cbranch_execz .LBB99_311
; %bb.310:
	v_lshl_add_u64 v[0:1], v[0:1], 1, s[0:1]
	v_add_co_u32_e32 v0, vcc, 0x2000, v0
	s_nop 1
	v_addc_co_u32_e32 v1, vcc, 0, v1, vcc
	s_waitcnt lgkmcnt(0)
	global_store_short v[0:1], v13, off offset:3584
	s_endpgm
.LBB99_311:
	s_endpgm
	.section	.rodata,"a",@progbits
	.p2align	6, 0x0
	.amdhsa_kernel _ZN7rocprim6detail25device_scan_by_key_kernelILNS0_25lookback_scan_determinismE0ELb1ENS0_26wrapped_scan_by_key_configINS_14default_configEi6__halfEEPiN6hipcub22TransformInputIteratorIS5_NS8_6CastOpIS5_EEPS5_lEESC_S5_NS8_8EqualityENS8_3MaxENS0_19lookback_scan_stateINS_5tupleIJS5_bEEELb0ELb1EEES5_EEvT2_T3_T4_T5_T6_T7_T8_mmmPKNSH_IJT9_bEEE
		.amdhsa_group_segment_fixed_size 26624
		.amdhsa_private_segment_fixed_size 0
		.amdhsa_kernarg_size 80
		.amdhsa_user_sgpr_count 2
		.amdhsa_user_sgpr_dispatch_ptr 0
		.amdhsa_user_sgpr_queue_ptr 0
		.amdhsa_user_sgpr_kernarg_segment_ptr 1
		.amdhsa_user_sgpr_dispatch_id 0
		.amdhsa_user_sgpr_kernarg_preload_length 0
		.amdhsa_user_sgpr_kernarg_preload_offset 0
		.amdhsa_user_sgpr_private_segment_size 0
		.amdhsa_uses_dynamic_stack 0
		.amdhsa_enable_private_segment 0
		.amdhsa_system_sgpr_workgroup_id_x 1
		.amdhsa_system_sgpr_workgroup_id_y 0
		.amdhsa_system_sgpr_workgroup_id_z 0
		.amdhsa_system_sgpr_workgroup_info 0
		.amdhsa_system_vgpr_workitem_id 0
		.amdhsa_next_free_vgpr 80
		.amdhsa_next_free_sgpr 75
		.amdhsa_accum_offset 80
		.amdhsa_reserve_vcc 1
		.amdhsa_float_round_mode_32 0
		.amdhsa_float_round_mode_16_64 0
		.amdhsa_float_denorm_mode_32 3
		.amdhsa_float_denorm_mode_16_64 3
		.amdhsa_dx10_clamp 1
		.amdhsa_ieee_mode 1
		.amdhsa_fp16_overflow 0
		.amdhsa_tg_split 0
		.amdhsa_exception_fp_ieee_invalid_op 0
		.amdhsa_exception_fp_denorm_src 0
		.amdhsa_exception_fp_ieee_div_zero 0
		.amdhsa_exception_fp_ieee_overflow 0
		.amdhsa_exception_fp_ieee_underflow 0
		.amdhsa_exception_fp_ieee_inexact 0
		.amdhsa_exception_int_div_zero 0
	.end_amdhsa_kernel
	.section	.text._ZN7rocprim6detail25device_scan_by_key_kernelILNS0_25lookback_scan_determinismE0ELb1ENS0_26wrapped_scan_by_key_configINS_14default_configEi6__halfEEPiN6hipcub22TransformInputIteratorIS5_NS8_6CastOpIS5_EEPS5_lEESC_S5_NS8_8EqualityENS8_3MaxENS0_19lookback_scan_stateINS_5tupleIJS5_bEEELb0ELb1EEES5_EEvT2_T3_T4_T5_T6_T7_T8_mmmPKNSH_IJT9_bEEE,"axG",@progbits,_ZN7rocprim6detail25device_scan_by_key_kernelILNS0_25lookback_scan_determinismE0ELb1ENS0_26wrapped_scan_by_key_configINS_14default_configEi6__halfEEPiN6hipcub22TransformInputIteratorIS5_NS8_6CastOpIS5_EEPS5_lEESC_S5_NS8_8EqualityENS8_3MaxENS0_19lookback_scan_stateINS_5tupleIJS5_bEEELb0ELb1EEES5_EEvT2_T3_T4_T5_T6_T7_T8_mmmPKNSH_IJT9_bEEE,comdat
.Lfunc_end99:
	.size	_ZN7rocprim6detail25device_scan_by_key_kernelILNS0_25lookback_scan_determinismE0ELb1ENS0_26wrapped_scan_by_key_configINS_14default_configEi6__halfEEPiN6hipcub22TransformInputIteratorIS5_NS8_6CastOpIS5_EEPS5_lEESC_S5_NS8_8EqualityENS8_3MaxENS0_19lookback_scan_stateINS_5tupleIJS5_bEEELb0ELb1EEES5_EEvT2_T3_T4_T5_T6_T7_T8_mmmPKNSH_IJT9_bEEE, .Lfunc_end99-_ZN7rocprim6detail25device_scan_by_key_kernelILNS0_25lookback_scan_determinismE0ELb1ENS0_26wrapped_scan_by_key_configINS_14default_configEi6__halfEEPiN6hipcub22TransformInputIteratorIS5_NS8_6CastOpIS5_EEPS5_lEESC_S5_NS8_8EqualityENS8_3MaxENS0_19lookback_scan_stateINS_5tupleIJS5_bEEELb0ELb1EEES5_EEvT2_T3_T4_T5_T6_T7_T8_mmmPKNSH_IJT9_bEEE
                                        ; -- End function
	.section	.AMDGPU.csdata,"",@progbits
; Kernel info:
; codeLenInByte = 18004
; NumSgprs: 81
; NumVgprs: 80
; NumAgprs: 0
; TotalNumVgprs: 80
; ScratchSize: 0
; MemoryBound: 0
; FloatMode: 240
; IeeeMode: 1
; LDSByteSize: 26624 bytes/workgroup (compile time only)
; SGPRBlocks: 10
; VGPRBlocks: 9
; NumSGPRsForWavesPerEU: 81
; NumVGPRsForWavesPerEU: 80
; AccumOffset: 80
; Occupancy: 2
; WaveLimiterHint : 1
; COMPUTE_PGM_RSRC2:SCRATCH_EN: 0
; COMPUTE_PGM_RSRC2:USER_SGPR: 2
; COMPUTE_PGM_RSRC2:TRAP_HANDLER: 0
; COMPUTE_PGM_RSRC2:TGID_X_EN: 1
; COMPUTE_PGM_RSRC2:TGID_Y_EN: 0
; COMPUTE_PGM_RSRC2:TGID_Z_EN: 0
; COMPUTE_PGM_RSRC2:TIDIG_COMP_CNT: 0
; COMPUTE_PGM_RSRC3_GFX90A:ACCUM_OFFSET: 19
; COMPUTE_PGM_RSRC3_GFX90A:TG_SPLIT: 0
	.section	.text._ZN7rocprim6detail25device_scan_by_key_kernelILNS0_25lookback_scan_determinismE0ELb1ENS0_26wrapped_scan_by_key_configINS_14default_configEi12hip_bfloat16EEPiN6hipcub22TransformInputIteratorIS5_NS8_6CastOpIS5_EEPS5_lEESC_S5_NS8_8EqualityENS8_3SumENS0_19lookback_scan_stateINS_5tupleIJS5_bEEELb1ELb1EEES5_EEvT2_T3_T4_T5_T6_T7_T8_mmmPKNSH_IJT9_bEEE,"axG",@progbits,_ZN7rocprim6detail25device_scan_by_key_kernelILNS0_25lookback_scan_determinismE0ELb1ENS0_26wrapped_scan_by_key_configINS_14default_configEi12hip_bfloat16EEPiN6hipcub22TransformInputIteratorIS5_NS8_6CastOpIS5_EEPS5_lEESC_S5_NS8_8EqualityENS8_3SumENS0_19lookback_scan_stateINS_5tupleIJS5_bEEELb1ELb1EEES5_EEvT2_T3_T4_T5_T6_T7_T8_mmmPKNSH_IJT9_bEEE,comdat
	.protected	_ZN7rocprim6detail25device_scan_by_key_kernelILNS0_25lookback_scan_determinismE0ELb1ENS0_26wrapped_scan_by_key_configINS_14default_configEi12hip_bfloat16EEPiN6hipcub22TransformInputIteratorIS5_NS8_6CastOpIS5_EEPS5_lEESC_S5_NS8_8EqualityENS8_3SumENS0_19lookback_scan_stateINS_5tupleIJS5_bEEELb1ELb1EEES5_EEvT2_T3_T4_T5_T6_T7_T8_mmmPKNSH_IJT9_bEEE ; -- Begin function _ZN7rocprim6detail25device_scan_by_key_kernelILNS0_25lookback_scan_determinismE0ELb1ENS0_26wrapped_scan_by_key_configINS_14default_configEi12hip_bfloat16EEPiN6hipcub22TransformInputIteratorIS5_NS8_6CastOpIS5_EEPS5_lEESC_S5_NS8_8EqualityENS8_3SumENS0_19lookback_scan_stateINS_5tupleIJS5_bEEELb1ELb1EEES5_EEvT2_T3_T4_T5_T6_T7_T8_mmmPKNSH_IJT9_bEEE
	.globl	_ZN7rocprim6detail25device_scan_by_key_kernelILNS0_25lookback_scan_determinismE0ELb1ENS0_26wrapped_scan_by_key_configINS_14default_configEi12hip_bfloat16EEPiN6hipcub22TransformInputIteratorIS5_NS8_6CastOpIS5_EEPS5_lEESC_S5_NS8_8EqualityENS8_3SumENS0_19lookback_scan_stateINS_5tupleIJS5_bEEELb1ELb1EEES5_EEvT2_T3_T4_T5_T6_T7_T8_mmmPKNSH_IJT9_bEEE
	.p2align	8
	.type	_ZN7rocprim6detail25device_scan_by_key_kernelILNS0_25lookback_scan_determinismE0ELb1ENS0_26wrapped_scan_by_key_configINS_14default_configEi12hip_bfloat16EEPiN6hipcub22TransformInputIteratorIS5_NS8_6CastOpIS5_EEPS5_lEESC_S5_NS8_8EqualityENS8_3SumENS0_19lookback_scan_stateINS_5tupleIJS5_bEEELb1ELb1EEES5_EEvT2_T3_T4_T5_T6_T7_T8_mmmPKNSH_IJT9_bEEE,@function
_ZN7rocprim6detail25device_scan_by_key_kernelILNS0_25lookback_scan_determinismE0ELb1ENS0_26wrapped_scan_by_key_configINS_14default_configEi12hip_bfloat16EEPiN6hipcub22TransformInputIteratorIS5_NS8_6CastOpIS5_EEPS5_lEESC_S5_NS8_8EqualityENS8_3SumENS0_19lookback_scan_stateINS_5tupleIJS5_bEEELb1ELb1EEES5_EEvT2_T3_T4_T5_T6_T7_T8_mmmPKNSH_IJT9_bEEE: ; @_ZN7rocprim6detail25device_scan_by_key_kernelILNS0_25lookback_scan_determinismE0ELb1ENS0_26wrapped_scan_by_key_configINS_14default_configEi12hip_bfloat16EEPiN6hipcub22TransformInputIteratorIS5_NS8_6CastOpIS5_EEPS5_lEESC_S5_NS8_8EqualityENS8_3SumENS0_19lookback_scan_stateINS_5tupleIJS5_bEEELb1ELb1EEES5_EEvT2_T3_T4_T5_T6_T7_T8_mmmPKNSH_IJT9_bEEE
; %bb.0:
	s_endpgm
	.section	.rodata,"a",@progbits
	.p2align	6, 0x0
	.amdhsa_kernel _ZN7rocprim6detail25device_scan_by_key_kernelILNS0_25lookback_scan_determinismE0ELb1ENS0_26wrapped_scan_by_key_configINS_14default_configEi12hip_bfloat16EEPiN6hipcub22TransformInputIteratorIS5_NS8_6CastOpIS5_EEPS5_lEESC_S5_NS8_8EqualityENS8_3SumENS0_19lookback_scan_stateINS_5tupleIJS5_bEEELb1ELb1EEES5_EEvT2_T3_T4_T5_T6_T7_T8_mmmPKNSH_IJT9_bEEE
		.amdhsa_group_segment_fixed_size 0
		.amdhsa_private_segment_fixed_size 0
		.amdhsa_kernarg_size 80
		.amdhsa_user_sgpr_count 2
		.amdhsa_user_sgpr_dispatch_ptr 0
		.amdhsa_user_sgpr_queue_ptr 0
		.amdhsa_user_sgpr_kernarg_segment_ptr 1
		.amdhsa_user_sgpr_dispatch_id 0
		.amdhsa_user_sgpr_kernarg_preload_length 0
		.amdhsa_user_sgpr_kernarg_preload_offset 0
		.amdhsa_user_sgpr_private_segment_size 0
		.amdhsa_uses_dynamic_stack 0
		.amdhsa_enable_private_segment 0
		.amdhsa_system_sgpr_workgroup_id_x 1
		.amdhsa_system_sgpr_workgroup_id_y 0
		.amdhsa_system_sgpr_workgroup_id_z 0
		.amdhsa_system_sgpr_workgroup_info 0
		.amdhsa_system_vgpr_workitem_id 0
		.amdhsa_next_free_vgpr 1
		.amdhsa_next_free_sgpr 0
		.amdhsa_accum_offset 4
		.amdhsa_reserve_vcc 0
		.amdhsa_float_round_mode_32 0
		.amdhsa_float_round_mode_16_64 0
		.amdhsa_float_denorm_mode_32 3
		.amdhsa_float_denorm_mode_16_64 3
		.amdhsa_dx10_clamp 1
		.amdhsa_ieee_mode 1
		.amdhsa_fp16_overflow 0
		.amdhsa_tg_split 0
		.amdhsa_exception_fp_ieee_invalid_op 0
		.amdhsa_exception_fp_denorm_src 0
		.amdhsa_exception_fp_ieee_div_zero 0
		.amdhsa_exception_fp_ieee_overflow 0
		.amdhsa_exception_fp_ieee_underflow 0
		.amdhsa_exception_fp_ieee_inexact 0
		.amdhsa_exception_int_div_zero 0
	.end_amdhsa_kernel
	.section	.text._ZN7rocprim6detail25device_scan_by_key_kernelILNS0_25lookback_scan_determinismE0ELb1ENS0_26wrapped_scan_by_key_configINS_14default_configEi12hip_bfloat16EEPiN6hipcub22TransformInputIteratorIS5_NS8_6CastOpIS5_EEPS5_lEESC_S5_NS8_8EqualityENS8_3SumENS0_19lookback_scan_stateINS_5tupleIJS5_bEEELb1ELb1EEES5_EEvT2_T3_T4_T5_T6_T7_T8_mmmPKNSH_IJT9_bEEE,"axG",@progbits,_ZN7rocprim6detail25device_scan_by_key_kernelILNS0_25lookback_scan_determinismE0ELb1ENS0_26wrapped_scan_by_key_configINS_14default_configEi12hip_bfloat16EEPiN6hipcub22TransformInputIteratorIS5_NS8_6CastOpIS5_EEPS5_lEESC_S5_NS8_8EqualityENS8_3SumENS0_19lookback_scan_stateINS_5tupleIJS5_bEEELb1ELb1EEES5_EEvT2_T3_T4_T5_T6_T7_T8_mmmPKNSH_IJT9_bEEE,comdat
.Lfunc_end100:
	.size	_ZN7rocprim6detail25device_scan_by_key_kernelILNS0_25lookback_scan_determinismE0ELb1ENS0_26wrapped_scan_by_key_configINS_14default_configEi12hip_bfloat16EEPiN6hipcub22TransformInputIteratorIS5_NS8_6CastOpIS5_EEPS5_lEESC_S5_NS8_8EqualityENS8_3SumENS0_19lookback_scan_stateINS_5tupleIJS5_bEEELb1ELb1EEES5_EEvT2_T3_T4_T5_T6_T7_T8_mmmPKNSH_IJT9_bEEE, .Lfunc_end100-_ZN7rocprim6detail25device_scan_by_key_kernelILNS0_25lookback_scan_determinismE0ELb1ENS0_26wrapped_scan_by_key_configINS_14default_configEi12hip_bfloat16EEPiN6hipcub22TransformInputIteratorIS5_NS8_6CastOpIS5_EEPS5_lEESC_S5_NS8_8EqualityENS8_3SumENS0_19lookback_scan_stateINS_5tupleIJS5_bEEELb1ELb1EEES5_EEvT2_T3_T4_T5_T6_T7_T8_mmmPKNSH_IJT9_bEEE
                                        ; -- End function
	.section	.AMDGPU.csdata,"",@progbits
; Kernel info:
; codeLenInByte = 4
; NumSgprs: 6
; NumVgprs: 0
; NumAgprs: 0
; TotalNumVgprs: 0
; ScratchSize: 0
; MemoryBound: 0
; FloatMode: 240
; IeeeMode: 1
; LDSByteSize: 0 bytes/workgroup (compile time only)
; SGPRBlocks: 0
; VGPRBlocks: 0
; NumSGPRsForWavesPerEU: 6
; NumVGPRsForWavesPerEU: 1
; AccumOffset: 4
; Occupancy: 8
; WaveLimiterHint : 0
; COMPUTE_PGM_RSRC2:SCRATCH_EN: 0
; COMPUTE_PGM_RSRC2:USER_SGPR: 2
; COMPUTE_PGM_RSRC2:TRAP_HANDLER: 0
; COMPUTE_PGM_RSRC2:TGID_X_EN: 1
; COMPUTE_PGM_RSRC2:TGID_Y_EN: 0
; COMPUTE_PGM_RSRC2:TGID_Z_EN: 0
; COMPUTE_PGM_RSRC2:TIDIG_COMP_CNT: 0
; COMPUTE_PGM_RSRC3_GFX90A:ACCUM_OFFSET: 0
; COMPUTE_PGM_RSRC3_GFX90A:TG_SPLIT: 0
	.section	.text._ZN7rocprim6detail25device_scan_by_key_kernelILNS0_25lookback_scan_determinismE0ELb1ENS0_26wrapped_scan_by_key_configINS_14default_configEi12hip_bfloat16EEPiN6hipcub22TransformInputIteratorIS5_NS8_6CastOpIS5_EEPS5_lEESC_S5_NS8_8EqualityENS8_3SumENS0_19lookback_scan_stateINS_5tupleIJS5_bEEELb0ELb1EEES5_EEvT2_T3_T4_T5_T6_T7_T8_mmmPKNSH_IJT9_bEEE,"axG",@progbits,_ZN7rocprim6detail25device_scan_by_key_kernelILNS0_25lookback_scan_determinismE0ELb1ENS0_26wrapped_scan_by_key_configINS_14default_configEi12hip_bfloat16EEPiN6hipcub22TransformInputIteratorIS5_NS8_6CastOpIS5_EEPS5_lEESC_S5_NS8_8EqualityENS8_3SumENS0_19lookback_scan_stateINS_5tupleIJS5_bEEELb0ELb1EEES5_EEvT2_T3_T4_T5_T6_T7_T8_mmmPKNSH_IJT9_bEEE,comdat
	.protected	_ZN7rocprim6detail25device_scan_by_key_kernelILNS0_25lookback_scan_determinismE0ELb1ENS0_26wrapped_scan_by_key_configINS_14default_configEi12hip_bfloat16EEPiN6hipcub22TransformInputIteratorIS5_NS8_6CastOpIS5_EEPS5_lEESC_S5_NS8_8EqualityENS8_3SumENS0_19lookback_scan_stateINS_5tupleIJS5_bEEELb0ELb1EEES5_EEvT2_T3_T4_T5_T6_T7_T8_mmmPKNSH_IJT9_bEEE ; -- Begin function _ZN7rocprim6detail25device_scan_by_key_kernelILNS0_25lookback_scan_determinismE0ELb1ENS0_26wrapped_scan_by_key_configINS_14default_configEi12hip_bfloat16EEPiN6hipcub22TransformInputIteratorIS5_NS8_6CastOpIS5_EEPS5_lEESC_S5_NS8_8EqualityENS8_3SumENS0_19lookback_scan_stateINS_5tupleIJS5_bEEELb0ELb1EEES5_EEvT2_T3_T4_T5_T6_T7_T8_mmmPKNSH_IJT9_bEEE
	.globl	_ZN7rocprim6detail25device_scan_by_key_kernelILNS0_25lookback_scan_determinismE0ELb1ENS0_26wrapped_scan_by_key_configINS_14default_configEi12hip_bfloat16EEPiN6hipcub22TransformInputIteratorIS5_NS8_6CastOpIS5_EEPS5_lEESC_S5_NS8_8EqualityENS8_3SumENS0_19lookback_scan_stateINS_5tupleIJS5_bEEELb0ELb1EEES5_EEvT2_T3_T4_T5_T6_T7_T8_mmmPKNSH_IJT9_bEEE
	.p2align	8
	.type	_ZN7rocprim6detail25device_scan_by_key_kernelILNS0_25lookback_scan_determinismE0ELb1ENS0_26wrapped_scan_by_key_configINS_14default_configEi12hip_bfloat16EEPiN6hipcub22TransformInputIteratorIS5_NS8_6CastOpIS5_EEPS5_lEESC_S5_NS8_8EqualityENS8_3SumENS0_19lookback_scan_stateINS_5tupleIJS5_bEEELb0ELb1EEES5_EEvT2_T3_T4_T5_T6_T7_T8_mmmPKNSH_IJT9_bEEE,@function
_ZN7rocprim6detail25device_scan_by_key_kernelILNS0_25lookback_scan_determinismE0ELb1ENS0_26wrapped_scan_by_key_configINS_14default_configEi12hip_bfloat16EEPiN6hipcub22TransformInputIteratorIS5_NS8_6CastOpIS5_EEPS5_lEESC_S5_NS8_8EqualityENS8_3SumENS0_19lookback_scan_stateINS_5tupleIJS5_bEEELb0ELb1EEES5_EEvT2_T3_T4_T5_T6_T7_T8_mmmPKNSH_IJT9_bEEE: ; @_ZN7rocprim6detail25device_scan_by_key_kernelILNS0_25lookback_scan_determinismE0ELb1ENS0_26wrapped_scan_by_key_configINS_14default_configEi12hip_bfloat16EEPiN6hipcub22TransformInputIteratorIS5_NS8_6CastOpIS5_EEPS5_lEESC_S5_NS8_8EqualityENS8_3SumENS0_19lookback_scan_stateINS_5tupleIJS5_bEEELb0ELb1EEES5_EEvT2_T3_T4_T5_T6_T7_T8_mmmPKNSH_IJT9_bEEE
; %bb.0:
	s_load_dwordx4 s[4:7], s[0:1], 0x0
	s_load_dword s76, s[0:1], 0x20
	s_load_dwordx8 s[56:63], s[0:1], 0x28
	s_load_dwordx2 s[66:67], s[0:1], 0x48
	s_mul_i32 s8, s2, 0x1800
	s_mov_b32 s9, 0
	s_lshl_b64 s[10:11], s[8:9], 2
	s_waitcnt lgkmcnt(0)
	s_add_u32 s70, s4, s10
	s_addc_u32 s71, s5, s11
	s_lshl_b64 s[64:65], s[8:9], 1
	s_add_u32 s68, s6, s64
	s_addc_u32 s69, s7, s65
	s_add_u32 s4, s2, s60
	s_addc_u32 s5, 0, s61
	s_add_u32 s8, s62, -1
	s_addc_u32 s9, s63, -1
	v_mov_b64_e32 v[2:3], s[8:9]
	v_cmp_ge_u64_e64 s[54:55], s[4:5], v[2:3]
	s_mov_b64 s[6:7], -1
	s_and_b64 vcc, exec, s[54:55]
	s_mul_i32 s33, s8, 0xffffe800
	s_cbranch_vccz .LBB101_126
; %bb.1:
	s_load_dword s59, s[70:71], 0x0
	s_add_i32 s3, s33, s58
	v_mov_b32_e32 v27, 0
	v_lshlrev_b32_e32 v26, 2, v0
	v_lshl_add_u64 v[2:3], s[70:71], 0, v[26:27]
	v_cmp_gt_u32_e64 s[4:5], s3, v0
	s_waitcnt lgkmcnt(0)
	v_mov_b32_e32 v1, s59
	s_and_saveexec_b64 s[6:7], s[4:5]
	s_cbranch_execz .LBB101_3
; %bb.2:
	global_load_dword v1, v[2:3], off
.LBB101_3:
	s_or_b64 exec, exec, s[6:7]
	v_or_b32_e32 v4, 0x100, v0
	v_cmp_gt_u32_e64 s[6:7], s3, v4
	v_mov_b32_e32 v4, s59
	s_and_saveexec_b64 s[8:9], s[6:7]
	s_cbranch_execz .LBB101_5
; %bb.4:
	global_load_dword v4, v[2:3], off offset:1024
.LBB101_5:
	s_or_b64 exec, exec, s[8:9]
	v_or_b32_e32 v5, 0x200, v0
	v_cmp_gt_u32_e64 s[8:9], s3, v5
	v_mov_b32_e32 v5, s59
	s_and_saveexec_b64 s[10:11], s[8:9]
	s_cbranch_execz .LBB101_7
; %bb.6:
	global_load_dword v5, v[2:3], off offset:2048
.LBB101_7:
	;; [unrolled: 9-line block ×3, first 2 shown]
	s_or_b64 exec, exec, s[12:13]
	v_or_b32_e32 v7, 0x400, v0
	v_cmp_gt_u32_e64 s[12:13], s3, v7
	v_mov_b32_e32 v7, s59
	s_and_saveexec_b64 s[14:15], s[12:13]
	s_cbranch_execz .LBB101_11
; %bb.10:
	v_add_co_u32_e32 v8, vcc, 0x1000, v2
	s_nop 1
	v_addc_co_u32_e32 v9, vcc, 0, v3, vcc
	global_load_dword v7, v[8:9], off
.LBB101_11:
	s_or_b64 exec, exec, s[14:15]
	v_or_b32_e32 v8, 0x500, v0
	v_cmp_gt_u32_e64 s[14:15], s3, v8
	v_mov_b32_e32 v8, s59
	s_and_saveexec_b64 s[16:17], s[14:15]
	s_cbranch_execz .LBB101_13
; %bb.12:
	v_add_co_u32_e32 v8, vcc, 0x1000, v2
	s_nop 1
	v_addc_co_u32_e32 v9, vcc, 0, v3, vcc
	global_load_dword v8, v[8:9], off offset:1024
.LBB101_13:
	s_or_b64 exec, exec, s[16:17]
	v_or_b32_e32 v9, 0x600, v0
	v_cmp_gt_u32_e64 s[16:17], s3, v9
	v_mov_b32_e32 v9, s59
	s_and_saveexec_b64 s[18:19], s[16:17]
	s_cbranch_execz .LBB101_15
; %bb.14:
	v_add_co_u32_e32 v10, vcc, 0x1000, v2
	s_nop 1
	v_addc_co_u32_e32 v11, vcc, 0, v3, vcc
	global_load_dword v9, v[10:11], off offset:2048
.LBB101_15:
	s_or_b64 exec, exec, s[18:19]
	v_or_b32_e32 v10, 0x700, v0
	v_cmp_gt_u32_e64 s[18:19], s3, v10
	v_mov_b32_e32 v10, s59
	s_and_saveexec_b64 s[20:21], s[18:19]
	s_cbranch_execz .LBB101_17
; %bb.16:
	v_add_co_u32_e32 v10, vcc, 0x1000, v2
	s_nop 1
	v_addc_co_u32_e32 v11, vcc, 0, v3, vcc
	global_load_dword v10, v[10:11], off offset:3072
.LBB101_17:
	s_or_b64 exec, exec, s[20:21]
	v_or_b32_e32 v11, 0x800, v0
	v_cmp_gt_u32_e64 s[20:21], s3, v11
	v_mov_b32_e32 v11, s59
	s_and_saveexec_b64 s[22:23], s[20:21]
	s_cbranch_execz .LBB101_19
; %bb.18:
	v_add_co_u32_e32 v12, vcc, 0x2000, v2
	s_nop 1
	v_addc_co_u32_e32 v13, vcc, 0, v3, vcc
	global_load_dword v11, v[12:13], off
.LBB101_19:
	s_or_b64 exec, exec, s[22:23]
	v_or_b32_e32 v12, 0x900, v0
	v_cmp_gt_u32_e64 s[22:23], s3, v12
	v_mov_b32_e32 v12, s59
	s_and_saveexec_b64 s[24:25], s[22:23]
	s_cbranch_execz .LBB101_21
; %bb.20:
	v_add_co_u32_e32 v12, vcc, 0x2000, v2
	s_nop 1
	v_addc_co_u32_e32 v13, vcc, 0, v3, vcc
	global_load_dword v12, v[12:13], off offset:1024
.LBB101_21:
	s_or_b64 exec, exec, s[24:25]
	v_or_b32_e32 v13, 0xa00, v0
	v_cmp_gt_u32_e64 s[24:25], s3, v13
	v_mov_b32_e32 v13, s59
	s_and_saveexec_b64 s[26:27], s[24:25]
	s_cbranch_execz .LBB101_23
; %bb.22:
	v_add_co_u32_e32 v14, vcc, 0x2000, v2
	s_nop 1
	v_addc_co_u32_e32 v15, vcc, 0, v3, vcc
	global_load_dword v13, v[14:15], off offset:2048
.LBB101_23:
	s_or_b64 exec, exec, s[26:27]
	v_or_b32_e32 v14, 0xb00, v0
	v_cmp_gt_u32_e64 s[26:27], s3, v14
	v_mov_b32_e32 v14, s59
	s_and_saveexec_b64 s[28:29], s[26:27]
	s_cbranch_execz .LBB101_25
; %bb.24:
	v_add_co_u32_e32 v14, vcc, 0x2000, v2
	s_nop 1
	v_addc_co_u32_e32 v15, vcc, 0, v3, vcc
	global_load_dword v14, v[14:15], off offset:3072
.LBB101_25:
	;; [unrolled: 48-line block ×5, first 2 shown]
	s_or_b64 exec, exec, s[60:61]
	s_movk_i32 s59, 0x5c
	s_waitcnt vmcnt(0)
	ds_write2st64_b32 v26, v1, v4 offset1:4
	ds_write2st64_b32 v26, v5, v6 offset0:8 offset1:12
	ds_write2st64_b32 v26, v7, v8 offset0:16 offset1:20
	ds_write2st64_b32 v26, v9, v10 offset0:24 offset1:28
	ds_write2st64_b32 v26, v11, v12 offset0:32 offset1:36
	ds_write2st64_b32 v26, v13, v14 offset0:40 offset1:44
	ds_write2st64_b32 v26, v15, v16 offset0:48 offset1:52
	ds_write2st64_b32 v26, v17, v18 offset0:56 offset1:60
	ds_write2st64_b32 v26, v19, v20 offset0:64 offset1:68
	ds_write2st64_b32 v26, v21, v22 offset0:72 offset1:76
	ds_write2st64_b32 v26, v23, v24 offset0:80 offset1:84
	ds_write2st64_b32 v26, v25, v27 offset0:88 offset1:92
	v_mad_u32_u24 v1, v0, s59, v26
	s_waitcnt lgkmcnt(0)
	s_barrier
	ds_read_b128 v[22:25], v1
	ds_read_b128 v[18:21], v1 offset:16
	ds_read_b128 v[14:17], v1 offset:32
	;; [unrolled: 1-line block ×5, first 2 shown]
	s_load_dword s59, s[70:71], 0x0
	s_movk_i32 s60, 0xffa4
	v_mad_i32_i24 v1, v0, s60, v1
	s_movk_i32 s60, 0xff
	v_cmp_ne_u32_e32 vcc, s60, v0
	s_waitcnt lgkmcnt(0)
	v_mov_b32_e32 v53, s59
	ds_write_b32 v1, v22 offset:25600
	s_waitcnt lgkmcnt(0)
	s_barrier
	s_and_saveexec_b64 s[60:61], vcc
	s_cbranch_execz .LBB101_51
; %bb.50:
	ds_read_b32 v53, v26 offset:25604
.LBB101_51:
	s_or_b64 exec, exec, s[60:61]
	v_lshlrev_b32_e32 v26, 1, v0
	v_mov_b32_e32 v27, 0
	v_lshl_add_u64 v[28:29], s[68:69], 0, v[26:27]
	s_waitcnt lgkmcnt(0)
	s_barrier
	s_waitcnt lgkmcnt(0)
                                        ; implicit-def: $vgpr27
	s_and_saveexec_b64 s[60:61], s[4:5]
	s_cbranch_execz .LBB101_617
; %bb.52:
	global_load_ushort v27, v[28:29], off
	s_or_b64 exec, exec, s[60:61]
                                        ; implicit-def: $vgpr30
	s_and_saveexec_b64 s[4:5], s[6:7]
	s_cbranch_execnz .LBB101_618
.LBB101_53:
	s_or_b64 exec, exec, s[4:5]
                                        ; implicit-def: $vgpr31
	s_and_saveexec_b64 s[4:5], s[8:9]
	s_cbranch_execz .LBB101_619
.LBB101_54:
	global_load_ushort v31, v[28:29], off offset:1024
	s_or_b64 exec, exec, s[4:5]
                                        ; implicit-def: $vgpr32
	s_and_saveexec_b64 s[4:5], s[10:11]
	s_cbranch_execnz .LBB101_620
.LBB101_55:
	s_or_b64 exec, exec, s[4:5]
                                        ; implicit-def: $vgpr33
	s_and_saveexec_b64 s[4:5], s[12:13]
	s_cbranch_execz .LBB101_621
.LBB101_56:
	global_load_ushort v33, v[28:29], off offset:2048
	s_or_b64 exec, exec, s[4:5]
                                        ; implicit-def: $vgpr34
	s_and_saveexec_b64 s[4:5], s[14:15]
	s_cbranch_execnz .LBB101_622
.LBB101_57:
	s_or_b64 exec, exec, s[4:5]
                                        ; implicit-def: $vgpr35
	s_and_saveexec_b64 s[4:5], s[16:17]
	s_cbranch_execz .LBB101_623
.LBB101_58:
	global_load_ushort v35, v[28:29], off offset:3072
	s_or_b64 exec, exec, s[4:5]
                                        ; implicit-def: $vgpr36
	s_and_saveexec_b64 s[4:5], s[18:19]
	s_cbranch_execnz .LBB101_624
.LBB101_59:
	s_or_b64 exec, exec, s[4:5]
                                        ; implicit-def: $vgpr37
	s_and_saveexec_b64 s[4:5], s[20:21]
	s_cbranch_execz .LBB101_625
.LBB101_60:
	v_add_co_u32_e32 v38, vcc, 0x1000, v28
	s_nop 1
	v_addc_co_u32_e32 v39, vcc, 0, v29, vcc
	global_load_ushort v37, v[38:39], off
	s_or_b64 exec, exec, s[4:5]
                                        ; implicit-def: $vgpr38
	s_and_saveexec_b64 s[4:5], s[22:23]
	s_cbranch_execnz .LBB101_626
.LBB101_61:
	s_or_b64 exec, exec, s[4:5]
                                        ; implicit-def: $vgpr39
	s_and_saveexec_b64 s[4:5], s[24:25]
	s_cbranch_execz .LBB101_627
.LBB101_62:
	v_add_co_u32_e32 v40, vcc, 0x1000, v28
	s_nop 1
	v_addc_co_u32_e32 v41, vcc, 0, v29, vcc
	global_load_ushort v39, v[40:41], off offset:1024
	s_or_b64 exec, exec, s[4:5]
                                        ; implicit-def: $vgpr40
	s_and_saveexec_b64 s[4:5], s[26:27]
	s_cbranch_execnz .LBB101_628
.LBB101_63:
	s_or_b64 exec, exec, s[4:5]
                                        ; implicit-def: $vgpr41
	s_and_saveexec_b64 s[4:5], s[28:29]
	s_cbranch_execz .LBB101_629
.LBB101_64:
	v_add_co_u32_e32 v42, vcc, 0x1000, v28
	s_nop 1
	v_addc_co_u32_e32 v43, vcc, 0, v29, vcc
	global_load_ushort v41, v[42:43], off offset:2048
	s_or_b64 exec, exec, s[4:5]
                                        ; implicit-def: $vgpr42
	s_and_saveexec_b64 s[4:5], s[30:31]
	s_cbranch_execnz .LBB101_630
.LBB101_65:
	s_or_b64 exec, exec, s[4:5]
                                        ; implicit-def: $vgpr43
	s_and_saveexec_b64 s[4:5], s[34:35]
	s_cbranch_execz .LBB101_631
.LBB101_66:
	v_add_co_u32_e32 v44, vcc, 0x1000, v28
	s_nop 1
	v_addc_co_u32_e32 v45, vcc, 0, v29, vcc
	global_load_ushort v43, v[44:45], off offset:3072
	s_or_b64 exec, exec, s[4:5]
                                        ; implicit-def: $vgpr44
	s_and_saveexec_b64 s[4:5], s[36:37]
	s_cbranch_execnz .LBB101_632
.LBB101_67:
	s_or_b64 exec, exec, s[4:5]
                                        ; implicit-def: $vgpr45
	s_and_saveexec_b64 s[4:5], s[38:39]
	s_cbranch_execz .LBB101_633
.LBB101_68:
	v_add_co_u32_e32 v46, vcc, 0x2000, v28
	s_nop 1
	v_addc_co_u32_e32 v47, vcc, 0, v29, vcc
	global_load_ushort v45, v[46:47], off
	s_or_b64 exec, exec, s[4:5]
                                        ; implicit-def: $vgpr46
	s_and_saveexec_b64 s[4:5], s[40:41]
	s_cbranch_execnz .LBB101_634
.LBB101_69:
	s_or_b64 exec, exec, s[4:5]
                                        ; implicit-def: $vgpr47
	s_and_saveexec_b64 s[4:5], s[42:43]
	s_cbranch_execz .LBB101_635
.LBB101_70:
	v_add_co_u32_e32 v48, vcc, 0x2000, v28
	s_nop 1
	v_addc_co_u32_e32 v49, vcc, 0, v29, vcc
	global_load_ushort v47, v[48:49], off offset:1024
	s_or_b64 exec, exec, s[4:5]
                                        ; implicit-def: $vgpr48
	s_and_saveexec_b64 s[4:5], s[44:45]
	s_cbranch_execnz .LBB101_636
.LBB101_71:
	s_or_b64 exec, exec, s[4:5]
                                        ; implicit-def: $vgpr49
	s_and_saveexec_b64 s[4:5], s[46:47]
	s_cbranch_execz .LBB101_637
.LBB101_72:
	v_add_co_u32_e32 v50, vcc, 0x2000, v28
	s_nop 1
	v_addc_co_u32_e32 v51, vcc, 0, v29, vcc
	global_load_ushort v49, v[50:51], off offset:2048
	s_or_b64 exec, exec, s[4:5]
                                        ; implicit-def: $vgpr50
	s_and_saveexec_b64 s[4:5], s[48:49]
	s_cbranch_execnz .LBB101_638
.LBB101_73:
	s_or_b64 exec, exec, s[4:5]
                                        ; implicit-def: $vgpr51
	s_and_saveexec_b64 s[4:5], s[50:51]
	s_cbranch_execz .LBB101_75
.LBB101_74:
	v_add_co_u32_e32 v54, vcc, 0x2000, v28
	s_nop 1
	v_addc_co_u32_e32 v55, vcc, 0, v29, vcc
	global_load_ushort v51, v[54:55], off offset:3072
.LBB101_75:
	s_or_b64 exec, exec, s[4:5]
	v_mul_u32_u24_e32 v54, 24, v0
                                        ; implicit-def: $vgpr52
	s_and_saveexec_b64 s[4:5], s[52:53]
	s_cbranch_execz .LBB101_77
; %bb.76:
	v_add_co_u32_e32 v28, vcc, 0x2000, v28
	s_nop 1
	v_addc_co_u32_e32 v29, vcc, 0, v29, vcc
	global_load_ushort v52, v[28:29], off offset:3584
.LBB101_77:
	s_or_b64 exec, exec, s[4:5]
	s_mov_b32 s4, 0
	v_sub_u32_e32 v26, v1, v26
	s_mov_b32 s5, s4
	s_waitcnt vmcnt(0)
	ds_write_b16 v26, v27
	ds_write_b16 v26, v30 offset:512
	ds_write_b16 v26, v31 offset:1024
	;; [unrolled: 1-line block ×23, first 2 shown]
	v_cmp_gt_u32_e32 vcc, s3, v54
	s_mov_b64 s[6:7], 0
	v_mov_b64_e32 v[32:33], s[4:5]
	v_mov_b32_e32 v1, 0
	s_mov_b64 s[12:13], 0
	v_mov_b64_e32 v[34:35], s[4:5]
	v_mov_b64_e32 v[36:37], s[4:5]
	;; [unrolled: 1-line block ×10, first 2 shown]
	s_waitcnt lgkmcnt(0)
	s_barrier
	s_waitcnt lgkmcnt(0)
                                        ; implicit-def: $sgpr10_sgpr11
                                        ; implicit-def: $vgpr52
	s_and_saveexec_b64 s[8:9], vcc
	s_cbranch_execz .LBB101_125
; %bb.78:
	v_mad_u32_u24 v1, v0, 46, v26
	ds_read_u16 v1, v1
	v_mov_b32_e32 v28, s76
	v_cmp_eq_u32_e32 vcc, v22, v23
	s_mov_b32 s18, 0
	v_or_b32_e32 v27, 1, v54
	s_waitcnt lgkmcnt(0)
	v_cndmask_b32_e32 v1, v28, v1, vcc
	v_cmp_ne_u32_e32 vcc, v22, v23
	v_and_b32_e32 v1, 0xffff, v1
	v_mov_b32_e32 v30, 0
	v_cndmask_b32_e64 v22, 0, 1, vcc
	s_mov_b32 s19, s18
	v_lshl_or_b32 v31, v22, 16, v1
	v_cmp_gt_u32_e32 vcc, s3, v27
	v_mov_b64_e32 v[32:33], s[18:19]
	v_mov_b64_e32 v[34:35], s[18:19]
	v_mov_b64_e32 v[36:37], s[18:19]
	v_mov_b64_e32 v[38:39], s[18:19]
	v_mov_b64_e32 v[40:41], s[18:19]
	v_mov_b64_e32 v[42:43], s[18:19]
	v_mov_b64_e32 v[44:45], s[18:19]
	v_mov_b64_e32 v[46:47], s[18:19]
	v_mov_b64_e32 v[48:49], s[18:19]
	v_mov_b64_e32 v[50:51], s[18:19]
	v_mov_b32_e32 v1, v30
                                        ; implicit-def: $sgpr16_sgpr17
                                        ; implicit-def: $vgpr52
	s_and_saveexec_b64 s[10:11], vcc
	s_cbranch_execz .LBB101_124
; %bb.79:
	v_mul_u32_u24_e32 v1, 46, v0
	v_add_u32_e32 v22, v26, v1
	ds_read_b128 v[26:29], v22 offset:2
	v_mov_b32_e32 v30, s76
	v_cmp_eq_u32_e32 vcc, v23, v24
	v_or_b32_e32 v1, 2, v54
	v_mov_b64_e32 v[32:33], s[18:19]
	s_waitcnt lgkmcnt(0)
	v_cndmask_b32_e32 v30, v30, v26, vcc
	v_cmp_ne_u32_e32 vcc, v23, v24
	v_and_b32_e32 v30, 0xffff, v30
	s_mov_b64 s[14:15], 0
	v_cndmask_b32_e64 v23, 0, 1, vcc
	v_lshl_or_b32 v30, v23, 16, v30
	v_cmp_gt_u32_e32 vcc, s3, v1
	v_mov_b32_e32 v1, 0
	v_mov_b64_e32 v[34:35], v[32:33]
	v_mov_b64_e32 v[36:37], v[32:33]
	;; [unrolled: 1-line block ×9, first 2 shown]
                                        ; implicit-def: $sgpr18_sgpr19
                                        ; implicit-def: $vgpr52
	s_and_saveexec_b64 s[12:13], vcc
	s_cbranch_execz .LBB101_123
; %bb.80:
	v_lshrrev_b32_e32 v1, 16, v26
	v_mov_b32_e32 v26, s76
	v_cmp_eq_u32_e32 vcc, v24, v25
	s_mov_b32 s22, 0
	v_or_b32_e32 v23, 3, v54
	v_cndmask_b32_e32 v1, v26, v1, vcc
	v_cmp_ne_u32_e32 vcc, v24, v25
	v_and_b32_e32 v1, 0xffff, v1
	v_mov_b32_e32 v51, 0
	v_cndmask_b32_e64 v24, 0, 1, vcc
	s_mov_b32 s23, s22
	v_lshl_or_b32 v50, v24, 16, v1
	v_cmp_gt_u32_e32 vcc, s3, v23
	s_mov_b64 s[16:17], 0
	v_mov_b64_e32 v[32:33], s[22:23]
	v_mov_b64_e32 v[34:35], s[22:23]
	;; [unrolled: 1-line block ×9, first 2 shown]
	v_mov_b32_e32 v1, v51
                                        ; implicit-def: $sgpr20_sgpr21
                                        ; implicit-def: $vgpr52
	s_and_saveexec_b64 s[14:15], vcc
	s_cbranch_execz .LBB101_122
; %bb.81:
	v_mov_b32_e32 v23, s76
	v_cmp_eq_u32_e32 vcc, v25, v18
	v_or_b32_e32 v1, 4, v54
	v_mov_b64_e32 v[32:33], s[22:23]
	v_cndmask_b32_e32 v23, v23, v27, vcc
	v_cmp_ne_u32_e32 vcc, v25, v18
	v_and_b32_e32 v23, 0xffff, v23
	s_mov_b64 s[18:19], 0
	v_cndmask_b32_e64 v24, 0, 1, vcc
	v_lshl_or_b32 v51, v24, 16, v23
	v_cmp_gt_u32_e32 vcc, s3, v1
	v_mov_b32_e32 v1, 0
	v_mov_b64_e32 v[34:35], v[32:33]
	v_mov_b64_e32 v[36:37], v[32:33]
	v_mov_b64_e32 v[38:39], v[32:33]
	v_mov_b64_e32 v[40:41], v[32:33]
	v_mov_b64_e32 v[42:43], v[32:33]
	v_mov_b64_e32 v[44:45], v[32:33]
	v_mov_b64_e32 v[46:47], v[32:33]
	v_mov_b64_e32 v[48:49], v[32:33]
                                        ; implicit-def: $sgpr22_sgpr23
                                        ; implicit-def: $vgpr52
	s_and_saveexec_b64 s[16:17], vcc
	s_cbranch_execz .LBB101_121
; %bb.82:
	v_lshrrev_b32_e32 v1, 16, v27
	v_mov_b32_e32 v24, s76
	v_cmp_eq_u32_e32 vcc, v18, v19
	s_mov_b32 s26, 0
	v_or_b32_e32 v23, 5, v54
	v_cndmask_b32_e32 v1, v24, v1, vcc
	v_cmp_ne_u32_e32 vcc, v18, v19
	v_and_b32_e32 v1, 0xffff, v1
	v_mov_b32_e32 v49, 0
	v_cndmask_b32_e64 v18, 0, 1, vcc
	s_mov_b32 s27, s26
	v_lshl_or_b32 v48, v18, 16, v1
	v_cmp_gt_u32_e32 vcc, s3, v23
	s_mov_b64 s[20:21], 0
	v_mov_b64_e32 v[32:33], s[26:27]
	v_mov_b64_e32 v[34:35], s[26:27]
	;; [unrolled: 1-line block ×8, first 2 shown]
	v_mov_b32_e32 v1, v49
                                        ; implicit-def: $sgpr24_sgpr25
                                        ; implicit-def: $vgpr52
	s_and_saveexec_b64 s[18:19], vcc
	s_cbranch_execz .LBB101_120
; %bb.83:
	v_mov_b32_e32 v18, s76
	v_cmp_eq_u32_e32 vcc, v19, v20
	v_or_b32_e32 v1, 6, v54
	v_mov_b64_e32 v[32:33], s[26:27]
	v_cndmask_b32_e32 v18, v18, v28, vcc
	v_cmp_ne_u32_e32 vcc, v19, v20
	v_and_b32_e32 v18, 0xffff, v18
	s_mov_b64 s[22:23], 0
	v_cndmask_b32_e64 v19, 0, 1, vcc
	v_lshl_or_b32 v49, v19, 16, v18
	v_cmp_gt_u32_e32 vcc, s3, v1
	v_mov_b32_e32 v1, 0
	v_mov_b64_e32 v[34:35], v[32:33]
	v_mov_b64_e32 v[36:37], v[32:33]
	;; [unrolled: 1-line block ×7, first 2 shown]
                                        ; implicit-def: $sgpr26_sgpr27
                                        ; implicit-def: $vgpr52
	s_and_saveexec_b64 s[20:21], vcc
	s_cbranch_execz .LBB101_119
; %bb.84:
	v_lshrrev_b32_e32 v1, 16, v28
	v_mov_b32_e32 v19, s76
	v_cmp_eq_u32_e32 vcc, v20, v21
	s_mov_b32 s30, 0
	v_or_b32_e32 v18, 7, v54
	v_cndmask_b32_e32 v1, v19, v1, vcc
	v_cmp_ne_u32_e32 vcc, v20, v21
	v_and_b32_e32 v1, 0xffff, v1
	v_mov_b32_e32 v47, 0
	v_cndmask_b32_e64 v19, 0, 1, vcc
	s_mov_b32 s31, s30
	v_lshl_or_b32 v46, v19, 16, v1
	v_cmp_gt_u32_e32 vcc, s3, v18
	s_mov_b64 s[24:25], 0
	v_mov_b64_e32 v[32:33], s[30:31]
	v_mov_b64_e32 v[34:35], s[30:31]
	;; [unrolled: 1-line block ×7, first 2 shown]
	v_mov_b32_e32 v1, v47
                                        ; implicit-def: $sgpr28_sgpr29
                                        ; implicit-def: $vgpr52
	s_and_saveexec_b64 s[22:23], vcc
	s_cbranch_execz .LBB101_118
; %bb.85:
	v_mov_b32_e32 v18, s76
	v_cmp_eq_u32_e32 vcc, v21, v14
	v_add_u32_e32 v1, 8, v54
	v_mov_b64_e32 v[32:33], s[30:31]
	v_cndmask_b32_e32 v18, v18, v29, vcc
	v_cmp_ne_u32_e32 vcc, v21, v14
	v_and_b32_e32 v18, 0xffff, v18
	s_mov_b64 s[26:27], 0
	v_cndmask_b32_e64 v19, 0, 1, vcc
	v_lshl_or_b32 v47, v19, 16, v18
	v_cmp_gt_u32_e32 vcc, s3, v1
	v_mov_b32_e32 v1, 0
	v_mov_b64_e32 v[34:35], v[32:33]
	v_mov_b64_e32 v[36:37], v[32:33]
	;; [unrolled: 1-line block ×6, first 2 shown]
                                        ; implicit-def: $sgpr30_sgpr31
                                        ; implicit-def: $vgpr52
	s_and_saveexec_b64 s[24:25], vcc
	s_cbranch_execz .LBB101_117
; %bb.86:
	v_lshrrev_b32_e32 v1, 16, v29
	v_mov_b32_e32 v19, s76
	v_cmp_eq_u32_e32 vcc, v14, v15
	s_mov_b32 s36, 0
	v_add_u32_e32 v18, 9, v54
	v_cndmask_b32_e32 v1, v19, v1, vcc
	v_cmp_ne_u32_e32 vcc, v14, v15
	v_and_b32_e32 v1, 0xffff, v1
	v_mov_b32_e32 v45, 0
	v_cndmask_b32_e64 v14, 0, 1, vcc
	s_mov_b32 s37, s36
	v_lshl_or_b32 v44, v14, 16, v1
	v_cmp_gt_u32_e32 vcc, s3, v18
	s_mov_b64 s[28:29], 0
	v_mov_b64_e32 v[32:33], s[36:37]
	v_mov_b64_e32 v[34:35], s[36:37]
	;; [unrolled: 1-line block ×6, first 2 shown]
	v_mov_b32_e32 v1, v45
                                        ; implicit-def: $sgpr34_sgpr35
                                        ; implicit-def: $vgpr52
	s_and_saveexec_b64 s[26:27], vcc
	s_cbranch_execz .LBB101_116
; %bb.87:
	ds_read_b128 v[18:21], v22 offset:18
	v_mov_b32_e32 v14, s76
	v_cmp_eq_u32_e32 vcc, v15, v16
	v_add_u32_e32 v1, 10, v54
	v_mov_b64_e32 v[32:33], s[36:37]
	s_waitcnt lgkmcnt(0)
	v_cndmask_b32_e32 v14, v14, v18, vcc
	v_cmp_ne_u32_e32 vcc, v15, v16
	v_and_b32_e32 v14, 0xffff, v14
	s_mov_b64 s[30:31], 0
	v_cndmask_b32_e64 v15, 0, 1, vcc
	v_lshl_or_b32 v45, v15, 16, v14
	v_cmp_gt_u32_e32 vcc, s3, v1
	v_mov_b32_e32 v1, 0
	v_mov_b64_e32 v[34:35], v[32:33]
	v_mov_b64_e32 v[36:37], v[32:33]
	v_mov_b64_e32 v[38:39], v[32:33]
	v_mov_b64_e32 v[40:41], v[32:33]
	v_mov_b64_e32 v[42:43], v[32:33]
                                        ; implicit-def: $sgpr36_sgpr37
                                        ; implicit-def: $vgpr52
	s_and_saveexec_b64 s[28:29], vcc
	s_cbranch_execz .LBB101_115
; %bb.88:
	v_lshrrev_b32_e32 v1, 16, v18
	v_mov_b32_e32 v15, s76
	v_cmp_eq_u32_e32 vcc, v16, v17
	s_mov_b32 s40, 0
	v_add_u32_e32 v14, 11, v54
	v_cndmask_b32_e32 v1, v15, v1, vcc
	v_cmp_ne_u32_e32 vcc, v16, v17
	v_and_b32_e32 v1, 0xffff, v1
	v_mov_b32_e32 v43, 0
	v_cndmask_b32_e64 v15, 0, 1, vcc
	s_mov_b32 s41, s40
	v_lshl_or_b32 v42, v15, 16, v1
	v_cmp_gt_u32_e32 vcc, s3, v14
	s_mov_b64 s[34:35], 0
	v_mov_b64_e32 v[32:33], s[40:41]
	v_mov_b64_e32 v[34:35], s[40:41]
	;; [unrolled: 1-line block ×5, first 2 shown]
	v_mov_b32_e32 v1, v43
                                        ; implicit-def: $sgpr38_sgpr39
                                        ; implicit-def: $vgpr52
	s_and_saveexec_b64 s[30:31], vcc
	s_cbranch_execz .LBB101_114
; %bb.89:
	v_mov_b32_e32 v14, s76
	v_cmp_eq_u32_e32 vcc, v17, v10
	v_add_u32_e32 v1, 12, v54
	v_mov_b64_e32 v[32:33], s[40:41]
	v_cndmask_b32_e32 v14, v14, v19, vcc
	v_cmp_ne_u32_e32 vcc, v17, v10
	v_and_b32_e32 v14, 0xffff, v14
	s_mov_b64 s[36:37], 0
	v_cndmask_b32_e64 v15, 0, 1, vcc
	v_lshl_or_b32 v43, v15, 16, v14
	v_cmp_gt_u32_e32 vcc, s3, v1
	v_mov_b32_e32 v1, 0
	v_mov_b64_e32 v[34:35], v[32:33]
	v_mov_b64_e32 v[36:37], v[32:33]
	;; [unrolled: 1-line block ×4, first 2 shown]
                                        ; implicit-def: $sgpr40_sgpr41
                                        ; implicit-def: $vgpr52
	s_and_saveexec_b64 s[34:35], vcc
	s_cbranch_execz .LBB101_113
; %bb.90:
	v_lshrrev_b32_e32 v1, 16, v19
	v_mov_b32_e32 v15, s76
	v_cmp_eq_u32_e32 vcc, v10, v11
	s_mov_b32 s44, 0
	v_add_u32_e32 v14, 13, v54
	v_cndmask_b32_e32 v1, v15, v1, vcc
	v_cmp_ne_u32_e32 vcc, v10, v11
	v_and_b32_e32 v1, 0xffff, v1
	v_mov_b32_e32 v41, 0
	v_cndmask_b32_e64 v10, 0, 1, vcc
	s_mov_b32 s45, s44
	v_lshl_or_b32 v40, v10, 16, v1
	v_cmp_gt_u32_e32 vcc, s3, v14
	s_mov_b64 s[38:39], 0
	v_mov_b64_e32 v[32:33], s[44:45]
	v_mov_b64_e32 v[34:35], s[44:45]
	;; [unrolled: 1-line block ×4, first 2 shown]
	v_mov_b32_e32 v1, v41
                                        ; implicit-def: $sgpr42_sgpr43
                                        ; implicit-def: $vgpr52
	s_and_saveexec_b64 s[36:37], vcc
	s_cbranch_execz .LBB101_112
; %bb.91:
	v_mov_b32_e32 v10, s76
	v_cmp_eq_u32_e32 vcc, v11, v12
	v_add_u32_e32 v1, 14, v54
	v_mov_b64_e32 v[32:33], s[44:45]
	v_cndmask_b32_e32 v10, v10, v20, vcc
	v_cmp_ne_u32_e32 vcc, v11, v12
	v_and_b32_e32 v10, 0xffff, v10
	s_mov_b64 s[40:41], 0
	v_cndmask_b32_e64 v11, 0, 1, vcc
	v_lshl_or_b32 v41, v11, 16, v10
	v_cmp_gt_u32_e32 vcc, s3, v1
	v_mov_b32_e32 v1, 0
	v_mov_b64_e32 v[34:35], v[32:33]
	v_mov_b64_e32 v[36:37], v[32:33]
	;; [unrolled: 1-line block ×3, first 2 shown]
                                        ; implicit-def: $sgpr44_sgpr45
                                        ; implicit-def: $vgpr52
	s_and_saveexec_b64 s[38:39], vcc
	s_cbranch_execz .LBB101_111
; %bb.92:
	v_lshrrev_b32_e32 v1, 16, v20
	v_mov_b32_e32 v11, s76
	v_cmp_eq_u32_e32 vcc, v12, v13
	s_mov_b32 s48, 0
	v_add_u32_e32 v10, 15, v54
	v_cndmask_b32_e32 v1, v11, v1, vcc
	v_cmp_ne_u32_e32 vcc, v12, v13
	v_and_b32_e32 v1, 0xffff, v1
	v_mov_b32_e32 v39, 0
	v_cndmask_b32_e64 v11, 0, 1, vcc
	s_mov_b32 s49, s48
	v_lshl_or_b32 v38, v11, 16, v1
	v_cmp_gt_u32_e32 vcc, s3, v10
	s_mov_b64 s[42:43], 0
	v_mov_b64_e32 v[32:33], s[48:49]
	v_mov_b64_e32 v[34:35], s[48:49]
	;; [unrolled: 1-line block ×3, first 2 shown]
	v_mov_b32_e32 v1, v39
                                        ; implicit-def: $sgpr46_sgpr47
                                        ; implicit-def: $vgpr52
	s_and_saveexec_b64 s[40:41], vcc
	s_cbranch_execz .LBB101_110
; %bb.93:
	v_mov_b32_e32 v10, s76
	v_cmp_eq_u32_e32 vcc, v13, v6
	v_add_u32_e32 v1, 16, v54
	v_mov_b64_e32 v[32:33], s[48:49]
	v_cndmask_b32_e32 v10, v10, v21, vcc
	v_cmp_ne_u32_e32 vcc, v13, v6
	v_and_b32_e32 v10, 0xffff, v10
	s_mov_b64 s[44:45], 0
	v_cndmask_b32_e64 v11, 0, 1, vcc
	v_lshl_or_b32 v39, v11, 16, v10
	v_cmp_gt_u32_e32 vcc, s3, v1
	v_mov_b32_e32 v1, 0
	v_mov_b64_e32 v[34:35], v[32:33]
	v_mov_b64_e32 v[36:37], v[32:33]
                                        ; implicit-def: $sgpr48_sgpr49
                                        ; implicit-def: $vgpr52
	s_and_saveexec_b64 s[42:43], vcc
	s_cbranch_execz .LBB101_109
; %bb.94:
	v_lshrrev_b32_e32 v1, 16, v21
	v_mov_b32_e32 v11, s76
	v_cmp_eq_u32_e32 vcc, v6, v7
	s_mov_b32 s52, 0
	v_add_u32_e32 v10, 17, v54
	v_cndmask_b32_e32 v1, v11, v1, vcc
	v_cmp_ne_u32_e32 vcc, v6, v7
	v_and_b32_e32 v1, 0xffff, v1
	v_mov_b32_e32 v37, 0
	v_cndmask_b32_e64 v6, 0, 1, vcc
	s_mov_b32 s53, s52
	v_lshl_or_b32 v36, v6, 16, v1
	v_cmp_gt_u32_e32 vcc, s3, v10
	s_mov_b64 s[46:47], 0
	v_mov_b64_e32 v[32:33], s[52:53]
	v_mov_b64_e32 v[34:35], s[52:53]
	v_mov_b32_e32 v1, v37
                                        ; implicit-def: $sgpr50_sgpr51
                                        ; implicit-def: $vgpr52
	s_and_saveexec_b64 s[44:45], vcc
	s_cbranch_execz .LBB101_108
; %bb.95:
	ds_read_b96 v[10:12], v22 offset:34
	v_mov_b32_e32 v6, s76
	v_cmp_eq_u32_e32 vcc, v7, v8
	v_add_u32_e32 v1, 18, v54
	v_mov_b64_e32 v[32:33], s[52:53]
	s_waitcnt lgkmcnt(0)
	v_cndmask_b32_e32 v6, v6, v10, vcc
	v_cmp_ne_u32_e32 vcc, v7, v8
	v_and_b32_e32 v6, 0xffff, v6
	s_mov_b64 s[48:49], 0
	v_cndmask_b32_e64 v7, 0, 1, vcc
	v_lshl_or_b32 v37, v7, 16, v6
	v_cmp_gt_u32_e32 vcc, s3, v1
	v_mov_b32_e32 v1, 0
	v_mov_b64_e32 v[34:35], v[32:33]
                                        ; implicit-def: $sgpr52_sgpr53
                                        ; implicit-def: $vgpr52
	s_and_saveexec_b64 s[46:47], vcc
	s_cbranch_execz .LBB101_107
; %bb.96:
	v_lshrrev_b32_e32 v1, 16, v10
	v_mov_b32_e32 v7, s76
	v_cmp_eq_u32_e32 vcc, v8, v9
	s_mov_b32 s62, 0
	v_add_u32_e32 v6, 19, v54
	v_cndmask_b32_e32 v1, v7, v1, vcc
	v_cmp_ne_u32_e32 vcc, v8, v9
	v_and_b32_e32 v1, 0xffff, v1
	v_mov_b32_e32 v35, 0
	v_cndmask_b32_e64 v7, 0, 1, vcc
	s_mov_b32 s63, s62
	v_lshl_or_b32 v34, v7, 16, v1
	v_cmp_gt_u32_e32 vcc, s3, v6
	s_mov_b64 s[50:51], 0
	v_mov_b64_e32 v[32:33], s[62:63]
	v_mov_b32_e32 v1, v35
                                        ; implicit-def: $sgpr60_sgpr61
                                        ; implicit-def: $vgpr52
	s_and_saveexec_b64 s[48:49], vcc
	s_cbranch_execz .LBB101_106
; %bb.97:
	v_mov_b32_e32 v6, s76
	v_cmp_eq_u32_e32 vcc, v9, v2
	v_add_u32_e32 v1, 20, v54
	s_mov_b64 s[52:53], 0
	v_cndmask_b32_e32 v6, v6, v11, vcc
	v_cmp_ne_u32_e32 vcc, v9, v2
	v_and_b32_e32 v6, 0xffff, v6
	v_mov_b64_e32 v[32:33], s[62:63]
	v_cndmask_b32_e64 v7, 0, 1, vcc
	v_lshl_or_b32 v35, v7, 16, v6
	v_cmp_gt_u32_e32 vcc, s3, v1
	v_mov_b32_e32 v1, 0
                                        ; implicit-def: $sgpr62_sgpr63
                                        ; implicit-def: $vgpr52
	s_and_saveexec_b64 s[50:51], vcc
	s_cbranch_execz .LBB101_105
; %bb.98:
	v_lshrrev_b32_e32 v1, 16, v11
	v_mov_b32_e32 v7, s76
	v_cmp_eq_u32_e32 vcc, v2, v3
	v_add_u32_e32 v6, 21, v54
	v_mov_b32_e32 v33, 0
	v_cndmask_b32_e32 v1, v7, v1, vcc
	v_cmp_ne_u32_e32 vcc, v2, v3
	v_and_b32_e32 v1, 0xffff, v1
	s_mov_b64 s[60:61], 0
	v_cndmask_b32_e64 v2, 0, 1, vcc
	v_lshl_or_b32 v32, v2, 16, v1
	v_cmp_gt_u32_e32 vcc, s3, v6
	v_mov_b32_e32 v1, v33
                                        ; implicit-def: $sgpr62_sgpr63
                                        ; implicit-def: $vgpr52
	s_and_saveexec_b64 s[52:53], vcc
	s_cbranch_execz .LBB101_104
; %bb.99:
	v_mov_b32_e32 v2, s76
	v_cmp_eq_u32_e32 vcc, v3, v4
	v_add_u32_e32 v1, 22, v54
	s_mov_b64 s[72:73], 0
	v_cndmask_b32_e32 v2, v2, v12, vcc
	v_cmp_ne_u32_e32 vcc, v3, v4
	v_and_b32_e32 v2, 0xffff, v2
                                        ; implicit-def: $sgpr74_sgpr75
                                        ; implicit-def: $vgpr52
	s_nop 0
	v_cndmask_b32_e64 v3, 0, 1, vcc
	v_lshl_or_b32 v33, v3, 16, v2
	v_cmp_gt_u32_e32 vcc, s3, v1
	v_mov_b32_e32 v1, 0
	s_and_saveexec_b64 s[60:61], vcc
	s_cbranch_execz .LBB101_103
; %bb.100:
	v_lshrrev_b32_e32 v1, 16, v12
	v_mov_b32_e32 v3, s76
	v_cmp_eq_u32_e32 vcc, v4, v5
	v_add_u32_e32 v2, 23, v54
	s_mov_b64 s[62:63], 0
	v_cndmask_b32_e32 v1, v3, v1, vcc
	v_cmp_ne_u32_e32 vcc, v4, v5
	v_and_b32_e32 v1, 0xffff, v1
                                        ; implicit-def: $sgpr72_sgpr73
                                        ; implicit-def: $vgpr52
	s_nop 0
	v_cndmask_b32_e64 v3, 0, 1, vcc
	v_lshl_or_b32 v1, v3, 16, v1
	v_cmp_gt_u32_e32 vcc, s3, v2
	s_and_saveexec_b64 s[74:75], vcc
	s_xor_b64 s[74:75], exec, s[74:75]
	s_cbranch_execz .LBB101_102
; %bb.101:
	ds_read_u16 v2, v22 offset:46
	v_mov_b32_e32 v3, s76
	v_cmp_ne_u32_e32 vcc, v5, v53
	s_mov_b64 s[62:63], exec
	s_and_b64 s[72:73], vcc, exec
	s_waitcnt lgkmcnt(0)
	v_cndmask_b32_e32 v52, v2, v3, vcc
.LBB101_102:
	s_or_b64 exec, exec, s[74:75]
	s_and_b64 s[74:75], s[72:73], exec
	s_and_b64 s[72:73], s[62:63], exec
.LBB101_103:
	s_or_b64 exec, exec, s[60:61]
	s_and_b64 s[62:63], s[74:75], exec
	s_and_b64 s[60:61], s[72:73], exec
.LBB101_104:
	s_or_b64 exec, exec, s[52:53]
	s_and_b64 s[62:63], s[62:63], exec
	s_and_b64 s[52:53], s[60:61], exec
.LBB101_105:
	s_or_b64 exec, exec, s[50:51]
	s_and_b64 s[60:61], s[62:63], exec
	s_and_b64 s[50:51], s[52:53], exec
.LBB101_106:
	s_or_b64 exec, exec, s[48:49]
	s_and_b64 s[52:53], s[60:61], exec
	s_and_b64 s[48:49], s[50:51], exec
.LBB101_107:
	s_or_b64 exec, exec, s[46:47]
	s_and_b64 s[50:51], s[52:53], exec
	s_and_b64 s[46:47], s[48:49], exec
.LBB101_108:
	s_or_b64 exec, exec, s[44:45]
	s_and_b64 s[48:49], s[50:51], exec
	s_and_b64 s[44:45], s[46:47], exec
.LBB101_109:
	s_or_b64 exec, exec, s[42:43]
	s_and_b64 s[46:47], s[48:49], exec
	s_and_b64 s[42:43], s[44:45], exec
.LBB101_110:
	s_or_b64 exec, exec, s[40:41]
	s_and_b64 s[44:45], s[46:47], exec
	s_and_b64 s[40:41], s[42:43], exec
.LBB101_111:
	s_or_b64 exec, exec, s[38:39]
	s_and_b64 s[42:43], s[44:45], exec
	s_and_b64 s[38:39], s[40:41], exec
.LBB101_112:
	s_or_b64 exec, exec, s[36:37]
	s_and_b64 s[40:41], s[42:43], exec
	s_and_b64 s[36:37], s[38:39], exec
.LBB101_113:
	s_or_b64 exec, exec, s[34:35]
	s_and_b64 s[38:39], s[40:41], exec
	s_and_b64 s[34:35], s[36:37], exec
.LBB101_114:
	s_or_b64 exec, exec, s[30:31]
	s_and_b64 s[36:37], s[38:39], exec
	s_and_b64 s[30:31], s[34:35], exec
.LBB101_115:
	s_or_b64 exec, exec, s[28:29]
	s_and_b64 s[34:35], s[36:37], exec
	s_and_b64 s[28:29], s[30:31], exec
.LBB101_116:
	s_or_b64 exec, exec, s[26:27]
	s_and_b64 s[30:31], s[34:35], exec
	s_and_b64 s[26:27], s[28:29], exec
.LBB101_117:
	s_or_b64 exec, exec, s[24:25]
	s_and_b64 s[28:29], s[30:31], exec
	s_and_b64 s[24:25], s[26:27], exec
.LBB101_118:
	s_or_b64 exec, exec, s[22:23]
	s_and_b64 s[26:27], s[28:29], exec
	s_and_b64 s[22:23], s[24:25], exec
.LBB101_119:
	s_or_b64 exec, exec, s[20:21]
	s_and_b64 s[24:25], s[26:27], exec
	s_and_b64 s[20:21], s[22:23], exec
.LBB101_120:
	s_or_b64 exec, exec, s[18:19]
	s_and_b64 s[22:23], s[24:25], exec
	s_and_b64 s[18:19], s[20:21], exec
.LBB101_121:
	s_or_b64 exec, exec, s[16:17]
	s_and_b64 s[20:21], s[22:23], exec
	s_and_b64 s[16:17], s[18:19], exec
.LBB101_122:
	s_or_b64 exec, exec, s[14:15]
	s_and_b64 s[18:19], s[20:21], exec
	s_and_b64 s[14:15], s[16:17], exec
.LBB101_123:
	s_or_b64 exec, exec, s[12:13]
	s_and_b64 s[16:17], s[18:19], exec
	s_and_b64 s[12:13], s[14:15], exec
.LBB101_124:
	s_or_b64 exec, exec, s[10:11]
	s_and_b64 s[10:11], s[16:17], exec
	s_and_b64 s[12:13], s[12:13], exec
.LBB101_125:
	s_or_b64 exec, exec, s[8:9]
	s_and_b64 vcc, exec, s[6:7]
	s_cbranch_vccnz .LBB101_127
	s_branch .LBB101_132
.LBB101_126:
	s_mov_b64 s[12:13], 0
                                        ; implicit-def: $sgpr10_sgpr11
                                        ; implicit-def: $vgpr32_vgpr33
                                        ; implicit-def: $vgpr34_vgpr35
                                        ; implicit-def: $vgpr36_vgpr37
                                        ; implicit-def: $vgpr38_vgpr39
                                        ; implicit-def: $vgpr40_vgpr41
                                        ; implicit-def: $vgpr42_vgpr43
                                        ; implicit-def: $vgpr44_vgpr45
                                        ; implicit-def: $vgpr46_vgpr47
                                        ; implicit-def: $vgpr48_vgpr49
                                        ; implicit-def: $vgpr50_vgpr51
                                        ; implicit-def: $vgpr30_vgpr31
                                        ; implicit-def: $vgpr1
                                        ; implicit-def: $vgpr52
                                        ; implicit-def: $sgpr4
	s_and_b64 vcc, exec, s[6:7]
	s_cbranch_vccz .LBB101_132
.LBB101_127:
	v_mov_b32_e32 v27, 0
	v_lshlrev_b32_e32 v26, 2, v0
	v_lshl_add_u64 v[2:3], s[70:71], 0, v[26:27]
	v_add_co_u32_e32 v4, vcc, 0x1000, v2
	global_load_dword v8, v26, s[70:71]
	global_load_dword v9, v26, s[70:71] offset:1024
	global_load_dword v10, v26, s[70:71] offset:2048
	;; [unrolled: 1-line block ×3, first 2 shown]
	v_addc_co_u32_e32 v5, vcc, 0, v3, vcc
	v_add_co_u32_e32 v6, vcc, 0x2000, v2
	s_movk_i32 s4, 0x5c
	s_nop 0
	v_addc_co_u32_e32 v7, vcc, 0, v3, vcc
	global_load_dword v12, v[4:5], off
	global_load_dword v13, v[4:5], off offset:1024
	global_load_dword v14, v[4:5], off offset:2048
	;; [unrolled: 1-line block ×3, first 2 shown]
	global_load_dword v16, v[6:7], off
	global_load_dword v17, v[6:7], off offset:1024
	global_load_dword v18, v[6:7], off offset:2048
	;; [unrolled: 1-line block ×3, first 2 shown]
	v_add_co_u32_e32 v4, vcc, 0x3000, v2
	s_movk_i32 s5, 0xffa4
	s_nop 0
	v_addc_co_u32_e32 v5, vcc, 0, v3, vcc
	v_add_co_u32_e32 v6, vcc, 0x4000, v2
	s_movk_i32 s7, 0xff
	s_nop 0
	v_addc_co_u32_e32 v7, vcc, 0, v3, vcc
	v_add_co_u32_e32 v2, vcc, 0x5000, v2
	global_load_dword v20, v[4:5], off
	global_load_dword v21, v[4:5], off offset:1024
	global_load_dword v22, v[4:5], off offset:2048
	;; [unrolled: 1-line block ×3, first 2 shown]
	global_load_dword v24, v[6:7], off
	global_load_dword v25, v[6:7], off offset:1024
	global_load_dword v28, v[6:7], off offset:2048
	;; [unrolled: 1-line block ×3, first 2 shown]
	v_addc_co_u32_e32 v3, vcc, 0, v3, vcc
	global_load_dword v4, v[2:3], off
	global_load_dword v5, v[2:3], off offset:1024
	global_load_dword v6, v[2:3], off offset:2048
	;; [unrolled: 1-line block ×3, first 2 shown]
	v_mad_u32_u24 v2, v0, s4, v26
	v_mad_i32_i24 v1, v0, s5, v2
	s_movk_i32 s6, 0x1000
	s_movk_i32 s3, 0x2000
	v_cmp_ne_u32_e32 vcc, s7, v0
	s_waitcnt vmcnt(22)
	ds_write2st64_b32 v26, v8, v9 offset1:4
	s_waitcnt vmcnt(20)
	ds_write2st64_b32 v26, v10, v11 offset0:8 offset1:12
	s_waitcnt vmcnt(18)
	ds_write2st64_b32 v26, v12, v13 offset0:16 offset1:20
	;; [unrolled: 2-line block ×11, first 2 shown]
	s_waitcnt lgkmcnt(0)
	s_barrier
	ds_read_b128 v[22:25], v2
	ds_read_b128 v[18:21], v2 offset:16
	ds_read_b128 v[14:17], v2 offset:32
	;; [unrolled: 1-line block ×5, first 2 shown]
	s_load_dword s4, s[70:71], 0x6000
	s_waitcnt lgkmcnt(0)
	ds_write_b32 v1, v22 offset:25600
	s_waitcnt lgkmcnt(0)
	s_barrier
	v_mov_b32_e32 v52, s4
	s_and_saveexec_b64 s[4:5], vcc
	s_cbranch_execz .LBB101_129
; %bb.128:
	ds_read_b32 v52, v26 offset:25604
.LBB101_129:
	s_or_b64 exec, exec, s[4:5]
	v_lshlrev_b32_e32 v26, 1, v0
	v_lshl_add_u64 v[28:29], s[68:69], 0, v[26:27]
	v_add_co_u32_e32 v30, vcc, s6, v28
	s_waitcnt lgkmcnt(0)
	s_nop 0
	v_addc_co_u32_e32 v31, vcc, 0, v29, vcc
	v_add_co_u32_e32 v28, vcc, s3, v28
	s_barrier
	global_load_ushort v27, v26, s[68:69]
	v_addc_co_u32_e32 v29, vcc, 0, v29, vcc
	global_load_ushort v32, v26, s[68:69] offset:512
	global_load_ushort v33, v26, s[68:69] offset:1024
	;; [unrolled: 1-line block ×7, first 2 shown]
	global_load_ushort v39, v[28:29], off offset:-4096
	global_load_ushort v40, v[30:31], off offset:512
	global_load_ushort v41, v[30:31], off offset:1024
	;; [unrolled: 1-line block ×7, first 2 shown]
                                        ; kill: killed $vgpr30 killed $vgpr31
                                        ; kill: killed $sgpr68 killed $sgpr69
	s_nop 0
	global_load_ushort v31, v[28:29], off
	global_load_ushort v47, v[28:29], off offset:512
	global_load_ushort v48, v[28:29], off offset:1024
	;; [unrolled: 1-line block ×7, first 2 shown]
	v_sub_u32_e32 v30, v1, v26
	v_mad_u32_u24 v26, v0, 46, v30
	v_cmp_eq_u32_e32 vcc, v22, v23
	v_mov_b32_e32 v22, 0x10000
	s_waitcnt vmcnt(23)
	ds_write_b16 v30, v27
	s_waitcnt vmcnt(22)
	ds_write_b16 v30, v32 offset:512
	s_waitcnt vmcnt(21)
	ds_write_b16 v30, v33 offset:1024
	;; [unrolled: 2-line block ×23, first 2 shown]
	s_waitcnt lgkmcnt(0)
	s_barrier
	ds_read_u16 v31, v26 offset:2
	ds_read2_b32 v[36:37], v26 offset0:1 offset1:2
	ds_read2_b32 v[34:35], v26 offset0:3 offset1:4
	ds_read2_b32 v[32:33], v26 offset0:5 offset1:6
	ds_read2_b32 v[28:29], v26 offset0:7 offset1:8
	ds_read_b32 v1, v26 offset:44
	ds_read2_b32 v[26:27], v26 offset0:9 offset1:10
	v_mov_b32_e32 v38, s76
	s_and_saveexec_b64 s[4:5], vcc
	s_cbranch_execz .LBB101_131
; %bb.130:
	v_mul_u32_u24_e32 v22, 46, v0
	v_add_u32_e32 v22, v30, v22
	ds_read_u16 v38, v22
	v_mov_b32_e32 v22, 0
.LBB101_131:
	s_or_b64 exec, exec, s[4:5]
	v_mov_b32_e32 v54, s76
	v_cmp_eq_u32_e32 vcc, v23, v24
	s_waitcnt lgkmcnt(1)
	v_lshrrev_b32_e32 v53, 16, v1
	v_cmp_ne_u32_e64 s[10:11], v5, v52
	v_cndmask_b32_e32 v30, v54, v31, vcc
	v_cmp_ne_u32_e32 vcc, v23, v24
	s_waitcnt lgkmcnt(0)
	v_or_b32_sdwa v31, v22, v38 dst_sel:DWORD dst_unused:UNUSED_PAD src0_sel:DWORD src1_sel:WORD_0
	v_lshrrev_b32_e32 v22, 16, v36
	v_cndmask_b32_e64 v23, 0, 1, vcc
	v_cmp_eq_u32_e32 vcc, v25, v18
	v_and_b32_e32 v30, 0xffff, v30
	v_lshl_or_b32 v30, v23, 16, v30
	v_cndmask_b32_e32 v22, v54, v22, vcc
	v_cmp_eq_u32_e32 vcc, v24, v25
	v_and_b32_e32 v22, 0xffff, v22
	v_cndmask_b32_e64 v52, v53, v54, s[10:11]
	v_cndmask_b32_e32 v23, v54, v36, vcc
	v_cmp_ne_u32_e32 vcc, v24, v25
	v_and_b32_e32 v23, 0xffff, v23
	s_mov_b64 s[12:13], -1
	v_cndmask_b32_e64 v24, 0, 1, vcc
	v_cmp_ne_u32_e32 vcc, v25, v18
	v_lshl_or_b32 v50, v24, 16, v23
                                        ; implicit-def: $sgpr4
	s_nop 0
	v_cndmask_b32_e64 v23, 0, 1, vcc
	v_lshl_or_b32 v51, v23, 16, v22
	v_lshrrev_b32_e32 v22, 16, v37
	v_cmp_eq_u32_e32 vcc, v19, v20
	s_nop 1
	v_cndmask_b32_e32 v22, v54, v22, vcc
	v_cmp_eq_u32_e32 vcc, v18, v19
	v_and_b32_e32 v22, 0xffff, v22
	s_nop 0
	v_cndmask_b32_e32 v23, v54, v37, vcc
	v_cmp_ne_u32_e32 vcc, v18, v19
	v_and_b32_e32 v23, 0xffff, v23
	s_nop 0
	v_cndmask_b32_e64 v18, 0, 1, vcc
	v_cmp_ne_u32_e32 vcc, v19, v20
	v_lshl_or_b32 v48, v18, 16, v23
	s_nop 0
	v_cndmask_b32_e64 v18, 0, 1, vcc
	v_lshl_or_b32 v49, v18, 16, v22
	v_lshrrev_b32_e32 v18, 16, v34
	v_cmp_eq_u32_e32 vcc, v21, v14
	s_nop 1
	v_cndmask_b32_e32 v18, v54, v18, vcc
	v_cmp_eq_u32_e32 vcc, v20, v21
	v_and_b32_e32 v18, 0xffff, v18
	s_nop 0
	v_cndmask_b32_e32 v19, v54, v34, vcc
	v_cmp_ne_u32_e32 vcc, v20, v21
	v_and_b32_e32 v19, 0xffff, v19
	s_nop 0
	v_cndmask_b32_e64 v20, 0, 1, vcc
	v_cmp_ne_u32_e32 vcc, v21, v14
	v_lshl_or_b32 v46, v20, 16, v19
	;; [unrolled: 17-line block ×9, first 2 shown]
	s_nop 0
	v_cndmask_b32_e64 v2, 0, 1, vcc
	v_cmp_eq_u32_e32 vcc, v4, v5
	v_lshl_or_b32 v33, v2, 16, v6
	s_nop 0
	v_cndmask_b32_e32 v1, v54, v1, vcc
	v_cmp_ne_u32_e32 vcc, v4, v5
	v_and_b32_e32 v1, 0xffff, v1
	s_nop 0
	v_cndmask_b32_e64 v2, 0, 1, vcc
	v_lshl_or_b32 v1, v2, 16, v1
.LBB101_132:
	v_mov_b32_e32 v63, s4
	s_and_saveexec_b64 s[4:5], s[12:13]
; %bb.133:
	v_mov_b32_e32 v2, 0x10000
	v_cndmask_b32_e64 v2, 0, v2, s[10:11]
	v_or_b32_sdwa v63, v2, v52 dst_sel:DWORD dst_unused:UNUSED_PAD src0_sel:DWORD src1_sel:WORD_0
; %bb.134:
	s_or_b64 exec, exec, s[4:5]
	s_cmp_lg_u32 s2, 0
	s_barrier
	s_cbranch_scc0 .LBB101_639
; %bb.135:
	s_mov_b32 s3, 0x10000
	v_cmp_gt_u32_e64 s[4:5], s3, v30
	v_mov_b32_e32 v2, v30
	s_and_saveexec_b64 s[6:7], s[4:5]
	s_cbranch_execz .LBB101_141
; %bb.136:
	v_lshlrev_b32_e32 v2, 16, v31
	v_lshlrev_b32_e32 v4, 16, v30
	v_pk_add_f32 v[2:3], v[2:3], v[4:5] op_sel_hi:[0,1]
	s_mov_b32 s3, 0x7f800000
	v_and_b32_e32 v3, 0x7f800000, v2
	v_cmp_ne_u32_e32 vcc, s3, v3
                                        ; implicit-def: $vgpr4
	s_and_saveexec_b64 s[8:9], vcc
	s_xor_b64 s[8:9], exec, s[8:9]
; %bb.137:
	v_bfe_u32 v3, v2, 16, 1
	s_movk_i32 s3, 0x7fff
	v_add3_u32 v4, v2, v3, s3
                                        ; implicit-def: $vgpr2_vgpr3
; %bb.138:
	s_andn2_saveexec_b64 s[8:9], s[8:9]
; %bb.139:
	v_mov_b32_e32 v3, 0
	v_or_b32_e32 v4, 0x10000, v2
	v_cmp_eq_u32_sdwa vcc, v2, v3 src0_sel:WORD_0 src1_sel:DWORD
	s_nop 1
	v_cndmask_b32_e32 v4, v4, v2, vcc
; %bb.140:
	s_or_b64 exec, exec, s[8:9]
	v_lshrrev_b32_e32 v2, 16, v4
.LBB101_141:
	s_or_b64 exec, exec, s[6:7]
	s_mov_b32 s3, 0x10000
	v_cmp_gt_u32_e64 s[6:7], s3, v50
	v_mov_b32_e32 v3, v50
	s_and_saveexec_b64 s[8:9], s[6:7]
	s_cbranch_execz .LBB101_147
; %bb.142:
	v_lshlrev_b32_e32 v2, 16, v2
	v_lshlrev_b32_e32 v4, 16, v50
	v_pk_add_f32 v[2:3], v[2:3], v[4:5] op_sel_hi:[0,1]
	s_mov_b32 s3, 0x7f800000
	v_and_b32_e32 v3, 0x7f800000, v2
	v_cmp_ne_u32_e32 vcc, s3, v3
                                        ; implicit-def: $vgpr4
	s_and_saveexec_b64 s[10:11], vcc
	s_xor_b64 s[10:11], exec, s[10:11]
; %bb.143:
	v_bfe_u32 v3, v2, 16, 1
	s_movk_i32 s3, 0x7fff
	v_add3_u32 v4, v2, v3, s3
                                        ; implicit-def: $vgpr2_vgpr3
; %bb.144:
	s_andn2_saveexec_b64 s[10:11], s[10:11]
; %bb.145:
	v_mov_b32_e32 v3, 0
	v_or_b32_e32 v4, 0x10000, v2
	v_cmp_eq_u32_sdwa vcc, v2, v3 src0_sel:WORD_0 src1_sel:DWORD
	s_nop 1
	v_cndmask_b32_e32 v4, v4, v2, vcc
; %bb.146:
	s_or_b64 exec, exec, s[10:11]
	v_lshrrev_b32_e32 v3, 16, v4
.LBB101_147:
	s_or_b64 exec, exec, s[8:9]
	;; [unrolled: 33-line block ×22, first 2 shown]
	s_mov_b32 s3, 0x10000
	v_cmp_gt_u32_e32 vcc, s3, v63
	v_mov_b32_e32 v6, v63
	s_and_saveexec_b64 s[50:51], vcc
	s_cbranch_execz .LBB101_273
; %bb.268:
	v_lshlrev_b32_e32 v2, 16, v3
	v_lshlrev_b32_e32 v4, 16, v63
	v_pk_add_f32 v[2:3], v[2:3], v[4:5] op_sel_hi:[0,1]
	s_mov_b32 s3, 0x7f800000
	v_and_b32_e32 v3, 0x7f800000, v2
	v_cmp_ne_u32_e32 vcc, s3, v3
                                        ; implicit-def: $vgpr4
	s_and_saveexec_b64 s[52:53], vcc
	s_xor_b64 s[52:53], exec, s[52:53]
; %bb.269:
	v_bfe_u32 v3, v2, 16, 1
	s_movk_i32 s3, 0x7fff
	v_add3_u32 v4, v2, v3, s3
                                        ; implicit-def: $vgpr2_vgpr3
; %bb.270:
	s_andn2_saveexec_b64 s[52:53], s[52:53]
; %bb.271:
	v_mov_b32_e32 v3, 0
	v_or_b32_e32 v4, 0x10000, v2
	v_cmp_eq_u32_sdwa vcc, v2, v3 src0_sel:WORD_0 src1_sel:DWORD
	s_nop 1
	v_cndmask_b32_e32 v4, v4, v2, vcc
; %bb.272:
	s_or_b64 exec, exec, s[52:53]
	v_lshrrev_b32_e32 v6, 16, v4
.LBB101_273:
	s_or_b64 exec, exec, s[50:51]
	v_or3_b32 v4, v1, v33, v32
	v_or3_b32 v4, v4, v35, v34
	;; [unrolled: 1-line block ×11, first 2 shown]
	v_and_b32_e32 v4, 0x10000, v4
	v_and_b32_e32 v3, 0x10000, v31
	v_mov_b32_e32 v5, 0x10000
	v_cmp_ne_u32_e32 vcc, 0, v4
	v_mov_b32_e32 v2, v31
	v_mov_b32_e32 v8, v6
	v_cndmask_b32_e32 v7, v3, v5, vcc
	v_or_b32_sdwa v3, v6, v7 dst_sel:DWORD dst_unused:UNUSED_PAD src0_sel:WORD_0 src1_sel:DWORD
	v_cmp_eq_u32_e32 vcc, 0, v7
	s_nop 0
	v_mov_b32_dpp v9, v3 row_shr:1 row_mask:0xf bank_mask:0xf
	s_and_saveexec_b64 s[50:51], vcc
	s_xor_b64 s[50:51], exec, s[50:51]
	s_cbranch_execz .LBB101_279
; %bb.274:
	v_mov_b32_e32 v5, 16
	v_lshlrev_b32_e32 v4, 16, v9
	v_lshlrev_b32_sdwa v8, v5, v6 dst_sel:DWORD dst_unused:UNUSED_PAD src0_sel:DWORD src1_sel:WORD_0
	v_pk_add_f32 v[4:5], v[4:5], v[8:9] op_sel_hi:[0,1]
	s_mov_b32 s3, 0x7f800000
	v_and_b32_e32 v5, 0x7f800000, v4
	v_cmp_ne_u32_e32 vcc, s3, v5
                                        ; implicit-def: $vgpr8
	s_and_saveexec_b64 s[52:53], vcc
	s_xor_b64 s[52:53], exec, s[52:53]
; %bb.275:
	v_bfe_u32 v5, v4, 16, 1
	s_movk_i32 s3, 0x7fff
	v_add3_u32 v8, v4, v5, s3
                                        ; implicit-def: $vgpr4_vgpr5
; %bb.276:
	s_andn2_saveexec_b64 s[52:53], s[52:53]
; %bb.277:
	v_mov_b32_e32 v5, 0
	v_or_b32_e32 v8, 0x10000, v4
	v_cmp_eq_u32_sdwa vcc, v4, v5 src0_sel:WORD_0 src1_sel:DWORD
	s_nop 1
	v_cndmask_b32_e32 v8, v8, v4, vcc
; %bb.278:
	s_or_b64 exec, exec, s[52:53]
	v_lshrrev_b32_e32 v8, 16, v8
.LBB101_279:
	s_or_b64 exec, exec, s[50:51]
	v_mbcnt_lo_u32_b32 v4, -1, 0
	v_mbcnt_hi_u32_b32 v16, -1, v4
	v_and_b32_e32 v4, 0x10000, v7
	v_mov_b32_e32 v5, 1
	v_and_b32_sdwa v5, v9, v5 dst_sel:DWORD dst_unused:UNUSED_PAD src0_sel:WORD_1 src1_sel:DWORD
	v_cmp_ne_u32_e32 vcc, 0, v4
	v_and_b32_e32 v10, 15, v16
	s_mov_b32 s3, 0x10000
	v_cndmask_b32_e64 v9, v5, 1, vcc
	v_lshlrev_b32_e32 v4, 16, v9
	v_or_b32_sdwa v4, v4, v8 dst_sel:DWORD dst_unused:UNUSED_PAD src0_sel:DWORD src1_sel:WORD_0
	v_cmp_eq_u32_e32 vcc, 0, v10
	s_nop 1
	v_cndmask_b32_e32 v3, v4, v3, vcc
	v_cmp_gt_u32_e64 s[50:51], s3, v3
	v_mov_b32_e32 v4, v3
	v_mov_b32_dpp v11, v3 row_shr:2 row_mask:0xf bank_mask:0xf
	s_and_saveexec_b64 s[52:53], s[50:51]
	s_cbranch_execz .LBB101_285
; %bb.280:
	v_lshlrev_b32_e32 v4, 16, v3
	v_lshlrev_b32_e32 v12, 16, v11
	v_pk_add_f32 v[4:5], v[4:5], v[12:13] op_sel_hi:[0,1]
	s_mov_b32 s3, 0x7f800000
	v_and_b32_e32 v5, 0x7f800000, v4
	v_cmp_ne_u32_e64 s[50:51], s3, v5
                                        ; implicit-def: $vgpr12
	s_and_saveexec_b64 s[60:61], s[50:51]
	s_xor_b64 s[50:51], exec, s[60:61]
; %bb.281:
	v_bfe_u32 v5, v4, 16, 1
	s_movk_i32 s3, 0x7fff
	v_add3_u32 v12, v4, v5, s3
                                        ; implicit-def: $vgpr4_vgpr5
; %bb.282:
	s_andn2_saveexec_b64 s[60:61], s[50:51]
; %bb.283:
	v_mov_b32_e32 v5, 0
	v_or_b32_e32 v12, 0x10000, v4
	v_cmp_eq_u32_sdwa s[50:51], v4, v5 src0_sel:WORD_0 src1_sel:DWORD
	s_nop 1
	v_cndmask_b32_e64 v12, v12, v4, s[50:51]
; %bb.284:
	s_or_b64 exec, exec, s[60:61]
	v_lshrrev_b32_e32 v4, 16, v12
.LBB101_285:
	s_or_b64 exec, exec, s[52:53]
	v_lshrrev_b32_e32 v5, 16, v7
	v_cndmask_b32_e32 v7, v8, v6, vcc
	v_cndmask_b32_e32 v6, v9, v5, vcc
	v_lshrrev_b32_e32 v8, 16, v3
	v_cmp_lt_u32_e32 vcc, 1, v10
	v_mov_b32_e32 v9, v3
	s_and_saveexec_b64 s[50:51], vcc
; %bb.286:
	v_and_b32_e32 v3, 0x10000, v3
	v_mov_b32_e32 v5, 1
	v_and_b32_sdwa v5, v11, v5 dst_sel:DWORD dst_unused:UNUSED_PAD src0_sel:WORD_1 src1_sel:DWORD
	v_cmp_ne_u32_e32 vcc, 0, v3
	v_mov_b32_e32 v7, v4
	s_nop 0
	v_cndmask_b32_e64 v6, v5, 1, vcc
	v_lshlrev_b32_e32 v3, 16, v6
	v_or_b32_sdwa v9, v3, v4 dst_sel:DWORD dst_unused:UNUSED_PAD src0_sel:DWORD src1_sel:WORD_0
	v_mov_b32_e32 v8, v6
	v_mov_b32_e32 v3, v4
; %bb.287:
	s_or_b64 exec, exec, s[50:51]
	v_mov_b32_dpp v11, v9 row_shr:4 row_mask:0xf bank_mask:0xf
	v_cmp_eq_u16_e32 vcc, 0, v8
	v_mov_b32_e32 v4, v3
	s_and_saveexec_b64 s[50:51], vcc
	s_cbranch_execz .LBB101_293
; %bb.288:
	v_lshlrev_b32_e32 v4, 16, v11
	v_lshlrev_b32_e32 v12, 16, v3
	v_pk_add_f32 v[4:5], v[4:5], v[12:13] op_sel_hi:[0,1]
	s_mov_b32 s3, 0x7f800000
	v_and_b32_e32 v5, 0x7f800000, v4
	v_cmp_ne_u32_e32 vcc, s3, v5
                                        ; implicit-def: $vgpr12
	s_and_saveexec_b64 s[52:53], vcc
	s_xor_b64 s[52:53], exec, s[52:53]
; %bb.289:
	v_bfe_u32 v5, v4, 16, 1
	s_movk_i32 s3, 0x7fff
	v_add3_u32 v12, v4, v5, s3
                                        ; implicit-def: $vgpr4_vgpr5
; %bb.290:
	s_andn2_saveexec_b64 s[52:53], s[52:53]
; %bb.291:
	v_mov_b32_e32 v5, 0
	v_or_b32_e32 v12, 0x10000, v4
	v_cmp_eq_u32_sdwa vcc, v4, v5 src0_sel:WORD_0 src1_sel:DWORD
	s_nop 1
	v_cndmask_b32_e32 v12, v12, v4, vcc
; %bb.292:
	s_or_b64 exec, exec, s[52:53]
	v_lshrrev_b32_e32 v4, 16, v12
.LBB101_293:
	s_or_b64 exec, exec, s[50:51]
	v_cmp_lt_u32_e32 vcc, 3, v10
	s_and_saveexec_b64 s[50:51], vcc
; %bb.294:
	v_and_b32_e32 v3, 1, v8
	v_mov_b32_e32 v5, 1
	v_and_b32_sdwa v5, v11, v5 dst_sel:DWORD dst_unused:UNUSED_PAD src0_sel:WORD_1 src1_sel:DWORD
	v_cmp_eq_u32_e32 vcc, 1, v3
	v_mov_b32_e32 v7, v4
	s_nop 0
	v_cndmask_b32_e64 v6, v5, 1, vcc
	v_lshlrev_b32_e32 v3, 16, v6
	v_or_b32_sdwa v9, v3, v4 dst_sel:DWORD dst_unused:UNUSED_PAD src0_sel:DWORD src1_sel:WORD_0
	v_mov_b32_e32 v8, v6
	v_mov_b32_e32 v3, v4
; %bb.295:
	s_or_b64 exec, exec, s[50:51]
	v_mov_b32_dpp v11, v9 row_shr:8 row_mask:0xf bank_mask:0xf
	v_cmp_eq_u16_e32 vcc, 0, v8
	v_mov_b32_e32 v4, v3
	s_and_saveexec_b64 s[50:51], vcc
	s_cbranch_execz .LBB101_301
; %bb.296:
	v_lshlrev_b32_e32 v4, 16, v11
	v_lshlrev_b32_e32 v12, 16, v3
	v_pk_add_f32 v[4:5], v[4:5], v[12:13] op_sel_hi:[0,1]
	s_mov_b32 s3, 0x7f800000
	v_and_b32_e32 v5, 0x7f800000, v4
	v_cmp_ne_u32_e32 vcc, s3, v5
                                        ; implicit-def: $vgpr12
	s_and_saveexec_b64 s[52:53], vcc
	s_xor_b64 s[52:53], exec, s[52:53]
; %bb.297:
	v_bfe_u32 v5, v4, 16, 1
	s_movk_i32 s3, 0x7fff
	v_add3_u32 v12, v4, v5, s3
                                        ; implicit-def: $vgpr4_vgpr5
; %bb.298:
	s_andn2_saveexec_b64 s[52:53], s[52:53]
; %bb.299:
	v_mov_b32_e32 v5, 0
	v_or_b32_e32 v12, 0x10000, v4
	v_cmp_eq_u32_sdwa vcc, v4, v5 src0_sel:WORD_0 src1_sel:DWORD
	s_nop 1
	v_cndmask_b32_e32 v12, v12, v4, vcc
; %bb.300:
	s_or_b64 exec, exec, s[52:53]
	v_lshrrev_b32_e32 v4, 16, v12
.LBB101_301:
	s_or_b64 exec, exec, s[50:51]
	v_cmp_lt_u32_e32 vcc, 7, v10
	s_and_saveexec_b64 s[50:51], vcc
; %bb.302:
	v_and_b32_e32 v3, 1, v8
	v_mov_b32_e32 v5, 1
	v_and_b32_sdwa v5, v11, v5 dst_sel:DWORD dst_unused:UNUSED_PAD src0_sel:WORD_1 src1_sel:DWORD
	v_cmp_eq_u32_e32 vcc, 1, v3
	v_mov_b32_e32 v7, v4
	s_nop 0
	v_cndmask_b32_e64 v6, v5, 1, vcc
	v_lshlrev_b32_e32 v3, 16, v6
	v_or_b32_sdwa v9, v3, v4 dst_sel:DWORD dst_unused:UNUSED_PAD src0_sel:DWORD src1_sel:WORD_0
	v_mov_b32_e32 v8, v6
	v_mov_b32_e32 v3, v4
; %bb.303:
	s_or_b64 exec, exec, s[50:51]
	v_mov_b32_dpp v10, v9 row_bcast:15 row_mask:0xf bank_mask:0xf
	v_cmp_eq_u16_e32 vcc, 0, v8
	v_mov_b32_e32 v4, v3
	s_and_saveexec_b64 s[50:51], vcc
	s_cbranch_execz .LBB101_309
; %bb.304:
	v_lshlrev_b32_e32 v4, 16, v10
	v_lshlrev_b32_e32 v12, 16, v3
	v_pk_add_f32 v[4:5], v[4:5], v[12:13] op_sel_hi:[0,1]
	s_mov_b32 s3, 0x7f800000
	v_and_b32_e32 v5, 0x7f800000, v4
	v_cmp_ne_u32_e32 vcc, s3, v5
                                        ; implicit-def: $vgpr11
	s_and_saveexec_b64 s[52:53], vcc
	s_xor_b64 s[52:53], exec, s[52:53]
; %bb.305:
	v_bfe_u32 v5, v4, 16, 1
	s_movk_i32 s3, 0x7fff
	v_add3_u32 v11, v4, v5, s3
                                        ; implicit-def: $vgpr4_vgpr5
; %bb.306:
	s_andn2_saveexec_b64 s[52:53], s[52:53]
; %bb.307:
	v_mov_b32_e32 v5, 0
	v_or_b32_e32 v11, 0x10000, v4
	v_cmp_eq_u32_sdwa vcc, v4, v5 src0_sel:WORD_0 src1_sel:DWORD
	s_nop 1
	v_cndmask_b32_e32 v11, v11, v4, vcc
; %bb.308:
	s_or_b64 exec, exec, s[52:53]
	v_lshrrev_b32_e32 v4, 16, v11
.LBB101_309:
	s_or_b64 exec, exec, s[50:51]
	v_and_b32_e32 v5, 16, v16
	v_cmp_ne_u32_e32 vcc, 0, v5
	s_and_saveexec_b64 s[50:51], vcc
; %bb.310:
	v_and_b32_e32 v3, 1, v8
	v_mov_b32_e32 v5, 1
	v_and_b32_sdwa v5, v10, v5 dst_sel:DWORD dst_unused:UNUSED_PAD src0_sel:WORD_1 src1_sel:DWORD
	v_cmp_eq_u32_e32 vcc, 1, v3
	v_mov_b32_e32 v7, v4
	s_nop 0
	v_cndmask_b32_e64 v6, v5, 1, vcc
	v_lshlrev_b32_e32 v3, 16, v6
	v_or_b32_sdwa v9, v3, v4 dst_sel:DWORD dst_unused:UNUSED_PAD src0_sel:DWORD src1_sel:WORD_0
	v_mov_b32_e32 v8, v6
	v_mov_b32_e32 v3, v4
; %bb.311:
	s_or_b64 exec, exec, s[50:51]
	v_mov_b32_dpp v9, v9 row_bcast:31 row_mask:0xf bank_mask:0xf
	v_cmp_eq_u16_e32 vcc, 0, v8
	s_and_saveexec_b64 s[50:51], vcc
	s_cbranch_execz .LBB101_317
; %bb.312:
	v_lshlrev_b32_e32 v4, 16, v9
	v_lshlrev_b32_e32 v10, 16, v3
	v_pk_add_f32 v[4:5], v[4:5], v[10:11] op_sel_hi:[0,1]
	s_mov_b32 s3, 0x7f800000
	v_and_b32_e32 v3, 0x7f800000, v4
	v_cmp_ne_u32_e32 vcc, s3, v3
                                        ; implicit-def: $vgpr3
	s_and_saveexec_b64 s[52:53], vcc
	s_xor_b64 s[52:53], exec, s[52:53]
; %bb.313:
	v_bfe_u32 v3, v4, 16, 1
	s_movk_i32 s3, 0x7fff
	v_add3_u32 v3, v4, v3, s3
                                        ; implicit-def: $vgpr4_vgpr5
; %bb.314:
	s_andn2_saveexec_b64 s[52:53], s[52:53]
; %bb.315:
	v_mov_b32_e32 v3, 0
	v_or_b32_e32 v5, 0x10000, v4
	v_cmp_eq_u32_sdwa vcc, v4, v3 src0_sel:WORD_0 src1_sel:DWORD
	s_nop 1
	v_cndmask_b32_e32 v3, v5, v4, vcc
; %bb.316:
	s_or_b64 exec, exec, s[52:53]
	v_lshrrev_b32_e32 v3, 16, v3
.LBB101_317:
	s_or_b64 exec, exec, s[50:51]
	v_and_b32_e32 v4, 1, v8
	v_mov_b32_e32 v5, 1
	v_and_b32_sdwa v5, v9, v5 dst_sel:DWORD dst_unused:UNUSED_PAD src0_sel:WORD_1 src1_sel:DWORD
	v_cmp_eq_u32_e32 vcc, 1, v4
	v_lshrrev_b32_e32 v8, 6, v0
	s_nop 0
	v_cndmask_b32_e64 v4, v5, 1, vcc
	v_cmp_lt_u32_e32 vcc, 31, v16
	s_nop 1
	v_cndmask_b32_e32 v7, v7, v3, vcc
	v_or_b32_e32 v3, 63, v0
	v_cndmask_b32_e32 v6, v6, v4, vcc
	v_cmp_eq_u32_e32 vcc, v3, v0
	s_and_saveexec_b64 s[50:51], vcc
	s_cbranch_execz .LBB101_319
; %bb.318:
	v_lshlrev_b32_e32 v3, 2, v8
	ds_write_b16 v3, v7
	ds_write_b8 v3, v6 offset:2
.LBB101_319:
	s_or_b64 exec, exec, s[50:51]
	v_cmp_gt_u32_e32 vcc, 4, v0
	s_waitcnt lgkmcnt(0)
	s_barrier
	s_and_saveexec_b64 s[50:51], vcc
	s_cbranch_execz .LBB101_335
; %bb.320:
	v_lshlrev_b32_e32 v3, 2, v0
	ds_read_b32 v9, v3
	v_mov_b32_e32 v4, 0
	s_waitcnt lgkmcnt(0)
	v_lshrrev_b32_e32 v10, 16, v9
	v_mov_b32_dpp v12, v9 row_shr:1 row_mask:0xf bank_mask:0xf
	v_cmp_eq_u16_sdwa s[60:61], v10, v4 src0_sel:BYTE_0 src1_sel:DWORD
	v_mov_b32_e32 v4, v9
	s_and_saveexec_b64 s[52:53], s[60:61]
	s_cbranch_execz .LBB101_326
; %bb.321:
	v_lshlrev_b32_e32 v4, 16, v12
	v_lshlrev_b32_e32 v14, 16, v9
	v_pk_add_f32 v[4:5], v[4:5], v[14:15] op_sel_hi:[0,1]
	s_mov_b32 s3, 0x7f800000
	v_and_b32_e32 v5, 0x7f800000, v4
	v_cmp_ne_u32_e32 vcc, s3, v5
                                        ; implicit-def: $vgpr11
	s_and_saveexec_b64 s[60:61], vcc
	s_xor_b64 s[60:61], exec, s[60:61]
; %bb.322:
	v_bfe_u32 v5, v4, 16, 1
	s_movk_i32 s3, 0x7fff
	v_add3_u32 v11, v4, v5, s3
                                        ; implicit-def: $vgpr4_vgpr5
; %bb.323:
	s_andn2_saveexec_b64 s[60:61], s[60:61]
; %bb.324:
	v_mov_b32_e32 v5, 0
	v_or_b32_e32 v11, 0x10000, v4
	v_cmp_eq_u32_sdwa vcc, v4, v5 src0_sel:WORD_0 src1_sel:DWORD
	s_nop 1
	v_cndmask_b32_e32 v11, v11, v4, vcc
; %bb.325:
	s_or_b64 exec, exec, s[60:61]
	v_lshrrev_b32_e32 v4, 16, v11
.LBB101_326:
	s_or_b64 exec, exec, s[52:53]
	v_and_b32_e32 v11, 3, v16
	v_cmp_ne_u32_e32 vcc, 0, v11
	v_mov_b32_e32 v13, v9
	s_and_saveexec_b64 s[52:53], vcc
; %bb.327:
	v_and_b32_e32 v5, 0xff000000, v9
	v_and_b32_e32 v9, 0x10000, v9
	v_mov_b32_e32 v10, 1
	v_and_b32_sdwa v10, v12, v10 dst_sel:DWORD dst_unused:UNUSED_PAD src0_sel:WORD_1 src1_sel:DWORD
	v_cmp_ne_u32_e32 vcc, 0, v9
	v_and_b32_e32 v12, 0xffff, v4
	s_nop 0
	v_cndmask_b32_e64 v10, v10, 1, vcc
	v_lshlrev_b32_e32 v9, 16, v10
	v_or3_b32 v13, v9, v5, v12
	v_mov_b32_e32 v9, v4
; %bb.328:
	s_or_b64 exec, exec, s[52:53]
	v_and_b32_e32 v4, 0xff0000, v13
	v_mov_b32_dpp v12, v13 row_shr:2 row_mask:0xf bank_mask:0xf
	v_cmp_eq_u32_e32 vcc, 0, v4
	v_mov_b32_e32 v4, v13
	s_and_saveexec_b64 s[52:53], vcc
	s_cbranch_execz .LBB101_334
; %bb.329:
	v_lshlrev_b32_e32 v4, 16, v12
	v_lshlrev_b32_e32 v14, 16, v13
	v_pk_add_f32 v[4:5], v[4:5], v[14:15] op_sel_hi:[0,1]
	s_mov_b32 s3, 0x7f800000
	v_and_b32_e32 v5, 0x7f800000, v4
	v_cmp_ne_u32_e32 vcc, s3, v5
                                        ; implicit-def: $vgpr14
	s_and_saveexec_b64 s[60:61], vcc
	s_xor_b64 s[60:61], exec, s[60:61]
; %bb.330:
	v_bfe_u32 v5, v4, 16, 1
	s_movk_i32 s3, 0x7fff
	v_add3_u32 v14, v4, v5, s3
                                        ; implicit-def: $vgpr4_vgpr5
; %bb.331:
	s_andn2_saveexec_b64 s[60:61], s[60:61]
; %bb.332:
	v_mov_b32_e32 v5, 0
	v_or_b32_e32 v14, 0x10000, v4
	v_cmp_eq_u32_sdwa vcc, v4, v5 src0_sel:WORD_0 src1_sel:DWORD
	s_nop 1
	v_cndmask_b32_e32 v14, v14, v4, vcc
; %bb.333:
	s_or_b64 exec, exec, s[60:61]
	v_lshrrev_b32_e32 v4, 16, v14
.LBB101_334:
	s_or_b64 exec, exec, s[52:53]
	v_and_b32_e32 v5, 0x10000, v13
	v_mov_b32_e32 v13, 1
	v_and_b32_sdwa v12, v12, v13 dst_sel:DWORD dst_unused:UNUSED_PAD src0_sel:WORD_1 src1_sel:DWORD
	v_cmp_eq_u32_e32 vcc, 0, v5
	s_nop 1
	v_cndmask_b32_e32 v5, 1, v12, vcc
	v_cmp_lt_u32_e32 vcc, 1, v11
	s_nop 1
	v_cndmask_b32_e32 v4, v9, v4, vcc
	v_cndmask_b32_e32 v5, v10, v5, vcc
	ds_write_b16 v3, v4
	ds_write_b8 v3, v5 offset:2
.LBB101_335:
	s_or_b64 exec, exec, s[50:51]
	v_cmp_gt_u32_e32 vcc, 64, v0
	v_cmp_lt_u32_e64 s[50:51], 63, v0
	v_mov_b32_e32 v3, 0
	v_mov_b32_e32 v14, 0
	s_waitcnt lgkmcnt(0)
	s_barrier
	s_and_saveexec_b64 s[52:53], s[50:51]
	s_cbranch_execz .LBB101_343
; %bb.336:
	v_lshl_add_u32 v3, v8, 2, -4
	ds_read_u16 v14, v3
	ds_read_u8 v3, v3 offset:2
	v_cmp_eq_u16_e64 s[50:51], 0, v6
	s_and_saveexec_b64 s[60:61], s[50:51]
	s_cbranch_execz .LBB101_342
; %bb.337:
	s_waitcnt lgkmcnt(1)
	v_lshlrev_b32_e32 v4, 16, v14
	v_lshlrev_b32_e32 v8, 16, v7
	v_pk_add_f32 v[4:5], v[4:5], v[8:9] op_sel_hi:[0,1]
	s_mov_b32 s3, 0x7f800000
	v_and_b32_e32 v5, 0x7f800000, v4
	v_cmp_ne_u32_e64 s[50:51], s3, v5
                                        ; implicit-def: $vgpr7
	s_and_saveexec_b64 s[62:63], s[50:51]
	s_xor_b64 s[50:51], exec, s[62:63]
; %bb.338:
	v_bfe_u32 v5, v4, 16, 1
	s_movk_i32 s3, 0x7fff
	v_add3_u32 v7, v4, v5, s3
                                        ; implicit-def: $vgpr4_vgpr5
; %bb.339:
	s_andn2_saveexec_b64 s[62:63], s[50:51]
; %bb.340:
	v_mov_b32_e32 v5, 0
	v_or_b32_e32 v7, 0x10000, v4
	v_cmp_eq_u32_sdwa s[50:51], v4, v5 src0_sel:WORD_0 src1_sel:DWORD
	s_nop 1
	v_cndmask_b32_e64 v7, v7, v4, s[50:51]
; %bb.341:
	s_or_b64 exec, exec, s[62:63]
	v_lshrrev_b32_e32 v7, 16, v7
.LBB101_342:
	s_or_b64 exec, exec, s[60:61]
	v_and_b32_e32 v4, 1, v6
	v_cmp_eq_u32_e64 s[50:51], 1, v4
	s_waitcnt lgkmcnt(0)
	s_nop 0
	v_cndmask_b32_e64 v6, v3, 1, s[50:51]
.LBB101_343:
	s_or_b64 exec, exec, s[52:53]
	v_and_b32_e32 v4, 0xff, v6
	v_and_b32_e32 v5, 0xffff, v7
	v_lshl_or_b32 v4, v4, 16, v5
	v_add_u32_e32 v5, -1, v16
	v_and_b32_e32 v6, 64, v16
	v_cmp_lt_i32_e64 s[50:51], v5, v6
	s_nop 1
	v_cndmask_b32_e64 v5, v5, v16, s[50:51]
	v_lshlrev_b32_e32 v5, 2, v5
	ds_bpermute_b32 v15, v5, v4
	v_cmp_eq_u32_e64 s[50:51], 0, v16
	s_and_saveexec_b64 s[52:53], vcc
	s_cbranch_execz .LBB101_470
; %bb.344:
	v_mov_b32_e32 v9, 0
	ds_read_b32 v4, v9 offset:12
	s_waitcnt lgkmcnt(0)
	v_readfirstlane_b32 s3, v4
	s_and_saveexec_b64 s[60:61], s[50:51]
	s_cbranch_execz .LBB101_346
; %bb.345:
	s_add_i32 s62, s2, 64
	s_mov_b32 s63, 0
	s_lshl_b64 s[62:63], s[62:63], 3
	s_add_u32 s62, s56, s62
	s_addc_u32 s63, s57, s63
	v_mov_b32_e32 v4, s3
	v_mov_b32_e32 v5, 1
	global_store_dwordx2 v9, v[4:5], s[62:63] sc1
.LBB101_346:
	s_or_b64 exec, exec, s[60:61]
	v_xad_u32 v4, v16, -1, s2
	v_add_u32_e32 v8, 64, v4
	v_lshl_add_u64 v[12:13], v[8:9], 3, s[56:57]
	global_load_dwordx2 v[6:7], v[12:13], off sc1
	s_waitcnt vmcnt(0)
	v_cmp_eq_u16_sdwa s[62:63], v7, v9 src0_sel:BYTE_0 src1_sel:DWORD
	v_mov_b64_e32 v[10:11], v[6:7]
	s_and_saveexec_b64 s[60:61], s[62:63]
	s_cbranch_execz .LBB101_350
; %bb.347:
	s_mov_b64 s[62:63], 0
	v_mov_b32_e32 v5, 0
.LBB101_348:                            ; =>This Inner Loop Header: Depth=1
	global_load_dwordx2 v[6:7], v[12:13], off sc1
	s_waitcnt vmcnt(0)
	v_cmp_ne_u16_sdwa s[68:69], v7, v5 src0_sel:BYTE_0 src1_sel:DWORD
	s_or_b64 s[62:63], s[68:69], s[62:63]
	s_andn2_b64 exec, exec, s[62:63]
	s_cbranch_execnz .LBB101_348
; %bb.349:
	s_or_b64 exec, exec, s[62:63]
	v_mov_b64_e32 v[10:11], v[6:7]
.LBB101_350:
	s_or_b64 exec, exec, s[60:61]
	v_mov_b32_e32 v5, 2
	v_cmp_eq_u16_sdwa s[60:61], v7, v5 src0_sel:BYTE_0 src1_sel:DWORD
	v_lshlrev_b64 v[8:9], v16, -1
	v_and_b32_e32 v26, 0xffffff, v10
	v_and_b32_e32 v5, s61, v9
	v_or_b32_e32 v5, 0x80000000, v5
	v_and_b32_e32 v6, s60, v8
	v_ffbl_b32_e32 v5, v5
	v_add_u32_e32 v5, 32, v5
	v_ffbl_b32_e32 v6, v6
	v_min_u32_e32 v5, v6, v5
	v_and_b32_e32 v6, 63, v16
	v_cmp_ne_u32_e32 vcc, 63, v6
	v_add_u32_e32 v13, 1, v16
	v_bfe_u32 v27, v10, 16, 8
	v_addc_co_u32_e32 v11, vcc, 0, v16, vcc
	v_lshlrev_b32_e32 v12, 2, v11
	ds_bpermute_b32 v17, v12, v26
	v_lshrrev_b32_e32 v11, 16, v10
	v_cmp_le_u32_e32 vcc, v13, v5
	s_and_saveexec_b64 s[60:61], vcc
	s_cbranch_execz .LBB101_358
; %bb.351:
	v_and_b32_e32 v18, 0xff0000, v10
	v_cmp_eq_u32_e32 vcc, 0, v18
	s_and_saveexec_b64 s[62:63], vcc
	s_cbranch_execz .LBB101_357
; %bb.352:
	s_waitcnt lgkmcnt(0)
	v_lshlrev_b32_e32 v20, 16, v17
	v_lshlrev_b32_e32 v10, 16, v10
	v_pk_add_f32 v[10:11], v[20:21], v[10:11] op_sel_hi:[0,1]
	s_mov_b32 s59, 0x7f800000
	v_and_b32_e32 v11, 0x7f800000, v10
	v_cmp_ne_u32_e32 vcc, s59, v11
                                        ; implicit-def: $vgpr19
	s_and_saveexec_b64 s[68:69], vcc
	s_xor_b64 s[68:69], exec, s[68:69]
; %bb.353:
	v_bfe_u32 v11, v10, 16, 1
	s_movk_i32 s59, 0x7fff
	v_add3_u32 v19, v10, v11, s59
                                        ; implicit-def: $vgpr10_vgpr11
; %bb.354:
	s_andn2_saveexec_b64 s[68:69], s[68:69]
; %bb.355:
	v_mov_b32_e32 v11, 0
	v_or_b32_e32 v19, 0x10000, v10
	v_cmp_eq_u32_sdwa vcc, v10, v11 src0_sel:WORD_0 src1_sel:DWORD
	s_nop 1
	v_cndmask_b32_e32 v19, v19, v10, vcc
; %bb.356:
	s_or_b64 exec, exec, s[68:69]
	v_lshrrev_b32_e32 v10, 16, v19
.LBB101_357:
	s_or_b64 exec, exec, s[62:63]
	v_and_b32_e32 v11, 0x10000, v18
	v_mov_b32_e32 v18, 1
	s_waitcnt lgkmcnt(0)
	v_and_b32_sdwa v17, v17, v18 dst_sel:DWORD dst_unused:UNUSED_PAD src0_sel:WORD_1 src1_sel:DWORD
	v_cmp_ne_u32_e32 vcc, 0, v11
	s_nop 1
	v_cndmask_b32_e64 v27, v17, 1, vcc
	v_lshlrev_b32_e32 v11, 16, v27
	v_or_b32_sdwa v26, v11, v10 dst_sel:DWORD dst_unused:UNUSED_PAD src0_sel:DWORD src1_sel:WORD_0
	v_mov_b32_e32 v11, v27
.LBB101_358:
	s_or_b64 exec, exec, s[60:61]
	v_cmp_gt_u32_e32 vcc, 62, v6
	v_add_u32_e32 v18, 2, v16
	s_waitcnt lgkmcnt(0)
	v_cndmask_b32_e64 v17, 0, 1, vcc
	v_lshlrev_b32_e32 v17, 1, v17
	v_add_lshl_u32 v17, v17, v16, 2
	ds_bpermute_b32 v19, v17, v26
	v_cmp_le_u32_e32 vcc, v18, v5
	s_and_saveexec_b64 s[60:61], vcc
	s_cbranch_execz .LBB101_366
; %bb.359:
	v_cmp_eq_u16_e32 vcc, 0, v27
	s_and_saveexec_b64 s[62:63], vcc
	s_cbranch_execz .LBB101_365
; %bb.360:
	s_waitcnt lgkmcnt(0)
	v_lshlrev_b32_e32 v20, 16, v19
	v_lshlrev_b32_e32 v10, 16, v10
	v_pk_add_f32 v[10:11], v[20:21], v[10:11] op_sel_hi:[0,1]
	s_mov_b32 s59, 0x7f800000
	v_and_b32_e32 v11, 0x7f800000, v10
	v_cmp_ne_u32_e32 vcc, s59, v11
                                        ; implicit-def: $vgpr20
	s_and_saveexec_b64 s[68:69], vcc
	s_xor_b64 s[68:69], exec, s[68:69]
; %bb.361:
	v_bfe_u32 v11, v10, 16, 1
	s_movk_i32 s59, 0x7fff
	v_add3_u32 v20, v10, v11, s59
                                        ; implicit-def: $vgpr10_vgpr11
; %bb.362:
	s_andn2_saveexec_b64 s[68:69], s[68:69]
; %bb.363:
	v_mov_b32_e32 v11, 0
	v_or_b32_e32 v20, 0x10000, v10
	v_cmp_eq_u32_sdwa vcc, v10, v11 src0_sel:WORD_0 src1_sel:DWORD
	s_nop 1
	v_cndmask_b32_e32 v20, v20, v10, vcc
; %bb.364:
	s_or_b64 exec, exec, s[68:69]
	v_lshrrev_b32_e32 v10, 16, v20
.LBB101_365:
	s_or_b64 exec, exec, s[62:63]
	v_and_b32_e32 v11, 1, v27
	v_mov_b32_e32 v20, 1
	s_waitcnt lgkmcnt(0)
	v_and_b32_sdwa v19, v19, v20 dst_sel:DWORD dst_unused:UNUSED_PAD src0_sel:WORD_1 src1_sel:DWORD
	v_cmp_eq_u32_e32 vcc, 1, v11
	s_nop 1
	v_cndmask_b32_e64 v27, v19, 1, vcc
	v_lshlrev_b32_e32 v11, 16, v27
	v_or_b32_sdwa v26, v11, v10 dst_sel:DWORD dst_unused:UNUSED_PAD src0_sel:DWORD src1_sel:WORD_0
	v_mov_b32_e32 v11, v27
.LBB101_366:
	s_or_b64 exec, exec, s[60:61]
	v_cmp_gt_u32_e32 vcc, 60, v6
	v_add_u32_e32 v20, 4, v16
	s_waitcnt lgkmcnt(0)
	v_cndmask_b32_e64 v19, 0, 1, vcc
	v_lshlrev_b32_e32 v19, 2, v19
	v_add_lshl_u32 v19, v19, v16, 2
	ds_bpermute_b32 v21, v19, v26
	v_cmp_le_u32_e32 vcc, v20, v5
	s_and_saveexec_b64 s[60:61], vcc
	s_cbranch_execz .LBB101_374
; %bb.367:
	v_cmp_eq_u16_e32 vcc, 0, v27
	s_and_saveexec_b64 s[62:63], vcc
	s_cbranch_execz .LBB101_373
; %bb.368:
	s_waitcnt lgkmcnt(0)
	v_lshlrev_b32_e32 v22, 16, v21
	v_lshlrev_b32_e32 v10, 16, v10
	v_pk_add_f32 v[10:11], v[22:23], v[10:11] op_sel_hi:[0,1]
	s_mov_b32 s59, 0x7f800000
	v_and_b32_e32 v11, 0x7f800000, v10
	v_cmp_ne_u32_e32 vcc, s59, v11
                                        ; implicit-def: $vgpr22
	s_and_saveexec_b64 s[68:69], vcc
	s_xor_b64 s[68:69], exec, s[68:69]
; %bb.369:
	v_bfe_u32 v11, v10, 16, 1
	s_movk_i32 s59, 0x7fff
	v_add3_u32 v22, v10, v11, s59
                                        ; implicit-def: $vgpr10_vgpr11
; %bb.370:
	s_andn2_saveexec_b64 s[68:69], s[68:69]
; %bb.371:
	v_mov_b32_e32 v11, 0
	v_or_b32_e32 v22, 0x10000, v10
	v_cmp_eq_u32_sdwa vcc, v10, v11 src0_sel:WORD_0 src1_sel:DWORD
	s_nop 1
	v_cndmask_b32_e32 v22, v22, v10, vcc
; %bb.372:
	s_or_b64 exec, exec, s[68:69]
	v_lshrrev_b32_e32 v10, 16, v22
.LBB101_373:
	s_or_b64 exec, exec, s[62:63]
	v_and_b32_e32 v11, 1, v27
	v_mov_b32_e32 v22, 1
	s_waitcnt lgkmcnt(0)
	v_and_b32_sdwa v21, v21, v22 dst_sel:DWORD dst_unused:UNUSED_PAD src0_sel:WORD_1 src1_sel:DWORD
	v_cmp_eq_u32_e32 vcc, 1, v11
	s_nop 1
	v_cndmask_b32_e64 v27, v21, 1, vcc
	v_lshlrev_b32_e32 v11, 16, v27
	v_or_b32_sdwa v26, v11, v10 dst_sel:DWORD dst_unused:UNUSED_PAD src0_sel:DWORD src1_sel:WORD_0
	v_mov_b32_e32 v11, v27
.LBB101_374:
	s_or_b64 exec, exec, s[60:61]
	v_cmp_gt_u32_e32 vcc, 56, v6
	v_add_u32_e32 v22, 8, v16
	s_waitcnt lgkmcnt(0)
	v_cndmask_b32_e64 v21, 0, 1, vcc
	v_lshlrev_b32_e32 v21, 3, v21
	v_add_lshl_u32 v21, v21, v16, 2
	ds_bpermute_b32 v23, v21, v26
	v_cmp_le_u32_e32 vcc, v22, v5
	s_and_saveexec_b64 s[60:61], vcc
	s_cbranch_execz .LBB101_382
; %bb.375:
	v_cmp_eq_u16_e32 vcc, 0, v27
	s_and_saveexec_b64 s[62:63], vcc
	s_cbranch_execz .LBB101_381
; %bb.376:
	s_waitcnt lgkmcnt(0)
	v_lshlrev_b32_e32 v24, 16, v23
	v_lshlrev_b32_e32 v10, 16, v10
	v_pk_add_f32 v[10:11], v[24:25], v[10:11] op_sel_hi:[0,1]
	s_mov_b32 s59, 0x7f800000
	v_and_b32_e32 v11, 0x7f800000, v10
	v_cmp_ne_u32_e32 vcc, s59, v11
                                        ; implicit-def: $vgpr24
	s_and_saveexec_b64 s[68:69], vcc
	s_xor_b64 s[68:69], exec, s[68:69]
; %bb.377:
	v_bfe_u32 v11, v10, 16, 1
	s_movk_i32 s59, 0x7fff
	v_add3_u32 v24, v10, v11, s59
                                        ; implicit-def: $vgpr10_vgpr11
; %bb.378:
	s_andn2_saveexec_b64 s[68:69], s[68:69]
; %bb.379:
	v_mov_b32_e32 v11, 0
	v_or_b32_e32 v24, 0x10000, v10
	v_cmp_eq_u32_sdwa vcc, v10, v11 src0_sel:WORD_0 src1_sel:DWORD
	s_nop 1
	v_cndmask_b32_e32 v24, v24, v10, vcc
; %bb.380:
	s_or_b64 exec, exec, s[68:69]
	v_lshrrev_b32_e32 v10, 16, v24
.LBB101_381:
	s_or_b64 exec, exec, s[62:63]
	v_and_b32_e32 v11, 1, v27
	v_mov_b32_e32 v24, 1
	s_waitcnt lgkmcnt(0)
	v_and_b32_sdwa v23, v23, v24 dst_sel:DWORD dst_unused:UNUSED_PAD src0_sel:WORD_1 src1_sel:DWORD
	v_cmp_eq_u32_e32 vcc, 1, v11
	s_nop 1
	v_cndmask_b32_e64 v27, v23, 1, vcc
	v_lshlrev_b32_e32 v11, 16, v27
	v_or_b32_sdwa v26, v11, v10 dst_sel:DWORD dst_unused:UNUSED_PAD src0_sel:DWORD src1_sel:WORD_0
	v_mov_b32_e32 v11, v27
.LBB101_382:
	s_or_b64 exec, exec, s[60:61]
	v_cmp_gt_u32_e32 vcc, 48, v6
	v_add_u32_e32 v24, 16, v16
	s_waitcnt lgkmcnt(0)
	v_cndmask_b32_e64 v23, 0, 1, vcc
	v_lshlrev_b32_e32 v23, 4, v23
	v_add_lshl_u32 v23, v23, v16, 2
	ds_bpermute_b32 v25, v23, v26
	v_cmp_le_u32_e32 vcc, v24, v5
	s_and_saveexec_b64 s[60:61], vcc
	s_cbranch_execz .LBB101_390
; %bb.383:
	v_cmp_eq_u16_e32 vcc, 0, v27
	s_and_saveexec_b64 s[62:63], vcc
	s_cbranch_execz .LBB101_389
; %bb.384:
	s_waitcnt lgkmcnt(0)
	v_lshlrev_b32_e32 v26, 16, v25
	v_lshlrev_b32_e32 v10, 16, v10
	v_pk_add_f32 v[10:11], v[26:27], v[10:11] op_sel_hi:[0,1]
	s_mov_b32 s59, 0x7f800000
	v_and_b32_e32 v11, 0x7f800000, v10
	v_cmp_ne_u32_e32 vcc, s59, v11
                                        ; implicit-def: $vgpr26
	s_and_saveexec_b64 s[68:69], vcc
	s_xor_b64 s[68:69], exec, s[68:69]
; %bb.385:
	v_bfe_u32 v11, v10, 16, 1
	s_movk_i32 s59, 0x7fff
	v_add3_u32 v26, v10, v11, s59
                                        ; implicit-def: $vgpr10_vgpr11
; %bb.386:
	s_andn2_saveexec_b64 s[68:69], s[68:69]
; %bb.387:
	v_mov_b32_e32 v11, 0
	v_or_b32_e32 v26, 0x10000, v10
	v_cmp_eq_u32_sdwa vcc, v10, v11 src0_sel:WORD_0 src1_sel:DWORD
	s_nop 1
	v_cndmask_b32_e32 v26, v26, v10, vcc
; %bb.388:
	s_or_b64 exec, exec, s[68:69]
	v_lshrrev_b32_e32 v10, 16, v26
.LBB101_389:
	s_or_b64 exec, exec, s[62:63]
	v_and_b32_e32 v11, 1, v27
	v_mov_b32_e32 v26, 1
	s_waitcnt lgkmcnt(0)
	v_and_b32_sdwa v25, v25, v26 dst_sel:DWORD dst_unused:UNUSED_PAD src0_sel:WORD_1 src1_sel:DWORD
	v_cmp_eq_u32_e32 vcc, 1, v11
	s_nop 1
	v_cndmask_b32_e64 v27, v25, 1, vcc
	v_lshlrev_b32_e32 v11, 16, v27
	v_or_b32_sdwa v26, v11, v10 dst_sel:DWORD dst_unused:UNUSED_PAD src0_sel:DWORD src1_sel:WORD_0
	v_mov_b32_e32 v11, v27
.LBB101_390:
	s_or_b64 exec, exec, s[60:61]
	v_cmp_gt_u32_e32 vcc, 32, v6
	s_nop 1
	v_cndmask_b32_e64 v6, 0, 1, vcc
	v_lshlrev_b32_e32 v6, 5, v6
	s_waitcnt lgkmcnt(0)
	v_add_lshl_u32 v25, v6, v16, 2
	ds_bpermute_b32 v6, v25, v26
	v_add_u32_e32 v26, 32, v16
	v_cmp_le_u32_e32 vcc, v26, v5
	s_and_saveexec_b64 s[60:61], vcc
	s_cbranch_execz .LBB101_398
; %bb.391:
	v_cmp_eq_u16_e32 vcc, 0, v27
	s_and_saveexec_b64 s[62:63], vcc
	s_cbranch_execz .LBB101_397
; %bb.392:
	s_waitcnt lgkmcnt(0)
	v_lshlrev_b32_e32 v16, 16, v6
	v_lshlrev_b32_e32 v10, 16, v10
	v_pk_add_f32 v[10:11], v[16:17], v[10:11] op_sel_hi:[0,1]
	s_mov_b32 s59, 0x7f800000
	v_and_b32_e32 v5, 0x7f800000, v10
	v_cmp_ne_u32_e32 vcc, s59, v5
                                        ; implicit-def: $vgpr5
	s_and_saveexec_b64 s[68:69], vcc
	s_xor_b64 s[68:69], exec, s[68:69]
; %bb.393:
	v_bfe_u32 v5, v10, 16, 1
	s_movk_i32 s59, 0x7fff
	v_add3_u32 v5, v10, v5, s59
                                        ; implicit-def: $vgpr10_vgpr11
; %bb.394:
	s_andn2_saveexec_b64 s[68:69], s[68:69]
; %bb.395:
	v_mov_b32_e32 v5, 0
	v_or_b32_e32 v11, 0x10000, v10
	v_cmp_eq_u32_sdwa vcc, v10, v5 src0_sel:WORD_0 src1_sel:DWORD
	s_nop 1
	v_cndmask_b32_e32 v5, v11, v10, vcc
; %bb.396:
	s_or_b64 exec, exec, s[68:69]
	v_lshrrev_b32_e32 v10, 16, v5
.LBB101_397:
	s_or_b64 exec, exec, s[62:63]
	v_and_b32_e32 v5, 1, v27
	v_mov_b32_e32 v11, 1
	s_waitcnt lgkmcnt(0)
	v_and_b32_sdwa v6, v6, v11 dst_sel:DWORD dst_unused:UNUSED_PAD src0_sel:WORD_1 src1_sel:DWORD
	v_cmp_eq_u32_e32 vcc, 1, v5
	s_nop 1
	v_cndmask_b32_e64 v11, v6, 1, vcc
.LBB101_398:
	s_or_b64 exec, exec, s[60:61]
	v_mov_b32_e32 v5, 0
	s_mov_b32 s59, 0x7f800000
	s_movk_i32 s70, 0x7fff
	v_mov_b32_e32 v28, 2
	v_mov_b32_e32 v29, 1
	s_branch .LBB101_400
.LBB101_399:                            ;   in Loop: Header=BB101_400 Depth=1
                                        ; implicit-def: $vgpr11
                                        ; implicit-def: $vgpr10
                                        ; implicit-def: $vgpr7
	s_cbranch_execnz .LBB101_460
.LBB101_400:                            ; =>This Loop Header: Depth=1
                                        ;     Child Loop BB101_403 Depth 2
	v_cmp_ne_u16_sdwa s[60:61], v7, v28 src0_sel:BYTE_0 src1_sel:DWORD
	v_mov_b32_e32 v16, v11
	v_mov_b32_e32 v27, v10
	s_waitcnt lgkmcnt(0)
	v_cndmask_b32_e64 v6, 0, 1, s[60:61]
	;;#ASMSTART
	;;#ASMEND
	s_nop 0
	v_cmp_ne_u32_e32 vcc, 0, v6
	s_cmp_lg_u64 vcc, exec
	s_cbranch_scc1 .LBB101_399
; %bb.401:                              ;   in Loop: Header=BB101_400 Depth=1
	v_lshl_add_u64 v[10:11], v[4:5], 3, s[56:57]
	global_load_dwordx2 v[6:7], v[10:11], off sc1
	s_waitcnt vmcnt(0)
	v_cmp_eq_u16_sdwa s[62:63], v7, v5 src0_sel:BYTE_0 src1_sel:DWORD
	s_and_saveexec_b64 s[60:61], s[62:63]
	s_cbranch_execz .LBB101_405
; %bb.402:                              ;   in Loop: Header=BB101_400 Depth=1
	s_mov_b64 s[62:63], 0
.LBB101_403:                            ;   Parent Loop BB101_400 Depth=1
                                        ; =>  This Inner Loop Header: Depth=2
	global_load_dwordx2 v[6:7], v[10:11], off sc1
	s_waitcnt vmcnt(0)
	v_cmp_ne_u16_sdwa s[68:69], v7, v5 src0_sel:BYTE_0 src1_sel:DWORD
	s_or_b64 s[62:63], s[68:69], s[62:63]
	s_andn2_b64 exec, exec, s[62:63]
	s_cbranch_execnz .LBB101_403
; %bb.404:                              ;   in Loop: Header=BB101_400 Depth=1
	s_or_b64 exec, exec, s[62:63]
.LBB101_405:                            ;   in Loop: Header=BB101_400 Depth=1
	s_or_b64 exec, exec, s[60:61]
	v_cmp_eq_u16_sdwa s[60:61], v7, v28 src0_sel:BYTE_0 src1_sel:DWORD
	v_lshrrev_b32_e32 v54, 16, v6
	v_bfe_u32 v53, v6, 16, 8
	v_and_b32_e32 v10, s61, v9
	v_or_b32_e32 v10, 0x80000000, v10
	v_ffbl_b32_e32 v10, v10
	v_add_u32_e32 v52, 32, v10
	v_and_b32_e32 v10, 0xffffff, v6
	ds_bpermute_b32 v55, v12, v10
	v_and_b32_e32 v11, s60, v8
	v_ffbl_b32_e32 v11, v11
	v_min_u32_e32 v52, v11, v52
	v_cmp_le_u32_e32 vcc, v13, v52
	s_and_saveexec_b64 s[60:61], vcc
	s_cbranch_execz .LBB101_413
; %bb.406:                              ;   in Loop: Header=BB101_400 Depth=1
	v_and_b32_e32 v53, 0xff0000, v6
	v_cmp_eq_u32_e32 vcc, 0, v53
	s_and_saveexec_b64 s[62:63], vcc
	s_cbranch_execz .LBB101_412
; %bb.407:                              ;   in Loop: Header=BB101_400 Depth=1
	s_waitcnt lgkmcnt(0)
	v_lshlrev_b32_e32 v10, 16, v55
	v_lshlrev_b32_e32 v6, 16, v6
	v_pk_add_f32 v[10:11], v[10:11], v[6:7] op_sel_hi:[0,1]
	v_and_b32_e32 v6, 0x7f800000, v10
	v_cmp_ne_u32_e32 vcc, s59, v6
                                        ; implicit-def: $vgpr6
	s_and_saveexec_b64 s[68:69], vcc
	s_xor_b64 s[68:69], exec, s[68:69]
; %bb.408:                              ;   in Loop: Header=BB101_400 Depth=1
	v_bfe_u32 v6, v10, 16, 1
	v_add3_u32 v6, v10, v6, s70
                                        ; implicit-def: $vgpr10_vgpr11
; %bb.409:                              ;   in Loop: Header=BB101_400 Depth=1
	s_andn2_saveexec_b64 s[68:69], s[68:69]
; %bb.410:                              ;   in Loop: Header=BB101_400 Depth=1
	v_or_b32_e32 v6, 0x10000, v10
	v_cmp_eq_u32_sdwa vcc, v10, v5 src0_sel:WORD_0 src1_sel:DWORD
	s_nop 1
	v_cndmask_b32_e32 v6, v6, v10, vcc
; %bb.411:                              ;   in Loop: Header=BB101_400 Depth=1
	s_or_b64 exec, exec, s[68:69]
	v_lshrrev_b32_e32 v6, 16, v6
.LBB101_412:                            ;   in Loop: Header=BB101_400 Depth=1
	s_or_b64 exec, exec, s[62:63]
	v_and_b32_e32 v10, 0x10000, v53
	s_waitcnt lgkmcnt(0)
	v_and_b32_sdwa v11, v55, v29 dst_sel:DWORD dst_unused:UNUSED_PAD src0_sel:WORD_1 src1_sel:DWORD
	v_cmp_ne_u32_e32 vcc, 0, v10
	s_nop 1
	v_cndmask_b32_e64 v53, v11, 1, vcc
	v_lshlrev_b32_e32 v10, 16, v53
	v_or_b32_sdwa v10, v10, v6 dst_sel:DWORD dst_unused:UNUSED_PAD src0_sel:DWORD src1_sel:WORD_0
	v_mov_b32_e32 v54, v53
.LBB101_413:                            ;   in Loop: Header=BB101_400 Depth=1
	s_or_b64 exec, exec, s[60:61]
	s_waitcnt lgkmcnt(0)
	ds_bpermute_b32 v55, v17, v10
	v_cmp_le_u32_e32 vcc, v18, v52
	s_and_saveexec_b64 s[60:61], vcc
	s_cbranch_execz .LBB101_421
; %bb.414:                              ;   in Loop: Header=BB101_400 Depth=1
	v_cmp_eq_u16_e32 vcc, 0, v53
	s_and_saveexec_b64 s[62:63], vcc
	s_cbranch_execz .LBB101_420
; %bb.415:                              ;   in Loop: Header=BB101_400 Depth=1
	s_waitcnt lgkmcnt(0)
	v_lshlrev_b32_e32 v10, 16, v55
	v_lshlrev_b32_e32 v6, 16, v6
	v_pk_add_f32 v[10:11], v[10:11], v[6:7] op_sel_hi:[0,1]
	v_and_b32_e32 v6, 0x7f800000, v10
	v_cmp_ne_u32_e32 vcc, s59, v6
                                        ; implicit-def: $vgpr6
	s_and_saveexec_b64 s[68:69], vcc
	s_xor_b64 s[68:69], exec, s[68:69]
; %bb.416:                              ;   in Loop: Header=BB101_400 Depth=1
	v_bfe_u32 v6, v10, 16, 1
	v_add3_u32 v6, v10, v6, s70
                                        ; implicit-def: $vgpr10_vgpr11
; %bb.417:                              ;   in Loop: Header=BB101_400 Depth=1
	s_andn2_saveexec_b64 s[68:69], s[68:69]
; %bb.418:                              ;   in Loop: Header=BB101_400 Depth=1
	v_or_b32_e32 v6, 0x10000, v10
	v_cmp_eq_u32_sdwa vcc, v10, v5 src0_sel:WORD_0 src1_sel:DWORD
	s_nop 1
	v_cndmask_b32_e32 v6, v6, v10, vcc
; %bb.419:                              ;   in Loop: Header=BB101_400 Depth=1
	s_or_b64 exec, exec, s[68:69]
	v_lshrrev_b32_e32 v6, 16, v6
.LBB101_420:                            ;   in Loop: Header=BB101_400 Depth=1
	s_or_b64 exec, exec, s[62:63]
	v_and_b32_e32 v10, 1, v53
	s_waitcnt lgkmcnt(0)
	v_and_b32_sdwa v11, v55, v29 dst_sel:DWORD dst_unused:UNUSED_PAD src0_sel:WORD_1 src1_sel:DWORD
	v_cmp_eq_u32_e32 vcc, 1, v10
	s_nop 1
	v_cndmask_b32_e64 v53, v11, 1, vcc
	v_lshlrev_b32_e32 v10, 16, v53
	v_or_b32_sdwa v10, v10, v6 dst_sel:DWORD dst_unused:UNUSED_PAD src0_sel:DWORD src1_sel:WORD_0
	v_mov_b32_e32 v54, v53
.LBB101_421:                            ;   in Loop: Header=BB101_400 Depth=1
	s_or_b64 exec, exec, s[60:61]
	s_waitcnt lgkmcnt(0)
	ds_bpermute_b32 v55, v19, v10
	v_cmp_le_u32_e32 vcc, v20, v52
	s_and_saveexec_b64 s[60:61], vcc
	s_cbranch_execz .LBB101_429
; %bb.422:                              ;   in Loop: Header=BB101_400 Depth=1
	v_cmp_eq_u16_e32 vcc, 0, v53
	s_and_saveexec_b64 s[62:63], vcc
	s_cbranch_execz .LBB101_428
; %bb.423:                              ;   in Loop: Header=BB101_400 Depth=1
	s_waitcnt lgkmcnt(0)
	v_lshlrev_b32_e32 v10, 16, v55
	v_lshlrev_b32_e32 v6, 16, v6
	v_pk_add_f32 v[10:11], v[10:11], v[6:7] op_sel_hi:[0,1]
	v_and_b32_e32 v6, 0x7f800000, v10
	v_cmp_ne_u32_e32 vcc, s59, v6
                                        ; implicit-def: $vgpr6
	s_and_saveexec_b64 s[68:69], vcc
	s_xor_b64 s[68:69], exec, s[68:69]
; %bb.424:                              ;   in Loop: Header=BB101_400 Depth=1
	v_bfe_u32 v6, v10, 16, 1
	v_add3_u32 v6, v10, v6, s70
                                        ; implicit-def: $vgpr10_vgpr11
; %bb.425:                              ;   in Loop: Header=BB101_400 Depth=1
	s_andn2_saveexec_b64 s[68:69], s[68:69]
; %bb.426:                              ;   in Loop: Header=BB101_400 Depth=1
	v_or_b32_e32 v6, 0x10000, v10
	v_cmp_eq_u32_sdwa vcc, v10, v5 src0_sel:WORD_0 src1_sel:DWORD
	s_nop 1
	v_cndmask_b32_e32 v6, v6, v10, vcc
; %bb.427:                              ;   in Loop: Header=BB101_400 Depth=1
	s_or_b64 exec, exec, s[68:69]
	v_lshrrev_b32_e32 v6, 16, v6
.LBB101_428:                            ;   in Loop: Header=BB101_400 Depth=1
	s_or_b64 exec, exec, s[62:63]
	v_and_b32_e32 v10, 1, v53
	s_waitcnt lgkmcnt(0)
	v_and_b32_sdwa v11, v55, v29 dst_sel:DWORD dst_unused:UNUSED_PAD src0_sel:WORD_1 src1_sel:DWORD
	v_cmp_eq_u32_e32 vcc, 1, v10
	s_nop 1
	v_cndmask_b32_e64 v53, v11, 1, vcc
	v_lshlrev_b32_e32 v10, 16, v53
	v_or_b32_sdwa v10, v10, v6 dst_sel:DWORD dst_unused:UNUSED_PAD src0_sel:DWORD src1_sel:WORD_0
	v_mov_b32_e32 v54, v53
.LBB101_429:                            ;   in Loop: Header=BB101_400 Depth=1
	;; [unrolled: 46-line block ×4, first 2 shown]
	s_or_b64 exec, exec, s[60:61]
	s_waitcnt lgkmcnt(0)
	ds_bpermute_b32 v55, v25, v10
	v_cmp_le_u32_e32 vcc, v26, v52
	s_and_saveexec_b64 s[60:61], vcc
	s_cbranch_execz .LBB101_453
; %bb.446:                              ;   in Loop: Header=BB101_400 Depth=1
	v_cmp_eq_u16_e32 vcc, 0, v53
	s_and_saveexec_b64 s[62:63], vcc
	s_cbranch_execz .LBB101_452
; %bb.447:                              ;   in Loop: Header=BB101_400 Depth=1
	s_waitcnt lgkmcnt(0)
	v_lshlrev_b32_e32 v10, 16, v55
	v_lshlrev_b32_e32 v6, 16, v6
	v_pk_add_f32 v[10:11], v[10:11], v[6:7] op_sel_hi:[0,1]
	v_and_b32_e32 v6, 0x7f800000, v10
	v_cmp_ne_u32_e32 vcc, s59, v6
                                        ; implicit-def: $vgpr6
	s_and_saveexec_b64 s[68:69], vcc
	s_xor_b64 s[68:69], exec, s[68:69]
; %bb.448:                              ;   in Loop: Header=BB101_400 Depth=1
	v_bfe_u32 v6, v10, 16, 1
	v_add3_u32 v6, v10, v6, s70
                                        ; implicit-def: $vgpr10_vgpr11
; %bb.449:                              ;   in Loop: Header=BB101_400 Depth=1
	s_andn2_saveexec_b64 s[68:69], s[68:69]
; %bb.450:                              ;   in Loop: Header=BB101_400 Depth=1
	v_or_b32_e32 v6, 0x10000, v10
	v_cmp_eq_u32_sdwa vcc, v10, v5 src0_sel:WORD_0 src1_sel:DWORD
	s_nop 1
	v_cndmask_b32_e32 v6, v6, v10, vcc
; %bb.451:                              ;   in Loop: Header=BB101_400 Depth=1
	s_or_b64 exec, exec, s[68:69]
	v_lshrrev_b32_e32 v6, 16, v6
.LBB101_452:                            ;   in Loop: Header=BB101_400 Depth=1
	s_or_b64 exec, exec, s[62:63]
	v_and_b32_e32 v10, 1, v53
	s_waitcnt lgkmcnt(0)
	v_lshrrev_b32_e32 v11, 16, v55
	v_cmp_eq_u32_e32 vcc, 1, v10
	s_nop 1
	v_cndmask_b32_e64 v54, v11, 1, vcc
.LBB101_453:                            ;   in Loop: Header=BB101_400 Depth=1
	s_or_b64 exec, exec, s[60:61]
	v_cmp_eq_u16_sdwa s[62:63], v16, v5 src0_sel:BYTE_0 src1_sel:DWORD
	v_mov_b32_e32 v10, v27
	s_and_saveexec_b64 s[60:61], s[62:63]
	s_cbranch_execz .LBB101_459
; %bb.454:                              ;   in Loop: Header=BB101_400 Depth=1
	v_lshlrev_b32_e32 v6, 16, v6
	v_lshlrev_b32_e32 v10, 16, v27
	v_pk_add_f32 v[10:11], v[6:7], v[10:11] op_sel_hi:[0,1]
	v_and_b32_e32 v6, 0x7f800000, v10
	v_cmp_ne_u32_e32 vcc, s59, v6
                                        ; implicit-def: $vgpr6
	s_and_saveexec_b64 s[62:63], vcc
	s_xor_b64 s[62:63], exec, s[62:63]
; %bb.455:                              ;   in Loop: Header=BB101_400 Depth=1
	v_bfe_u32 v6, v10, 16, 1
	v_add3_u32 v6, v10, v6, s70
                                        ; implicit-def: $vgpr10_vgpr11
; %bb.456:                              ;   in Loop: Header=BB101_400 Depth=1
	s_andn2_saveexec_b64 s[62:63], s[62:63]
; %bb.457:                              ;   in Loop: Header=BB101_400 Depth=1
	v_or_b32_e32 v6, 0x10000, v10
	v_cmp_eq_u32_sdwa vcc, v10, v5 src0_sel:WORD_0 src1_sel:DWORD
	s_nop 1
	v_cndmask_b32_e32 v6, v6, v10, vcc
; %bb.458:                              ;   in Loop: Header=BB101_400 Depth=1
	s_or_b64 exec, exec, s[62:63]
	v_lshrrev_b32_e32 v10, 16, v6
.LBB101_459:                            ;   in Loop: Header=BB101_400 Depth=1
	s_or_b64 exec, exec, s[60:61]
	v_and_b32_e32 v6, 1, v16
	v_and_b32_e32 v11, 1, v54
	v_cmp_eq_u32_e32 vcc, 1, v6
	v_subrev_u32_e32 v4, 64, v4
	s_nop 0
	v_cndmask_b32_e64 v11, v11, 1, vcc
	s_branch .LBB101_400
.LBB101_460:
	s_and_saveexec_b64 s[60:61], s[50:51]
	s_cbranch_execz .LBB101_468
; %bb.461:
	s_and_b32 s59, s3, 0xff0000
	s_cmp_lg_u32 s59, 0
	v_mov_b32_e32 v4, s3
	s_cbranch_scc1 .LBB101_467
; %bb.462:
	s_lshl_b32 s62, s3, 16
	v_lshlrev_b32_e32 v4, 16, v27
	v_pk_add_f32 v[4:5], v[4:5], s[62:63] op_sel_hi:[0,1]
	s_mov_b32 s59, 0x7f800000
	v_and_b32_e32 v5, 0x7f800000, v4
	v_cmp_ne_u32_e32 vcc, s59, v5
                                        ; implicit-def: $vgpr6
	s_and_saveexec_b64 s[62:63], vcc
	s_xor_b64 s[62:63], exec, s[62:63]
; %bb.463:
	v_bfe_u32 v5, v4, 16, 1
	s_movk_i32 s59, 0x7fff
	v_add3_u32 v6, v4, v5, s59
                                        ; implicit-def: $vgpr4_vgpr5
; %bb.464:
	s_andn2_saveexec_b64 s[62:63], s[62:63]
; %bb.465:
	v_mov_b32_e32 v5, 0
	v_or_b32_e32 v6, 0x10000, v4
	v_cmp_eq_u32_sdwa vcc, v4, v5 src0_sel:WORD_0 src1_sel:DWORD
	s_nop 1
	v_cndmask_b32_e32 v6, v6, v4, vcc
; %bb.466:
	s_or_b64 exec, exec, s[62:63]
	v_lshrrev_b32_e32 v4, 16, v6
.LBB101_467:
	s_bitcmp0_b32 s3, 16
	s_mov_b32 s3, 0
	v_mov_b32_e32 v5, 1
	s_cselect_b64 vcc, -1, 0
	s_add_i32 s2, s2, 64
	v_and_b32_sdwa v5, v16, v5 dst_sel:WORD_1 dst_unused:UNUSED_PAD src0_sel:DWORD src1_sel:DWORD
	v_mov_b32_e32 v6, 0x10000
	s_lshl_b64 s[2:3], s[2:3], 3
	v_cndmask_b32_e32 v5, v6, v5, vcc
	s_mov_b32 s59, 0xffff
	s_add_u32 s2, s56, s2
	v_and_or_b32 v4, v4, s59, v5
	s_addc_u32 s3, s57, s3
	v_mov_b32_e32 v6, 0
	v_mov_b32_e32 v5, 2
	global_store_dwordx2 v6, v[4:5], s[2:3] sc1
.LBB101_468:
	s_or_b64 exec, exec, s[60:61]
	v_cmp_eq_u32_e32 vcc, 0, v0
	s_and_b64 exec, exec, vcc
	s_cbranch_execz .LBB101_470
; %bb.469:
	v_mov_b32_e32 v4, 0
	ds_write_b16 v4, v27 offset:12
	ds_write_b8 v4, v16 offset:14
.LBB101_470:
	s_or_b64 exec, exec, s[52:53]
	v_mov_b32_e32 v5, 0
	s_waitcnt lgkmcnt(0)
	s_barrier
	ds_read_b32 v29, v5 offset:12
	v_cmp_ne_u32_e32 vcc, 0, v0
	s_and_saveexec_b64 s[2:3], vcc
	s_cbranch_execz .LBB101_478
; %bb.471:
	v_lshrrev_b32_e32 v6, 16, v15
	v_cndmask_b32_e64 v3, v6, v3, s[50:51]
	v_cndmask_b32_e64 v4, v15, v14, s[50:51]
	v_cmp_eq_u16_sdwa s[52:53], v3, v5 src0_sel:BYTE_0 src1_sel:DWORD
	s_and_saveexec_b64 s[50:51], s[52:53]
	s_cbranch_execz .LBB101_477
; %bb.472:
	s_waitcnt lgkmcnt(0)
	v_lshlrev_b32_e32 v6, 16, v29
	v_lshlrev_b32_e32 v4, 16, v4
	v_pk_add_f32 v[4:5], v[6:7], v[4:5] op_sel_hi:[0,1]
	s_mov_b32 s52, 0x7f800000
	v_and_b32_e32 v3, 0x7f800000, v4
	v_cmp_ne_u32_e32 vcc, s52, v3
                                        ; implicit-def: $vgpr3
	s_and_saveexec_b64 s[52:53], vcc
	s_xor_b64 s[52:53], exec, s[52:53]
; %bb.473:
	v_bfe_u32 v3, v4, 16, 1
	s_movk_i32 s59, 0x7fff
	v_add3_u32 v3, v4, v3, s59
                                        ; implicit-def: $vgpr4_vgpr5
; %bb.474:
	s_andn2_saveexec_b64 s[52:53], s[52:53]
; %bb.475:
	v_mov_b32_e32 v3, 0
	v_or_b32_e32 v5, 0x10000, v4
	v_cmp_eq_u32_sdwa vcc, v4, v3 src0_sel:WORD_0 src1_sel:DWORD
	s_nop 1
	v_cndmask_b32_e32 v3, v5, v4, vcc
; %bb.476:
	s_or_b64 exec, exec, s[52:53]
	v_lshrrev_b32_e32 v4, 16, v3
.LBB101_477:
	s_or_b64 exec, exec, s[50:51]
	s_waitcnt lgkmcnt(0)
	v_mov_b32_e32 v29, v4
.LBB101_478:
	s_or_b64 exec, exec, s[2:3]
	v_and_b32_e32 v3, 0xff0000, v31
	v_cmp_eq_u32_e32 vcc, 0, v3
	s_and_saveexec_b64 s[2:3], vcc
	s_cbranch_execz .LBB101_484
; %bb.479:
	v_lshlrev_b32_e32 v2, 16, v31
	s_waitcnt lgkmcnt(0)
	v_lshlrev_b32_e32 v4, 16, v29
	v_pk_add_f32 v[2:3], v[4:5], v[2:3] op_sel_hi:[0,1]
	s_mov_b32 s50, 0x7f800000
	v_and_b32_e32 v3, 0x7f800000, v2
	v_cmp_ne_u32_e32 vcc, s50, v3
                                        ; implicit-def: $vgpr4
	s_and_saveexec_b64 s[50:51], vcc
	s_xor_b64 s[50:51], exec, s[50:51]
; %bb.480:
	v_bfe_u32 v3, v2, 16, 1
	s_movk_i32 s52, 0x7fff
	v_add3_u32 v4, v2, v3, s52
                                        ; implicit-def: $vgpr2_vgpr3
; %bb.481:
	s_andn2_saveexec_b64 s[50:51], s[50:51]
; %bb.482:
	v_mov_b32_e32 v3, 0
	v_or_b32_e32 v4, 0x10000, v2
	v_cmp_eq_u32_sdwa vcc, v2, v3 src0_sel:WORD_0 src1_sel:DWORD
	s_nop 1
	v_cndmask_b32_e32 v4, v4, v2, vcc
; %bb.483:
	s_or_b64 exec, exec, s[50:51]
	v_lshrrev_b32_e32 v2, 16, v4
.LBB101_484:
	s_or_b64 exec, exec, s[2:3]
	v_mov_b32_e32 v3, v30
	s_and_saveexec_b64 s[2:3], s[4:5]
	s_cbranch_execz .LBB101_490
; %bb.485:
	v_lshlrev_b32_e32 v4, 16, v2
	v_lshlrev_b32_e32 v6, 16, v30
	v_pk_add_f32 v[4:5], v[4:5], v[6:7] op_sel_hi:[0,1]
	s_mov_b32 s4, 0x7f800000
	v_and_b32_e32 v3, 0x7f800000, v4
	v_cmp_ne_u32_e32 vcc, s4, v3
                                        ; implicit-def: $vgpr3
	s_and_saveexec_b64 s[4:5], vcc
	s_xor_b64 s[4:5], exec, s[4:5]
; %bb.486:
	v_bfe_u32 v3, v4, 16, 1
	s_movk_i32 s50, 0x7fff
	v_add3_u32 v3, v4, v3, s50
                                        ; implicit-def: $vgpr4_vgpr5
; %bb.487:
	s_andn2_saveexec_b64 s[4:5], s[4:5]
; %bb.488:
	v_mov_b32_e32 v3, 0
	v_or_b32_e32 v5, 0x10000, v4
	v_cmp_eq_u32_sdwa vcc, v4, v3 src0_sel:WORD_0 src1_sel:DWORD
	s_nop 1
	v_cndmask_b32_e32 v3, v5, v4, vcc
; %bb.489:
	s_or_b64 exec, exec, s[4:5]
	v_lshrrev_b32_e32 v3, 16, v3
.LBB101_490:
	s_or_b64 exec, exec, s[2:3]
	v_and_b32_e32 v3, 0xffff, v3
	v_mov_b32_e32 v4, v50
	s_and_saveexec_b64 s[2:3], s[6:7]
	s_cbranch_execz .LBB101_496
; %bb.491:
	v_lshlrev_b32_e32 v4, 16, v3
	v_lshlrev_b32_e32 v6, 16, v50
	v_pk_add_f32 v[4:5], v[4:5], v[6:7] op_sel_hi:[0,1]
	s_mov_b32 s4, 0x7f800000
	v_and_b32_e32 v5, 0x7f800000, v4
	v_cmp_ne_u32_e32 vcc, s4, v5
                                        ; implicit-def: $vgpr6
	s_and_saveexec_b64 s[4:5], vcc
	s_xor_b64 s[4:5], exec, s[4:5]
; %bb.492:
	v_bfe_u32 v5, v4, 16, 1
	s_movk_i32 s6, 0x7fff
	v_add3_u32 v6, v4, v5, s6
                                        ; implicit-def: $vgpr4_vgpr5
; %bb.493:
	s_andn2_saveexec_b64 s[4:5], s[4:5]
; %bb.494:
	v_mov_b32_e32 v5, 0
	v_or_b32_e32 v6, 0x10000, v4
	v_cmp_eq_u32_sdwa vcc, v4, v5 src0_sel:WORD_0 src1_sel:DWORD
	s_nop 1
	v_cndmask_b32_e32 v6, v6, v4, vcc
; %bb.495:
	s_or_b64 exec, exec, s[4:5]
	v_lshrrev_b32_e32 v4, 16, v6
.LBB101_496:
	s_or_b64 exec, exec, s[2:3]
	v_and_b32_e32 v4, 0xffff, v4
	v_mov_b32_e32 v5, v51
	s_and_saveexec_b64 s[2:3], s[8:9]
	s_cbranch_execz .LBB101_502
; %bb.497:
	v_lshlrev_b32_e32 v6, 16, v4
	v_lshlrev_b32_e32 v8, 16, v51
	v_pk_add_f32 v[6:7], v[6:7], v[8:9] op_sel_hi:[0,1]
	s_mov_b32 s4, 0x7f800000
	v_and_b32_e32 v5, 0x7f800000, v6
	v_cmp_ne_u32_e32 vcc, s4, v5
                                        ; implicit-def: $vgpr5
	s_and_saveexec_b64 s[4:5], vcc
	s_xor_b64 s[4:5], exec, s[4:5]
; %bb.498:
	v_bfe_u32 v5, v6, 16, 1
	s_movk_i32 s6, 0x7fff
	v_add3_u32 v5, v6, v5, s6
                                        ; implicit-def: $vgpr6_vgpr7
; %bb.499:
	s_andn2_saveexec_b64 s[4:5], s[4:5]
; %bb.500:
	v_mov_b32_e32 v5, 0
	v_or_b32_e32 v7, 0x10000, v6
	v_cmp_eq_u32_sdwa vcc, v6, v5 src0_sel:WORD_0 src1_sel:DWORD
	s_nop 1
	v_cndmask_b32_e32 v5, v7, v6, vcc
; %bb.501:
	s_or_b64 exec, exec, s[4:5]
	v_lshrrev_b32_e32 v5, 16, v5
.LBB101_502:
	s_or_b64 exec, exec, s[2:3]
	v_and_b32_e32 v5, 0xffff, v5
	v_mov_b32_e32 v6, v48
	s_and_saveexec_b64 s[2:3], s[10:11]
	s_cbranch_execz .LBB101_508
; %bb.503:
	v_lshlrev_b32_e32 v6, 16, v5
	v_lshlrev_b32_e32 v8, 16, v48
	v_pk_add_f32 v[6:7], v[6:7], v[8:9] op_sel_hi:[0,1]
	s_mov_b32 s4, 0x7f800000
	v_and_b32_e32 v7, 0x7f800000, v6
	v_cmp_ne_u32_e32 vcc, s4, v7
                                        ; implicit-def: $vgpr8
	s_and_saveexec_b64 s[4:5], vcc
	s_xor_b64 s[4:5], exec, s[4:5]
; %bb.504:
	v_bfe_u32 v7, v6, 16, 1
	s_movk_i32 s6, 0x7fff
	v_add3_u32 v8, v6, v7, s6
                                        ; implicit-def: $vgpr6_vgpr7
; %bb.505:
	s_andn2_saveexec_b64 s[4:5], s[4:5]
; %bb.506:
	v_mov_b32_e32 v7, 0
	v_or_b32_e32 v8, 0x10000, v6
	v_cmp_eq_u32_sdwa vcc, v6, v7 src0_sel:WORD_0 src1_sel:DWORD
	s_nop 1
	v_cndmask_b32_e32 v8, v8, v6, vcc
; %bb.507:
	s_or_b64 exec, exec, s[4:5]
	v_lshrrev_b32_e32 v6, 16, v8
.LBB101_508:
	s_or_b64 exec, exec, s[2:3]
	v_and_b32_e32 v6, 0xffff, v6
	v_mov_b32_e32 v7, v49
	s_and_saveexec_b64 s[2:3], s[12:13]
	s_cbranch_execz .LBB101_514
; %bb.509:
	v_lshlrev_b32_e32 v8, 16, v6
	v_lshlrev_b32_e32 v10, 16, v49
	v_pk_add_f32 v[8:9], v[8:9], v[10:11] op_sel_hi:[0,1]
	s_mov_b32 s4, 0x7f800000
	v_and_b32_e32 v7, 0x7f800000, v8
	v_cmp_ne_u32_e32 vcc, s4, v7
                                        ; implicit-def: $vgpr7
	s_and_saveexec_b64 s[4:5], vcc
	s_xor_b64 s[4:5], exec, s[4:5]
; %bb.510:
	v_bfe_u32 v7, v8, 16, 1
	s_movk_i32 s6, 0x7fff
	v_add3_u32 v7, v8, v7, s6
                                        ; implicit-def: $vgpr8_vgpr9
; %bb.511:
	s_andn2_saveexec_b64 s[4:5], s[4:5]
; %bb.512:
	v_mov_b32_e32 v7, 0
	v_or_b32_e32 v9, 0x10000, v8
	v_cmp_eq_u32_sdwa vcc, v8, v7 src0_sel:WORD_0 src1_sel:DWORD
	s_nop 1
	v_cndmask_b32_e32 v7, v9, v8, vcc
; %bb.513:
	s_or_b64 exec, exec, s[4:5]
	v_lshrrev_b32_e32 v7, 16, v7
.LBB101_514:
	s_or_b64 exec, exec, s[2:3]
	v_and_b32_e32 v7, 0xffff, v7
	v_mov_b32_e32 v8, v46
	s_and_saveexec_b64 s[2:3], s[14:15]
	s_cbranch_execz .LBB101_520
; %bb.515:
	v_lshlrev_b32_e32 v8, 16, v7
	v_lshlrev_b32_e32 v10, 16, v46
	v_pk_add_f32 v[8:9], v[8:9], v[10:11] op_sel_hi:[0,1]
	s_mov_b32 s4, 0x7f800000
	v_and_b32_e32 v9, 0x7f800000, v8
	v_cmp_ne_u32_e32 vcc, s4, v9
                                        ; implicit-def: $vgpr10
	s_and_saveexec_b64 s[4:5], vcc
	s_xor_b64 s[4:5], exec, s[4:5]
; %bb.516:
	v_bfe_u32 v9, v8, 16, 1
	s_movk_i32 s6, 0x7fff
	v_add3_u32 v10, v8, v9, s6
                                        ; implicit-def: $vgpr8_vgpr9
; %bb.517:
	s_andn2_saveexec_b64 s[4:5], s[4:5]
; %bb.518:
	v_mov_b32_e32 v9, 0
	v_or_b32_e32 v10, 0x10000, v8
	v_cmp_eq_u32_sdwa vcc, v8, v9 src0_sel:WORD_0 src1_sel:DWORD
	s_nop 1
	v_cndmask_b32_e32 v10, v10, v8, vcc
; %bb.519:
	s_or_b64 exec, exec, s[4:5]
	v_lshrrev_b32_e32 v8, 16, v10
.LBB101_520:
	s_or_b64 exec, exec, s[2:3]
	v_and_b32_e32 v8, 0xffff, v8
	v_mov_b32_e32 v9, v47
	s_and_saveexec_b64 s[2:3], s[16:17]
	s_cbranch_execz .LBB101_526
; %bb.521:
	v_lshlrev_b32_e32 v10, 16, v8
	v_lshlrev_b32_e32 v12, 16, v47
	v_pk_add_f32 v[10:11], v[10:11], v[12:13] op_sel_hi:[0,1]
	s_mov_b32 s4, 0x7f800000
	v_and_b32_e32 v9, 0x7f800000, v10
	v_cmp_ne_u32_e32 vcc, s4, v9
                                        ; implicit-def: $vgpr9
	s_and_saveexec_b64 s[4:5], vcc
	s_xor_b64 s[4:5], exec, s[4:5]
; %bb.522:
	v_bfe_u32 v9, v10, 16, 1
	s_movk_i32 s6, 0x7fff
	v_add3_u32 v9, v10, v9, s6
                                        ; implicit-def: $vgpr10_vgpr11
; %bb.523:
	s_andn2_saveexec_b64 s[4:5], s[4:5]
; %bb.524:
	v_mov_b32_e32 v9, 0
	v_or_b32_e32 v11, 0x10000, v10
	v_cmp_eq_u32_sdwa vcc, v10, v9 src0_sel:WORD_0 src1_sel:DWORD
	s_nop 1
	v_cndmask_b32_e32 v9, v11, v10, vcc
; %bb.525:
	s_or_b64 exec, exec, s[4:5]
	v_lshrrev_b32_e32 v9, 16, v9
.LBB101_526:
	s_or_b64 exec, exec, s[2:3]
	v_and_b32_e32 v9, 0xffff, v9
	v_mov_b32_e32 v10, v44
	s_and_saveexec_b64 s[2:3], s[18:19]
	s_cbranch_execz .LBB101_532
; %bb.527:
	v_lshlrev_b32_e32 v10, 16, v9
	v_lshlrev_b32_e32 v12, 16, v44
	v_pk_add_f32 v[10:11], v[10:11], v[12:13] op_sel_hi:[0,1]
	s_mov_b32 s4, 0x7f800000
	v_and_b32_e32 v11, 0x7f800000, v10
	v_cmp_ne_u32_e32 vcc, s4, v11
                                        ; implicit-def: $vgpr12
	s_and_saveexec_b64 s[4:5], vcc
	s_xor_b64 s[4:5], exec, s[4:5]
; %bb.528:
	v_bfe_u32 v11, v10, 16, 1
	s_movk_i32 s6, 0x7fff
	v_add3_u32 v12, v10, v11, s6
                                        ; implicit-def: $vgpr10_vgpr11
; %bb.529:
	s_andn2_saveexec_b64 s[4:5], s[4:5]
; %bb.530:
	v_mov_b32_e32 v11, 0
	v_or_b32_e32 v12, 0x10000, v10
	v_cmp_eq_u32_sdwa vcc, v10, v11 src0_sel:WORD_0 src1_sel:DWORD
	s_nop 1
	v_cndmask_b32_e32 v12, v12, v10, vcc
; %bb.531:
	s_or_b64 exec, exec, s[4:5]
	v_lshrrev_b32_e32 v10, 16, v12
.LBB101_532:
	s_or_b64 exec, exec, s[2:3]
	v_and_b32_e32 v10, 0xffff, v10
	v_mov_b32_e32 v11, v45
	s_and_saveexec_b64 s[2:3], s[20:21]
	s_cbranch_execz .LBB101_538
; %bb.533:
	v_lshlrev_b32_e32 v12, 16, v10
	v_lshlrev_b32_e32 v14, 16, v45
	v_pk_add_f32 v[12:13], v[12:13], v[14:15] op_sel_hi:[0,1]
	s_mov_b32 s4, 0x7f800000
	v_and_b32_e32 v11, 0x7f800000, v12
	v_cmp_ne_u32_e32 vcc, s4, v11
                                        ; implicit-def: $vgpr11
	s_and_saveexec_b64 s[4:5], vcc
	s_xor_b64 s[4:5], exec, s[4:5]
; %bb.534:
	v_bfe_u32 v11, v12, 16, 1
	s_movk_i32 s6, 0x7fff
	v_add3_u32 v11, v12, v11, s6
                                        ; implicit-def: $vgpr12_vgpr13
; %bb.535:
	s_andn2_saveexec_b64 s[4:5], s[4:5]
; %bb.536:
	v_mov_b32_e32 v11, 0
	v_or_b32_e32 v13, 0x10000, v12
	v_cmp_eq_u32_sdwa vcc, v12, v11 src0_sel:WORD_0 src1_sel:DWORD
	s_nop 1
	v_cndmask_b32_e32 v11, v13, v12, vcc
; %bb.537:
	s_or_b64 exec, exec, s[4:5]
	v_lshrrev_b32_e32 v11, 16, v11
.LBB101_538:
	s_or_b64 exec, exec, s[2:3]
	v_and_b32_e32 v11, 0xffff, v11
	v_mov_b32_e32 v12, v42
	s_and_saveexec_b64 s[2:3], s[22:23]
	s_cbranch_execz .LBB101_544
; %bb.539:
	v_lshlrev_b32_e32 v12, 16, v11
	v_lshlrev_b32_e32 v14, 16, v42
	v_pk_add_f32 v[12:13], v[12:13], v[14:15] op_sel_hi:[0,1]
	s_mov_b32 s4, 0x7f800000
	v_and_b32_e32 v13, 0x7f800000, v12
	v_cmp_ne_u32_e32 vcc, s4, v13
                                        ; implicit-def: $vgpr14
	s_and_saveexec_b64 s[4:5], vcc
	s_xor_b64 s[4:5], exec, s[4:5]
; %bb.540:
	v_bfe_u32 v13, v12, 16, 1
	s_movk_i32 s6, 0x7fff
	v_add3_u32 v14, v12, v13, s6
                                        ; implicit-def: $vgpr12_vgpr13
; %bb.541:
	s_andn2_saveexec_b64 s[4:5], s[4:5]
; %bb.542:
	v_mov_b32_e32 v13, 0
	v_or_b32_e32 v14, 0x10000, v12
	v_cmp_eq_u32_sdwa vcc, v12, v13 src0_sel:WORD_0 src1_sel:DWORD
	s_nop 1
	v_cndmask_b32_e32 v14, v14, v12, vcc
; %bb.543:
	s_or_b64 exec, exec, s[4:5]
	v_lshrrev_b32_e32 v12, 16, v14
.LBB101_544:
	s_or_b64 exec, exec, s[2:3]
	v_and_b32_e32 v12, 0xffff, v12
	v_mov_b32_e32 v13, v43
	s_and_saveexec_b64 s[2:3], s[24:25]
	s_cbranch_execz .LBB101_550
; %bb.545:
	v_lshlrev_b32_e32 v14, 16, v12
	v_lshlrev_b32_e32 v16, 16, v43
	v_pk_add_f32 v[14:15], v[14:15], v[16:17] op_sel_hi:[0,1]
	s_mov_b32 s4, 0x7f800000
	v_and_b32_e32 v13, 0x7f800000, v14
	v_cmp_ne_u32_e32 vcc, s4, v13
                                        ; implicit-def: $vgpr13
	s_and_saveexec_b64 s[4:5], vcc
	s_xor_b64 s[4:5], exec, s[4:5]
; %bb.546:
	v_bfe_u32 v13, v14, 16, 1
	s_movk_i32 s6, 0x7fff
	v_add3_u32 v13, v14, v13, s6
                                        ; implicit-def: $vgpr14_vgpr15
; %bb.547:
	s_andn2_saveexec_b64 s[4:5], s[4:5]
; %bb.548:
	v_mov_b32_e32 v13, 0
	v_or_b32_e32 v15, 0x10000, v14
	v_cmp_eq_u32_sdwa vcc, v14, v13 src0_sel:WORD_0 src1_sel:DWORD
	s_nop 1
	v_cndmask_b32_e32 v13, v15, v14, vcc
; %bb.549:
	s_or_b64 exec, exec, s[4:5]
	v_lshrrev_b32_e32 v13, 16, v13
.LBB101_550:
	s_or_b64 exec, exec, s[2:3]
	v_and_b32_e32 v13, 0xffff, v13
	v_mov_b32_e32 v14, v40
	s_and_saveexec_b64 s[2:3], s[26:27]
	s_cbranch_execz .LBB101_556
; %bb.551:
	v_lshlrev_b32_e32 v14, 16, v13
	v_lshlrev_b32_e32 v16, 16, v40
	v_pk_add_f32 v[14:15], v[14:15], v[16:17] op_sel_hi:[0,1]
	s_mov_b32 s4, 0x7f800000
	v_and_b32_e32 v15, 0x7f800000, v14
	v_cmp_ne_u32_e32 vcc, s4, v15
                                        ; implicit-def: $vgpr16
	s_and_saveexec_b64 s[4:5], vcc
	s_xor_b64 s[4:5], exec, s[4:5]
; %bb.552:
	v_bfe_u32 v15, v14, 16, 1
	s_movk_i32 s6, 0x7fff
	v_add3_u32 v16, v14, v15, s6
                                        ; implicit-def: $vgpr14_vgpr15
; %bb.553:
	s_andn2_saveexec_b64 s[4:5], s[4:5]
; %bb.554:
	v_mov_b32_e32 v15, 0
	v_or_b32_e32 v16, 0x10000, v14
	v_cmp_eq_u32_sdwa vcc, v14, v15 src0_sel:WORD_0 src1_sel:DWORD
	s_nop 1
	v_cndmask_b32_e32 v16, v16, v14, vcc
; %bb.555:
	s_or_b64 exec, exec, s[4:5]
	v_lshrrev_b32_e32 v14, 16, v16
.LBB101_556:
	s_or_b64 exec, exec, s[2:3]
	v_and_b32_e32 v14, 0xffff, v14
	v_mov_b32_e32 v15, v41
	s_and_saveexec_b64 s[2:3], s[28:29]
	s_cbranch_execz .LBB101_562
; %bb.557:
	v_lshlrev_b32_e32 v16, 16, v14
	v_lshlrev_b32_e32 v18, 16, v41
	v_pk_add_f32 v[16:17], v[16:17], v[18:19] op_sel_hi:[0,1]
	s_mov_b32 s4, 0x7f800000
	v_and_b32_e32 v15, 0x7f800000, v16
	v_cmp_ne_u32_e32 vcc, s4, v15
                                        ; implicit-def: $vgpr15
	s_and_saveexec_b64 s[4:5], vcc
	s_xor_b64 s[4:5], exec, s[4:5]
; %bb.558:
	v_bfe_u32 v15, v16, 16, 1
	s_movk_i32 s6, 0x7fff
	v_add3_u32 v15, v16, v15, s6
                                        ; implicit-def: $vgpr16_vgpr17
; %bb.559:
	s_andn2_saveexec_b64 s[4:5], s[4:5]
; %bb.560:
	v_mov_b32_e32 v15, 0
	v_or_b32_e32 v17, 0x10000, v16
	v_cmp_eq_u32_sdwa vcc, v16, v15 src0_sel:WORD_0 src1_sel:DWORD
	s_nop 1
	v_cndmask_b32_e32 v15, v17, v16, vcc
; %bb.561:
	s_or_b64 exec, exec, s[4:5]
	v_lshrrev_b32_e32 v15, 16, v15
.LBB101_562:
	s_or_b64 exec, exec, s[2:3]
	v_and_b32_e32 v15, 0xffff, v15
	v_mov_b32_e32 v16, v38
	s_and_saveexec_b64 s[2:3], s[30:31]
	s_cbranch_execz .LBB101_568
; %bb.563:
	v_lshlrev_b32_e32 v16, 16, v15
	v_lshlrev_b32_e32 v18, 16, v38
	v_pk_add_f32 v[16:17], v[16:17], v[18:19] op_sel_hi:[0,1]
	s_mov_b32 s4, 0x7f800000
	v_and_b32_e32 v17, 0x7f800000, v16
	v_cmp_ne_u32_e32 vcc, s4, v17
                                        ; implicit-def: $vgpr18
	s_and_saveexec_b64 s[4:5], vcc
	s_xor_b64 s[4:5], exec, s[4:5]
; %bb.564:
	v_bfe_u32 v17, v16, 16, 1
	s_movk_i32 s6, 0x7fff
	v_add3_u32 v18, v16, v17, s6
                                        ; implicit-def: $vgpr16_vgpr17
; %bb.565:
	s_andn2_saveexec_b64 s[4:5], s[4:5]
; %bb.566:
	v_mov_b32_e32 v17, 0
	v_or_b32_e32 v18, 0x10000, v16
	v_cmp_eq_u32_sdwa vcc, v16, v17 src0_sel:WORD_0 src1_sel:DWORD
	s_nop 1
	v_cndmask_b32_e32 v18, v18, v16, vcc
; %bb.567:
	s_or_b64 exec, exec, s[4:5]
	v_lshrrev_b32_e32 v16, 16, v18
.LBB101_568:
	s_or_b64 exec, exec, s[2:3]
	v_and_b32_e32 v16, 0xffff, v16
	v_mov_b32_e32 v17, v39
	s_and_saveexec_b64 s[2:3], s[34:35]
	s_cbranch_execz .LBB101_574
; %bb.569:
	v_lshlrev_b32_e32 v18, 16, v16
	v_lshlrev_b32_e32 v20, 16, v39
	v_pk_add_f32 v[18:19], v[18:19], v[20:21] op_sel_hi:[0,1]
	s_mov_b32 s4, 0x7f800000
	v_and_b32_e32 v17, 0x7f800000, v18
	v_cmp_ne_u32_e32 vcc, s4, v17
                                        ; implicit-def: $vgpr17
	s_and_saveexec_b64 s[4:5], vcc
	s_xor_b64 s[4:5], exec, s[4:5]
; %bb.570:
	v_bfe_u32 v17, v18, 16, 1
	s_movk_i32 s6, 0x7fff
	v_add3_u32 v17, v18, v17, s6
                                        ; implicit-def: $vgpr18_vgpr19
; %bb.571:
	s_andn2_saveexec_b64 s[4:5], s[4:5]
; %bb.572:
	v_mov_b32_e32 v17, 0
	v_or_b32_e32 v19, 0x10000, v18
	v_cmp_eq_u32_sdwa vcc, v18, v17 src0_sel:WORD_0 src1_sel:DWORD
	s_nop 1
	v_cndmask_b32_e32 v17, v19, v18, vcc
; %bb.573:
	s_or_b64 exec, exec, s[4:5]
	v_lshrrev_b32_e32 v17, 16, v17
.LBB101_574:
	s_or_b64 exec, exec, s[2:3]
	v_and_b32_e32 v17, 0xffff, v17
	v_mov_b32_e32 v18, v36
	s_and_saveexec_b64 s[2:3], s[36:37]
	s_cbranch_execz .LBB101_580
; %bb.575:
	v_lshlrev_b32_e32 v18, 16, v17
	v_lshlrev_b32_e32 v20, 16, v36
	v_pk_add_f32 v[18:19], v[18:19], v[20:21] op_sel_hi:[0,1]
	s_mov_b32 s4, 0x7f800000
	v_and_b32_e32 v19, 0x7f800000, v18
	v_cmp_ne_u32_e32 vcc, s4, v19
                                        ; implicit-def: $vgpr20
	s_and_saveexec_b64 s[4:5], vcc
	s_xor_b64 s[4:5], exec, s[4:5]
; %bb.576:
	v_bfe_u32 v19, v18, 16, 1
	s_movk_i32 s6, 0x7fff
	v_add3_u32 v20, v18, v19, s6
                                        ; implicit-def: $vgpr18_vgpr19
; %bb.577:
	s_andn2_saveexec_b64 s[4:5], s[4:5]
; %bb.578:
	v_mov_b32_e32 v19, 0
	v_or_b32_e32 v20, 0x10000, v18
	v_cmp_eq_u32_sdwa vcc, v18, v19 src0_sel:WORD_0 src1_sel:DWORD
	s_nop 1
	v_cndmask_b32_e32 v20, v20, v18, vcc
; %bb.579:
	s_or_b64 exec, exec, s[4:5]
	v_lshrrev_b32_e32 v18, 16, v20
.LBB101_580:
	s_or_b64 exec, exec, s[2:3]
	v_and_b32_e32 v18, 0xffff, v18
	v_mov_b32_e32 v19, v37
	s_and_saveexec_b64 s[2:3], s[38:39]
	s_cbranch_execz .LBB101_586
; %bb.581:
	v_lshlrev_b32_e32 v20, 16, v18
	v_lshlrev_b32_e32 v22, 16, v37
	v_pk_add_f32 v[20:21], v[20:21], v[22:23] op_sel_hi:[0,1]
	s_mov_b32 s4, 0x7f800000
	v_and_b32_e32 v19, 0x7f800000, v20
	v_cmp_ne_u32_e32 vcc, s4, v19
                                        ; implicit-def: $vgpr19
	s_and_saveexec_b64 s[4:5], vcc
	s_xor_b64 s[4:5], exec, s[4:5]
; %bb.582:
	v_bfe_u32 v19, v20, 16, 1
	s_movk_i32 s6, 0x7fff
	v_add3_u32 v19, v20, v19, s6
                                        ; implicit-def: $vgpr20_vgpr21
; %bb.583:
	s_andn2_saveexec_b64 s[4:5], s[4:5]
; %bb.584:
	v_mov_b32_e32 v19, 0
	v_or_b32_e32 v21, 0x10000, v20
	v_cmp_eq_u32_sdwa vcc, v20, v19 src0_sel:WORD_0 src1_sel:DWORD
	s_nop 1
	v_cndmask_b32_e32 v19, v21, v20, vcc
; %bb.585:
	s_or_b64 exec, exec, s[4:5]
	v_lshrrev_b32_e32 v19, 16, v19
.LBB101_586:
	s_or_b64 exec, exec, s[2:3]
	v_and_b32_e32 v19, 0xffff, v19
	v_mov_b32_e32 v20, v34
	s_and_saveexec_b64 s[2:3], s[40:41]
	s_cbranch_execz .LBB101_592
; %bb.587:
	v_lshlrev_b32_e32 v20, 16, v19
	v_lshlrev_b32_e32 v22, 16, v34
	v_pk_add_f32 v[20:21], v[20:21], v[22:23] op_sel_hi:[0,1]
	s_mov_b32 s4, 0x7f800000
	v_and_b32_e32 v21, 0x7f800000, v20
	v_cmp_ne_u32_e32 vcc, s4, v21
                                        ; implicit-def: $vgpr22
	s_and_saveexec_b64 s[4:5], vcc
	s_xor_b64 s[4:5], exec, s[4:5]
; %bb.588:
	v_bfe_u32 v21, v20, 16, 1
	s_movk_i32 s6, 0x7fff
	v_add3_u32 v22, v20, v21, s6
                                        ; implicit-def: $vgpr20_vgpr21
; %bb.589:
	s_andn2_saveexec_b64 s[4:5], s[4:5]
; %bb.590:
	v_mov_b32_e32 v21, 0
	v_or_b32_e32 v22, 0x10000, v20
	v_cmp_eq_u32_sdwa vcc, v20, v21 src0_sel:WORD_0 src1_sel:DWORD
	s_nop 1
	v_cndmask_b32_e32 v22, v22, v20, vcc
; %bb.591:
	s_or_b64 exec, exec, s[4:5]
	v_lshrrev_b32_e32 v20, 16, v22
.LBB101_592:
	s_or_b64 exec, exec, s[2:3]
	v_and_b32_e32 v20, 0xffff, v20
	v_mov_b32_e32 v21, v35
	s_and_saveexec_b64 s[2:3], s[42:43]
	s_cbranch_execz .LBB101_598
; %bb.593:
	v_lshlrev_b32_e32 v22, 16, v20
	v_lshlrev_b32_e32 v24, 16, v35
	v_pk_add_f32 v[22:23], v[22:23], v[24:25] op_sel_hi:[0,1]
	s_mov_b32 s4, 0x7f800000
	v_and_b32_e32 v21, 0x7f800000, v22
	v_cmp_ne_u32_e32 vcc, s4, v21
                                        ; implicit-def: $vgpr21
	s_and_saveexec_b64 s[4:5], vcc
	s_xor_b64 s[4:5], exec, s[4:5]
; %bb.594:
	v_bfe_u32 v21, v22, 16, 1
	s_movk_i32 s6, 0x7fff
	v_add3_u32 v21, v22, v21, s6
                                        ; implicit-def: $vgpr22_vgpr23
; %bb.595:
	s_andn2_saveexec_b64 s[4:5], s[4:5]
; %bb.596:
	v_mov_b32_e32 v21, 0
	v_or_b32_e32 v23, 0x10000, v22
	v_cmp_eq_u32_sdwa vcc, v22, v21 src0_sel:WORD_0 src1_sel:DWORD
	s_nop 1
	v_cndmask_b32_e32 v21, v23, v22, vcc
; %bb.597:
	s_or_b64 exec, exec, s[4:5]
	v_lshrrev_b32_e32 v21, 16, v21
.LBB101_598:
	s_or_b64 exec, exec, s[2:3]
	v_and_b32_e32 v21, 0xffff, v21
	v_mov_b32_e32 v22, v32
	s_and_saveexec_b64 s[2:3], s[44:45]
	s_cbranch_execz .LBB101_604
; %bb.599:
	v_lshlrev_b32_e32 v22, 16, v21
	v_lshlrev_b32_e32 v24, 16, v32
	v_pk_add_f32 v[22:23], v[22:23], v[24:25] op_sel_hi:[0,1]
	s_mov_b32 s4, 0x7f800000
	v_and_b32_e32 v23, 0x7f800000, v22
	v_cmp_ne_u32_e32 vcc, s4, v23
                                        ; implicit-def: $vgpr24
	s_and_saveexec_b64 s[4:5], vcc
	s_xor_b64 s[4:5], exec, s[4:5]
; %bb.600:
	v_bfe_u32 v23, v22, 16, 1
	s_movk_i32 s6, 0x7fff
	v_add3_u32 v24, v22, v23, s6
                                        ; implicit-def: $vgpr22_vgpr23
; %bb.601:
	s_andn2_saveexec_b64 s[4:5], s[4:5]
; %bb.602:
	v_mov_b32_e32 v23, 0
	v_or_b32_e32 v24, 0x10000, v22
	v_cmp_eq_u32_sdwa vcc, v22, v23 src0_sel:WORD_0 src1_sel:DWORD
	s_nop 1
	v_cndmask_b32_e32 v24, v24, v22, vcc
; %bb.603:
	s_or_b64 exec, exec, s[4:5]
	v_lshrrev_b32_e32 v22, 16, v24
.LBB101_604:
	s_or_b64 exec, exec, s[2:3]
	v_and_b32_e32 v26, 0xffff, v22
	v_mov_b32_e32 v22, v33
	s_and_saveexec_b64 s[2:3], s[46:47]
	s_cbranch_execz .LBB101_610
; %bb.605:
	v_lshlrev_b32_e32 v22, 16, v26
	v_lshlrev_b32_e32 v24, 16, v33
	v_pk_add_f32 v[22:23], v[22:23], v[24:25] op_sel_hi:[0,1]
	s_mov_b32 s4, 0x7f800000
	v_and_b32_e32 v23, 0x7f800000, v22
	v_cmp_ne_u32_e32 vcc, s4, v23
                                        ; implicit-def: $vgpr24
	s_and_saveexec_b64 s[4:5], vcc
	s_xor_b64 s[4:5], exec, s[4:5]
; %bb.606:
	v_bfe_u32 v23, v22, 16, 1
	s_movk_i32 s6, 0x7fff
	v_add3_u32 v24, v22, v23, s6
                                        ; implicit-def: $vgpr22_vgpr23
; %bb.607:
	s_andn2_saveexec_b64 s[4:5], s[4:5]
; %bb.608:
	v_mov_b32_e32 v23, 0
	v_or_b32_e32 v24, 0x10000, v22
	v_cmp_eq_u32_sdwa vcc, v22, v23 src0_sel:WORD_0 src1_sel:DWORD
	s_nop 1
	v_cndmask_b32_e32 v24, v24, v22, vcc
; %bb.609:
	s_or_b64 exec, exec, s[4:5]
	v_lshrrev_b32_e32 v22, 16, v24
.LBB101_610:
	;; [unrolled: 32-line block ×3, first 2 shown]
	s_or_b64 exec, exec, s[2:3]
	s_branch .LBB101_998
.LBB101_617:
	s_or_b64 exec, exec, s[60:61]
                                        ; implicit-def: $vgpr30
	s_and_saveexec_b64 s[4:5], s[6:7]
	s_cbranch_execz .LBB101_53
.LBB101_618:
	global_load_ushort v30, v[28:29], off offset:512
	s_or_b64 exec, exec, s[4:5]
                                        ; implicit-def: $vgpr31
	s_and_saveexec_b64 s[4:5], s[8:9]
	s_cbranch_execnz .LBB101_54
.LBB101_619:
	s_or_b64 exec, exec, s[4:5]
                                        ; implicit-def: $vgpr32
	s_and_saveexec_b64 s[4:5], s[10:11]
	s_cbranch_execz .LBB101_55
.LBB101_620:
	global_load_ushort v32, v[28:29], off offset:1536
	s_or_b64 exec, exec, s[4:5]
                                        ; implicit-def: $vgpr33
	s_and_saveexec_b64 s[4:5], s[12:13]
	s_cbranch_execnz .LBB101_56
.LBB101_621:
	s_or_b64 exec, exec, s[4:5]
                                        ; implicit-def: $vgpr34
	s_and_saveexec_b64 s[4:5], s[14:15]
	s_cbranch_execz .LBB101_57
.LBB101_622:
	global_load_ushort v34, v[28:29], off offset:2560
	s_or_b64 exec, exec, s[4:5]
                                        ; implicit-def: $vgpr35
	s_and_saveexec_b64 s[4:5], s[16:17]
	s_cbranch_execnz .LBB101_58
.LBB101_623:
	s_or_b64 exec, exec, s[4:5]
                                        ; implicit-def: $vgpr36
	s_and_saveexec_b64 s[4:5], s[18:19]
	s_cbranch_execz .LBB101_59
.LBB101_624:
	global_load_ushort v36, v[28:29], off offset:3584
	s_or_b64 exec, exec, s[4:5]
                                        ; implicit-def: $vgpr37
	s_and_saveexec_b64 s[4:5], s[20:21]
	s_cbranch_execnz .LBB101_60
.LBB101_625:
	s_or_b64 exec, exec, s[4:5]
                                        ; implicit-def: $vgpr38
	s_and_saveexec_b64 s[4:5], s[22:23]
	s_cbranch_execz .LBB101_61
.LBB101_626:
	v_add_co_u32_e32 v38, vcc, 0x1000, v28
	s_nop 1
	v_addc_co_u32_e32 v39, vcc, 0, v29, vcc
	global_load_ushort v38, v[38:39], off offset:512
	s_or_b64 exec, exec, s[4:5]
                                        ; implicit-def: $vgpr39
	s_and_saveexec_b64 s[4:5], s[24:25]
	s_cbranch_execnz .LBB101_62
.LBB101_627:
	s_or_b64 exec, exec, s[4:5]
                                        ; implicit-def: $vgpr40
	s_and_saveexec_b64 s[4:5], s[26:27]
	s_cbranch_execz .LBB101_63
.LBB101_628:
	v_add_co_u32_e32 v40, vcc, 0x1000, v28
	s_nop 1
	v_addc_co_u32_e32 v41, vcc, 0, v29, vcc
	global_load_ushort v40, v[40:41], off offset:1536
	s_or_b64 exec, exec, s[4:5]
                                        ; implicit-def: $vgpr41
	s_and_saveexec_b64 s[4:5], s[28:29]
	s_cbranch_execnz .LBB101_64
.LBB101_629:
	s_or_b64 exec, exec, s[4:5]
                                        ; implicit-def: $vgpr42
	s_and_saveexec_b64 s[4:5], s[30:31]
	s_cbranch_execz .LBB101_65
.LBB101_630:
	v_add_co_u32_e32 v42, vcc, 0x1000, v28
	s_nop 1
	v_addc_co_u32_e32 v43, vcc, 0, v29, vcc
	global_load_ushort v42, v[42:43], off offset:2560
	s_or_b64 exec, exec, s[4:5]
                                        ; implicit-def: $vgpr43
	s_and_saveexec_b64 s[4:5], s[34:35]
	s_cbranch_execnz .LBB101_66
.LBB101_631:
	s_or_b64 exec, exec, s[4:5]
                                        ; implicit-def: $vgpr44
	s_and_saveexec_b64 s[4:5], s[36:37]
	s_cbranch_execz .LBB101_67
.LBB101_632:
	v_add_co_u32_e32 v44, vcc, 0x1000, v28
	s_nop 1
	v_addc_co_u32_e32 v45, vcc, 0, v29, vcc
	global_load_ushort v44, v[44:45], off offset:3584
	s_or_b64 exec, exec, s[4:5]
                                        ; implicit-def: $vgpr45
	s_and_saveexec_b64 s[4:5], s[38:39]
	s_cbranch_execnz .LBB101_68
.LBB101_633:
	s_or_b64 exec, exec, s[4:5]
                                        ; implicit-def: $vgpr46
	s_and_saveexec_b64 s[4:5], s[40:41]
	s_cbranch_execz .LBB101_69
.LBB101_634:
	v_add_co_u32_e32 v46, vcc, 0x2000, v28
	s_nop 1
	v_addc_co_u32_e32 v47, vcc, 0, v29, vcc
	global_load_ushort v46, v[46:47], off offset:512
	s_or_b64 exec, exec, s[4:5]
                                        ; implicit-def: $vgpr47
	s_and_saveexec_b64 s[4:5], s[42:43]
	s_cbranch_execnz .LBB101_70
.LBB101_635:
	s_or_b64 exec, exec, s[4:5]
                                        ; implicit-def: $vgpr48
	s_and_saveexec_b64 s[4:5], s[44:45]
	s_cbranch_execz .LBB101_71
.LBB101_636:
	v_add_co_u32_e32 v48, vcc, 0x2000, v28
	s_nop 1
	v_addc_co_u32_e32 v49, vcc, 0, v29, vcc
	global_load_ushort v48, v[48:49], off offset:1536
	s_or_b64 exec, exec, s[4:5]
                                        ; implicit-def: $vgpr49
	s_and_saveexec_b64 s[4:5], s[46:47]
	s_cbranch_execnz .LBB101_72
.LBB101_637:
	s_or_b64 exec, exec, s[4:5]
                                        ; implicit-def: $vgpr50
	s_and_saveexec_b64 s[4:5], s[48:49]
	s_cbranch_execz .LBB101_73
.LBB101_638:
	v_add_co_u32_e32 v50, vcc, 0x2000, v28
	s_nop 1
	v_addc_co_u32_e32 v51, vcc, 0, v29, vcc
	global_load_ushort v50, v[50:51], off offset:2560
	s_or_b64 exec, exec, s[4:5]
                                        ; implicit-def: $vgpr51
	s_and_saveexec_b64 s[4:5], s[50:51]
	s_cbranch_execz .LBB101_75
	s_branch .LBB101_74
.LBB101_639:
                                        ; implicit-def: $vgpr29
                                        ; implicit-def: $vgpr28
                                        ; implicit-def: $vgpr26_vgpr27
                                        ; implicit-def: $vgpr18_vgpr19_vgpr20_vgpr21
                                        ; implicit-def: $vgpr14_vgpr15_vgpr16_vgpr17
                                        ; implicit-def: $vgpr10_vgpr11_vgpr12_vgpr13
                                        ; implicit-def: $vgpr6_vgpr7_vgpr8_vgpr9
                                        ; implicit-def: $vgpr2_vgpr3_vgpr4_vgpr5
	s_cbranch_execz .LBB101_998
; %bb.640:
	s_cmp_eq_u64 s[66:67], 0
	v_mov_b32_e32 v72, s76
	s_cbranch_scc1 .LBB101_642
; %bb.641:
	v_mov_b32_e32 v2, 0
	global_load_ushort v72, v2, s[66:67]
.LBB101_642:
	s_mov_b32 s2, 0x10000
	v_cmp_gt_u32_e32 vcc, s2, v30
	v_lshlrev_b32_e32 v62, 16, v31
	v_lshlrev_b32_e32 v2, 16, v30
	v_mov_b32_e32 v3, v30
	s_and_saveexec_b64 s[4:5], vcc
	s_cbranch_execz .LBB101_648
; %bb.643:
	v_pk_add_f32 v[4:5], v[62:63], v[2:3] op_sel_hi:[0,1]
	s_mov_b32 s2, 0x7f800000
	v_and_b32_e32 v3, 0x7f800000, v4
	v_cmp_ne_u32_e64 s[2:3], s2, v3
                                        ; implicit-def: $vgpr3
	s_and_saveexec_b64 s[6:7], s[2:3]
	s_xor_b64 s[2:3], exec, s[6:7]
; %bb.644:
	v_bfe_u32 v3, v4, 16, 1
	s_movk_i32 s6, 0x7fff
	v_add3_u32 v3, v4, v3, s6
                                        ; implicit-def: $vgpr4_vgpr5
; %bb.645:
	s_andn2_saveexec_b64 s[6:7], s[2:3]
; %bb.646:
	v_mov_b32_e32 v3, 0
	v_or_b32_e32 v5, 0x10000, v4
	v_cmp_eq_u32_sdwa s[2:3], v4, v3 src0_sel:WORD_0 src1_sel:DWORD
	s_nop 1
	v_cndmask_b32_e64 v3, v5, v4, s[2:3]
; %bb.647:
	s_or_b64 exec, exec, s[6:7]
	v_lshrrev_b32_e32 v3, 16, v3
.LBB101_648:
	s_or_b64 exec, exec, s[4:5]
	s_mov_b32 s2, 0x10000
	v_cmp_gt_u32_e64 s[4:5], s2, v50
	v_lshlrev_b32_e32 v4, 16, v50
	v_mov_b32_e32 v5, v50
	s_and_saveexec_b64 s[6:7], s[4:5]
	s_cbranch_execz .LBB101_654
; %bb.649:
	v_lshlrev_b32_e32 v6, 16, v3
	v_pk_add_f32 v[6:7], v[6:7], v[4:5] op_sel_hi:[0,1]
	s_mov_b32 s2, 0x7f800000
	v_and_b32_e32 v3, 0x7f800000, v6
	v_cmp_ne_u32_e64 s[2:3], s2, v3
                                        ; implicit-def: $vgpr3
	s_and_saveexec_b64 s[8:9], s[2:3]
	s_xor_b64 s[2:3], exec, s[8:9]
; %bb.650:
	v_bfe_u32 v3, v6, 16, 1
	s_movk_i32 s8, 0x7fff
	v_add3_u32 v3, v6, v3, s8
                                        ; implicit-def: $vgpr6_vgpr7
; %bb.651:
	s_andn2_saveexec_b64 s[8:9], s[2:3]
; %bb.652:
	v_mov_b32_e32 v3, 0
	v_or_b32_e32 v5, 0x10000, v6
	v_cmp_eq_u32_sdwa s[2:3], v6, v3 src0_sel:WORD_0 src1_sel:DWORD
	s_nop 1
	v_cndmask_b32_e64 v3, v5, v6, s[2:3]
; %bb.653:
	s_or_b64 exec, exec, s[8:9]
	v_lshrrev_b32_e32 v5, 16, v3
.LBB101_654:
	s_or_b64 exec, exec, s[6:7]
	s_mov_b32 s2, 0x10000
	v_cmp_gt_u32_e64 s[6:7], s2, v51
	v_lshlrev_b32_e32 v6, 16, v51
	v_mov_b32_e32 v3, v51
	s_and_saveexec_b64 s[8:9], s[6:7]
	s_cbranch_execz .LBB101_660
; %bb.655:
	v_lshlrev_b32_e32 v8, 16, v5
	v_pk_add_f32 v[8:9], v[8:9], v[6:7] op_sel_hi:[0,1]
	s_mov_b32 s2, 0x7f800000
	v_and_b32_e32 v3, 0x7f800000, v8
	v_cmp_ne_u32_e64 s[2:3], s2, v3
                                        ; implicit-def: $vgpr3
	s_and_saveexec_b64 s[10:11], s[2:3]
	s_xor_b64 s[2:3], exec, s[10:11]
; %bb.656:
	v_bfe_u32 v3, v8, 16, 1
	s_movk_i32 s10, 0x7fff
	v_add3_u32 v3, v8, v3, s10
                                        ; implicit-def: $vgpr8_vgpr9
; %bb.657:
	s_andn2_saveexec_b64 s[10:11], s[2:3]
; %bb.658:
	v_mov_b32_e32 v3, 0
	v_or_b32_e32 v5, 0x10000, v8
	v_cmp_eq_u32_sdwa s[2:3], v8, v3 src0_sel:WORD_0 src1_sel:DWORD
	s_nop 1
	v_cndmask_b32_e64 v3, v5, v8, s[2:3]
; %bb.659:
	s_or_b64 exec, exec, s[10:11]
	v_lshrrev_b32_e32 v3, 16, v3
.LBB101_660:
	s_or_b64 exec, exec, s[8:9]
	s_mov_b32 s2, 0x10000
	v_cmp_gt_u32_e64 s[8:9], s2, v48
	v_lshlrev_b32_e32 v8, 16, v48
	v_mov_b32_e32 v5, v48
	s_and_saveexec_b64 s[10:11], s[8:9]
	s_cbranch_execz .LBB101_666
; %bb.661:
	v_lshlrev_b32_e32 v10, 16, v3
	v_pk_add_f32 v[10:11], v[10:11], v[8:9] op_sel_hi:[0,1]
	s_mov_b32 s2, 0x7f800000
	v_and_b32_e32 v3, 0x7f800000, v10
	v_cmp_ne_u32_e64 s[2:3], s2, v3
                                        ; implicit-def: $vgpr3
	s_and_saveexec_b64 s[12:13], s[2:3]
	s_xor_b64 s[2:3], exec, s[12:13]
; %bb.662:
	v_bfe_u32 v3, v10, 16, 1
	s_movk_i32 s12, 0x7fff
	v_add3_u32 v3, v10, v3, s12
                                        ; implicit-def: $vgpr10_vgpr11
; %bb.663:
	s_andn2_saveexec_b64 s[12:13], s[2:3]
; %bb.664:
	v_mov_b32_e32 v3, 0
	v_or_b32_e32 v5, 0x10000, v10
	v_cmp_eq_u32_sdwa s[2:3], v10, v3 src0_sel:WORD_0 src1_sel:DWORD
	s_nop 1
	v_cndmask_b32_e64 v3, v5, v10, s[2:3]
; %bb.665:
	s_or_b64 exec, exec, s[12:13]
	v_lshrrev_b32_e32 v5, 16, v3
.LBB101_666:
	s_or_b64 exec, exec, s[10:11]
	s_mov_b32 s2, 0x10000
	v_cmp_gt_u32_e64 s[10:11], s2, v49
	v_lshlrev_b32_e32 v10, 16, v49
	v_mov_b32_e32 v3, v49
	s_and_saveexec_b64 s[12:13], s[10:11]
	s_cbranch_execz .LBB101_672
; %bb.667:
	v_lshlrev_b32_e32 v12, 16, v5
	v_pk_add_f32 v[12:13], v[12:13], v[10:11] op_sel_hi:[0,1]
	s_mov_b32 s2, 0x7f800000
	v_and_b32_e32 v3, 0x7f800000, v12
	v_cmp_ne_u32_e64 s[2:3], s2, v3
                                        ; implicit-def: $vgpr3
	s_and_saveexec_b64 s[14:15], s[2:3]
	s_xor_b64 s[2:3], exec, s[14:15]
; %bb.668:
	v_bfe_u32 v3, v12, 16, 1
	s_movk_i32 s14, 0x7fff
	v_add3_u32 v3, v12, v3, s14
                                        ; implicit-def: $vgpr12_vgpr13
; %bb.669:
	s_andn2_saveexec_b64 s[14:15], s[2:3]
; %bb.670:
	v_mov_b32_e32 v3, 0
	v_or_b32_e32 v5, 0x10000, v12
	v_cmp_eq_u32_sdwa s[2:3], v12, v3 src0_sel:WORD_0 src1_sel:DWORD
	s_nop 1
	v_cndmask_b32_e64 v3, v5, v12, s[2:3]
; %bb.671:
	s_or_b64 exec, exec, s[14:15]
	v_lshrrev_b32_e32 v3, 16, v3
.LBB101_672:
	s_or_b64 exec, exec, s[12:13]
	s_mov_b32 s2, 0x10000
	v_cmp_gt_u32_e64 s[12:13], s2, v46
	v_lshlrev_b32_e32 v12, 16, v46
	v_mov_b32_e32 v5, v46
	s_and_saveexec_b64 s[14:15], s[12:13]
	s_cbranch_execz .LBB101_678
; %bb.673:
	v_lshlrev_b32_e32 v14, 16, v3
	v_pk_add_f32 v[14:15], v[14:15], v[12:13] op_sel_hi:[0,1]
	s_mov_b32 s2, 0x7f800000
	v_and_b32_e32 v3, 0x7f800000, v14
	v_cmp_ne_u32_e64 s[2:3], s2, v3
                                        ; implicit-def: $vgpr3
	s_and_saveexec_b64 s[16:17], s[2:3]
	s_xor_b64 s[2:3], exec, s[16:17]
; %bb.674:
	v_bfe_u32 v3, v14, 16, 1
	s_movk_i32 s16, 0x7fff
	v_add3_u32 v3, v14, v3, s16
                                        ; implicit-def: $vgpr14_vgpr15
; %bb.675:
	s_andn2_saveexec_b64 s[16:17], s[2:3]
; %bb.676:
	v_mov_b32_e32 v3, 0
	v_or_b32_e32 v5, 0x10000, v14
	v_cmp_eq_u32_sdwa s[2:3], v14, v3 src0_sel:WORD_0 src1_sel:DWORD
	s_nop 1
	v_cndmask_b32_e64 v3, v5, v14, s[2:3]
; %bb.677:
	s_or_b64 exec, exec, s[16:17]
	v_lshrrev_b32_e32 v5, 16, v3
.LBB101_678:
	s_or_b64 exec, exec, s[14:15]
	s_mov_b32 s2, 0x10000
	v_cmp_gt_u32_e64 s[14:15], s2, v47
	v_lshlrev_b32_e32 v14, 16, v47
	v_mov_b32_e32 v3, v47
	s_and_saveexec_b64 s[16:17], s[14:15]
	s_cbranch_execz .LBB101_684
; %bb.679:
	v_lshlrev_b32_e32 v16, 16, v5
	v_pk_add_f32 v[16:17], v[16:17], v[14:15] op_sel_hi:[0,1]
	s_mov_b32 s2, 0x7f800000
	v_and_b32_e32 v3, 0x7f800000, v16
	v_cmp_ne_u32_e64 s[2:3], s2, v3
                                        ; implicit-def: $vgpr3
	s_and_saveexec_b64 s[18:19], s[2:3]
	s_xor_b64 s[2:3], exec, s[18:19]
; %bb.680:
	v_bfe_u32 v3, v16, 16, 1
	s_movk_i32 s18, 0x7fff
	v_add3_u32 v3, v16, v3, s18
                                        ; implicit-def: $vgpr16_vgpr17
; %bb.681:
	s_andn2_saveexec_b64 s[18:19], s[2:3]
; %bb.682:
	v_mov_b32_e32 v3, 0
	v_or_b32_e32 v5, 0x10000, v16
	v_cmp_eq_u32_sdwa s[2:3], v16, v3 src0_sel:WORD_0 src1_sel:DWORD
	s_nop 1
	v_cndmask_b32_e64 v3, v5, v16, s[2:3]
; %bb.683:
	s_or_b64 exec, exec, s[18:19]
	v_lshrrev_b32_e32 v3, 16, v3
.LBB101_684:
	s_or_b64 exec, exec, s[16:17]
	s_mov_b32 s2, 0x10000
	v_cmp_gt_u32_e64 s[16:17], s2, v44
	v_lshlrev_b32_e32 v16, 16, v44
	v_mov_b32_e32 v5, v44
	s_and_saveexec_b64 s[18:19], s[16:17]
	s_cbranch_execz .LBB101_690
; %bb.685:
	v_lshlrev_b32_e32 v18, 16, v3
	v_pk_add_f32 v[18:19], v[18:19], v[16:17] op_sel_hi:[0,1]
	s_mov_b32 s2, 0x7f800000
	v_and_b32_e32 v3, 0x7f800000, v18
	v_cmp_ne_u32_e64 s[2:3], s2, v3
                                        ; implicit-def: $vgpr3
	s_and_saveexec_b64 s[20:21], s[2:3]
	s_xor_b64 s[2:3], exec, s[20:21]
; %bb.686:
	v_bfe_u32 v3, v18, 16, 1
	s_movk_i32 s20, 0x7fff
	v_add3_u32 v3, v18, v3, s20
                                        ; implicit-def: $vgpr18_vgpr19
; %bb.687:
	s_andn2_saveexec_b64 s[20:21], s[2:3]
; %bb.688:
	v_mov_b32_e32 v3, 0
	v_or_b32_e32 v5, 0x10000, v18
	v_cmp_eq_u32_sdwa s[2:3], v18, v3 src0_sel:WORD_0 src1_sel:DWORD
	s_nop 1
	v_cndmask_b32_e64 v3, v5, v18, s[2:3]
; %bb.689:
	s_or_b64 exec, exec, s[20:21]
	v_lshrrev_b32_e32 v5, 16, v3
.LBB101_690:
	s_or_b64 exec, exec, s[18:19]
	s_mov_b32 s2, 0x10000
	v_cmp_gt_u32_e64 s[18:19], s2, v45
	v_lshlrev_b32_e32 v18, 16, v45
	v_mov_b32_e32 v3, v45
	s_and_saveexec_b64 s[20:21], s[18:19]
	s_cbranch_execz .LBB101_696
; %bb.691:
	v_lshlrev_b32_e32 v20, 16, v5
	v_pk_add_f32 v[20:21], v[20:21], v[18:19] op_sel_hi:[0,1]
	s_mov_b32 s2, 0x7f800000
	v_and_b32_e32 v3, 0x7f800000, v20
	v_cmp_ne_u32_e64 s[2:3], s2, v3
                                        ; implicit-def: $vgpr3
	s_and_saveexec_b64 s[22:23], s[2:3]
	s_xor_b64 s[2:3], exec, s[22:23]
; %bb.692:
	v_bfe_u32 v3, v20, 16, 1
	s_movk_i32 s22, 0x7fff
	v_add3_u32 v3, v20, v3, s22
                                        ; implicit-def: $vgpr20_vgpr21
; %bb.693:
	s_andn2_saveexec_b64 s[22:23], s[2:3]
; %bb.694:
	v_mov_b32_e32 v3, 0
	v_or_b32_e32 v5, 0x10000, v20
	v_cmp_eq_u32_sdwa s[2:3], v20, v3 src0_sel:WORD_0 src1_sel:DWORD
	s_nop 1
	v_cndmask_b32_e64 v3, v5, v20, s[2:3]
; %bb.695:
	s_or_b64 exec, exec, s[22:23]
	v_lshrrev_b32_e32 v3, 16, v3
.LBB101_696:
	s_or_b64 exec, exec, s[20:21]
	s_mov_b32 s2, 0x10000
	v_cmp_gt_u32_e64 s[20:21], s2, v42
	v_lshlrev_b32_e32 v20, 16, v42
	v_mov_b32_e32 v5, v42
	s_and_saveexec_b64 s[22:23], s[20:21]
	s_cbranch_execz .LBB101_702
; %bb.697:
	v_lshlrev_b32_e32 v22, 16, v3
	v_pk_add_f32 v[22:23], v[22:23], v[20:21] op_sel_hi:[0,1]
	s_mov_b32 s2, 0x7f800000
	v_and_b32_e32 v3, 0x7f800000, v22
	v_cmp_ne_u32_e64 s[2:3], s2, v3
                                        ; implicit-def: $vgpr3
	s_and_saveexec_b64 s[24:25], s[2:3]
	s_xor_b64 s[2:3], exec, s[24:25]
; %bb.698:
	v_bfe_u32 v3, v22, 16, 1
	s_movk_i32 s24, 0x7fff
	v_add3_u32 v3, v22, v3, s24
                                        ; implicit-def: $vgpr22_vgpr23
; %bb.699:
	s_andn2_saveexec_b64 s[24:25], s[2:3]
; %bb.700:
	v_mov_b32_e32 v3, 0
	v_or_b32_e32 v5, 0x10000, v22
	v_cmp_eq_u32_sdwa s[2:3], v22, v3 src0_sel:WORD_0 src1_sel:DWORD
	s_nop 1
	v_cndmask_b32_e64 v3, v5, v22, s[2:3]
; %bb.701:
	s_or_b64 exec, exec, s[24:25]
	v_lshrrev_b32_e32 v5, 16, v3
.LBB101_702:
	s_or_b64 exec, exec, s[22:23]
	s_mov_b32 s2, 0x10000
	v_cmp_gt_u32_e64 s[22:23], s2, v43
	v_lshlrev_b32_e32 v22, 16, v43
	v_mov_b32_e32 v3, v43
	s_and_saveexec_b64 s[24:25], s[22:23]
	s_cbranch_execz .LBB101_708
; %bb.703:
	v_lshlrev_b32_e32 v24, 16, v5
	v_pk_add_f32 v[24:25], v[24:25], v[22:23] op_sel_hi:[0,1]
	s_mov_b32 s2, 0x7f800000
	v_and_b32_e32 v3, 0x7f800000, v24
	v_cmp_ne_u32_e64 s[2:3], s2, v3
                                        ; implicit-def: $vgpr3
	s_and_saveexec_b64 s[26:27], s[2:3]
	s_xor_b64 s[2:3], exec, s[26:27]
; %bb.704:
	v_bfe_u32 v3, v24, 16, 1
	s_movk_i32 s26, 0x7fff
	v_add3_u32 v3, v24, v3, s26
                                        ; implicit-def: $vgpr24_vgpr25
; %bb.705:
	s_andn2_saveexec_b64 s[26:27], s[2:3]
; %bb.706:
	v_mov_b32_e32 v3, 0
	v_or_b32_e32 v5, 0x10000, v24
	v_cmp_eq_u32_sdwa s[2:3], v24, v3 src0_sel:WORD_0 src1_sel:DWORD
	s_nop 1
	v_cndmask_b32_e64 v3, v5, v24, s[2:3]
; %bb.707:
	s_or_b64 exec, exec, s[26:27]
	v_lshrrev_b32_e32 v3, 16, v3
.LBB101_708:
	s_or_b64 exec, exec, s[24:25]
	s_mov_b32 s2, 0x10000
	v_cmp_gt_u32_e64 s[24:25], s2, v40
	v_lshlrev_b32_e32 v24, 16, v40
	v_mov_b32_e32 v5, v40
	s_and_saveexec_b64 s[26:27], s[24:25]
	s_cbranch_execz .LBB101_714
; %bb.709:
	v_lshlrev_b32_e32 v26, 16, v3
	v_pk_add_f32 v[26:27], v[26:27], v[24:25] op_sel_hi:[0,1]
	s_mov_b32 s2, 0x7f800000
	v_and_b32_e32 v3, 0x7f800000, v26
	v_cmp_ne_u32_e64 s[2:3], s2, v3
                                        ; implicit-def: $vgpr3
	s_and_saveexec_b64 s[28:29], s[2:3]
	s_xor_b64 s[2:3], exec, s[28:29]
; %bb.710:
	v_bfe_u32 v3, v26, 16, 1
	s_movk_i32 s28, 0x7fff
	v_add3_u32 v3, v26, v3, s28
                                        ; implicit-def: $vgpr26_vgpr27
; %bb.711:
	s_andn2_saveexec_b64 s[28:29], s[2:3]
; %bb.712:
	v_mov_b32_e32 v3, 0
	v_or_b32_e32 v5, 0x10000, v26
	v_cmp_eq_u32_sdwa s[2:3], v26, v3 src0_sel:WORD_0 src1_sel:DWORD
	s_nop 1
	v_cndmask_b32_e64 v3, v5, v26, s[2:3]
; %bb.713:
	s_or_b64 exec, exec, s[28:29]
	v_lshrrev_b32_e32 v5, 16, v3
.LBB101_714:
	s_or_b64 exec, exec, s[26:27]
	s_mov_b32 s2, 0x10000
	v_cmp_gt_u32_e64 s[26:27], s2, v41
	v_lshlrev_b32_e32 v26, 16, v41
	v_mov_b32_e32 v3, v41
	s_and_saveexec_b64 s[28:29], s[26:27]
	s_cbranch_execz .LBB101_720
; %bb.715:
	v_lshlrev_b32_e32 v28, 16, v5
	s_waitcnt lgkmcnt(0)
	v_pk_add_f32 v[28:29], v[28:29], v[26:27] op_sel_hi:[0,1]
	s_mov_b32 s2, 0x7f800000
	v_and_b32_e32 v3, 0x7f800000, v28
	v_cmp_ne_u32_e64 s[2:3], s2, v3
                                        ; implicit-def: $vgpr3
	s_and_saveexec_b64 s[30:31], s[2:3]
	s_xor_b64 s[2:3], exec, s[30:31]
; %bb.716:
	v_bfe_u32 v3, v28, 16, 1
	s_movk_i32 s30, 0x7fff
	v_add3_u32 v3, v28, v3, s30
                                        ; implicit-def: $vgpr28_vgpr29
; %bb.717:
	s_andn2_saveexec_b64 s[30:31], s[2:3]
; %bb.718:
	v_mov_b32_e32 v3, 0
	v_or_b32_e32 v5, 0x10000, v28
	v_cmp_eq_u32_sdwa s[2:3], v28, v3 src0_sel:WORD_0 src1_sel:DWORD
	s_nop 1
	v_cndmask_b32_e64 v3, v5, v28, s[2:3]
; %bb.719:
	s_or_b64 exec, exec, s[30:31]
	v_lshrrev_b32_e32 v3, 16, v3
.LBB101_720:
	s_or_b64 exec, exec, s[28:29]
	s_mov_b32 s2, 0x10000
	v_cmp_gt_u32_e64 s[28:29], s2, v38
	v_lshlrev_b32_e32 v28, 16, v38
	v_mov_b32_e32 v5, v38
	s_and_saveexec_b64 s[30:31], s[28:29]
	s_cbranch_execz .LBB101_726
; %bb.721:
	v_lshlrev_b32_e32 v52, 16, v3
	s_waitcnt lgkmcnt(0)
	v_pk_add_f32 v[52:53], v[52:53], v[28:29] op_sel_hi:[0,1]
	s_mov_b32 s2, 0x7f800000
	v_and_b32_e32 v3, 0x7f800000, v52
	v_cmp_ne_u32_e64 s[2:3], s2, v3
                                        ; implicit-def: $vgpr3
	s_and_saveexec_b64 s[34:35], s[2:3]
	s_xor_b64 s[2:3], exec, s[34:35]
; %bb.722:
	v_bfe_u32 v3, v52, 16, 1
	s_movk_i32 s34, 0x7fff
	v_add3_u32 v3, v52, v3, s34
                                        ; implicit-def: $vgpr52_vgpr53
; %bb.723:
	s_andn2_saveexec_b64 s[34:35], s[2:3]
; %bb.724:
	v_mov_b32_e32 v3, 0
	v_or_b32_e32 v5, 0x10000, v52
	v_cmp_eq_u32_sdwa s[2:3], v52, v3 src0_sel:WORD_0 src1_sel:DWORD
	s_nop 1
	v_cndmask_b32_e64 v3, v5, v52, s[2:3]
; %bb.725:
	s_or_b64 exec, exec, s[34:35]
	v_lshrrev_b32_e32 v5, 16, v3
.LBB101_726:
	s_or_b64 exec, exec, s[30:31]
	s_mov_b32 s2, 0x10000
	v_cmp_gt_u32_e64 s[30:31], s2, v39
	v_lshlrev_b32_e32 v52, 16, v39
	v_mov_b32_e32 v3, v39
	s_and_saveexec_b64 s[34:35], s[30:31]
	s_cbranch_execz .LBB101_732
; %bb.727:
	v_lshlrev_b32_e32 v54, 16, v5
	v_pk_add_f32 v[54:55], v[54:55], v[52:53] op_sel_hi:[0,1]
	s_mov_b32 s2, 0x7f800000
	v_and_b32_e32 v3, 0x7f800000, v54
	v_cmp_ne_u32_e64 s[2:3], s2, v3
                                        ; implicit-def: $vgpr3
	s_and_saveexec_b64 s[36:37], s[2:3]
	s_xor_b64 s[2:3], exec, s[36:37]
; %bb.728:
	v_bfe_u32 v3, v54, 16, 1
	s_movk_i32 s36, 0x7fff
	v_add3_u32 v3, v54, v3, s36
                                        ; implicit-def: $vgpr54_vgpr55
; %bb.729:
	s_andn2_saveexec_b64 s[36:37], s[2:3]
; %bb.730:
	v_mov_b32_e32 v3, 0
	v_or_b32_e32 v5, 0x10000, v54
	v_cmp_eq_u32_sdwa s[2:3], v54, v3 src0_sel:WORD_0 src1_sel:DWORD
	s_nop 1
	v_cndmask_b32_e64 v3, v5, v54, s[2:3]
; %bb.731:
	s_or_b64 exec, exec, s[36:37]
	v_lshrrev_b32_e32 v3, 16, v3
.LBB101_732:
	s_or_b64 exec, exec, s[34:35]
	s_mov_b32 s2, 0x10000
	v_cmp_gt_u32_e64 s[34:35], s2, v36
	v_lshlrev_b32_e32 v54, 16, v36
	v_mov_b32_e32 v5, v36
	s_and_saveexec_b64 s[36:37], s[34:35]
	s_cbranch_execz .LBB101_738
; %bb.733:
	v_lshlrev_b32_e32 v56, 16, v3
	v_pk_add_f32 v[56:57], v[56:57], v[54:55] op_sel_hi:[0,1]
	s_mov_b32 s2, 0x7f800000
	v_and_b32_e32 v3, 0x7f800000, v56
	v_cmp_ne_u32_e64 s[2:3], s2, v3
                                        ; implicit-def: $vgpr3
	s_and_saveexec_b64 s[38:39], s[2:3]
	s_xor_b64 s[2:3], exec, s[38:39]
; %bb.734:
	v_bfe_u32 v3, v56, 16, 1
	s_movk_i32 s38, 0x7fff
	v_add3_u32 v3, v56, v3, s38
                                        ; implicit-def: $vgpr56_vgpr57
; %bb.735:
	s_andn2_saveexec_b64 s[38:39], s[2:3]
; %bb.736:
	v_mov_b32_e32 v3, 0
	v_or_b32_e32 v5, 0x10000, v56
	v_cmp_eq_u32_sdwa s[2:3], v56, v3 src0_sel:WORD_0 src1_sel:DWORD
	s_nop 1
	v_cndmask_b32_e64 v3, v5, v56, s[2:3]
; %bb.737:
	s_or_b64 exec, exec, s[38:39]
	v_lshrrev_b32_e32 v5, 16, v3
.LBB101_738:
	s_or_b64 exec, exec, s[36:37]
	s_mov_b32 s2, 0x10000
	v_cmp_gt_u32_e64 s[36:37], s2, v37
	v_lshlrev_b32_e32 v56, 16, v37
	v_mov_b32_e32 v3, v37
	s_and_saveexec_b64 s[38:39], s[36:37]
	s_cbranch_execz .LBB101_744
; %bb.739:
	v_lshlrev_b32_e32 v58, 16, v5
	v_pk_add_f32 v[58:59], v[58:59], v[56:57] op_sel_hi:[0,1]
	s_mov_b32 s2, 0x7f800000
	v_and_b32_e32 v3, 0x7f800000, v58
	v_cmp_ne_u32_e64 s[2:3], s2, v3
                                        ; implicit-def: $vgpr3
	s_and_saveexec_b64 s[40:41], s[2:3]
	s_xor_b64 s[2:3], exec, s[40:41]
; %bb.740:
	v_bfe_u32 v3, v58, 16, 1
	s_movk_i32 s40, 0x7fff
	v_add3_u32 v3, v58, v3, s40
                                        ; implicit-def: $vgpr58_vgpr59
; %bb.741:
	s_andn2_saveexec_b64 s[40:41], s[2:3]
; %bb.742:
	v_mov_b32_e32 v3, 0
	v_or_b32_e32 v5, 0x10000, v58
	v_cmp_eq_u32_sdwa s[2:3], v58, v3 src0_sel:WORD_0 src1_sel:DWORD
	s_nop 1
	v_cndmask_b32_e64 v3, v5, v58, s[2:3]
; %bb.743:
	s_or_b64 exec, exec, s[40:41]
	v_lshrrev_b32_e32 v3, 16, v3
.LBB101_744:
	s_or_b64 exec, exec, s[38:39]
	s_mov_b32 s2, 0x10000
	v_cmp_gt_u32_e64 s[38:39], s2, v34
	v_lshlrev_b32_e32 v58, 16, v34
	v_mov_b32_e32 v5, v34
	s_and_saveexec_b64 s[40:41], s[38:39]
	s_cbranch_execz .LBB101_750
; %bb.745:
	v_lshlrev_b32_e32 v60, 16, v3
	v_pk_add_f32 v[60:61], v[60:61], v[58:59] op_sel_hi:[0,1]
	s_mov_b32 s2, 0x7f800000
	v_and_b32_e32 v3, 0x7f800000, v60
	v_cmp_ne_u32_e64 s[2:3], s2, v3
                                        ; implicit-def: $vgpr3
	s_and_saveexec_b64 s[42:43], s[2:3]
	s_xor_b64 s[2:3], exec, s[42:43]
; %bb.746:
	v_bfe_u32 v3, v60, 16, 1
	s_movk_i32 s42, 0x7fff
	v_add3_u32 v3, v60, v3, s42
                                        ; implicit-def: $vgpr60_vgpr61
; %bb.747:
	s_andn2_saveexec_b64 s[42:43], s[2:3]
; %bb.748:
	v_mov_b32_e32 v3, 0
	v_or_b32_e32 v5, 0x10000, v60
	v_cmp_eq_u32_sdwa s[2:3], v60, v3 src0_sel:WORD_0 src1_sel:DWORD
	s_nop 1
	v_cndmask_b32_e64 v3, v5, v60, s[2:3]
; %bb.749:
	s_or_b64 exec, exec, s[42:43]
	v_lshrrev_b32_e32 v5, 16, v3
.LBB101_750:
	s_or_b64 exec, exec, s[40:41]
	s_mov_b32 s2, 0x10000
	v_cmp_gt_u32_e64 s[40:41], s2, v35
	v_lshlrev_b32_e32 v60, 16, v35
	v_mov_b32_e32 v3, v35
	s_and_saveexec_b64 s[42:43], s[40:41]
	s_cbranch_execz .LBB101_756
; %bb.751:
	v_lshlrev_b32_e32 v64, 16, v5
	v_pk_add_f32 v[64:65], v[64:65], v[60:61] op_sel_hi:[0,1]
	s_mov_b32 s2, 0x7f800000
	v_and_b32_e32 v3, 0x7f800000, v64
	v_cmp_ne_u32_e64 s[2:3], s2, v3
                                        ; implicit-def: $vgpr3
	s_and_saveexec_b64 s[44:45], s[2:3]
	s_xor_b64 s[2:3], exec, s[44:45]
; %bb.752:
	v_bfe_u32 v3, v64, 16, 1
	s_movk_i32 s44, 0x7fff
	v_add3_u32 v3, v64, v3, s44
                                        ; implicit-def: $vgpr64_vgpr65
; %bb.753:
	s_andn2_saveexec_b64 s[44:45], s[2:3]
; %bb.754:
	v_mov_b32_e32 v3, 0
	v_or_b32_e32 v5, 0x10000, v64
	v_cmp_eq_u32_sdwa s[2:3], v64, v3 src0_sel:WORD_0 src1_sel:DWORD
	s_nop 1
	v_cndmask_b32_e64 v3, v5, v64, s[2:3]
; %bb.755:
	s_or_b64 exec, exec, s[44:45]
	v_lshrrev_b32_e32 v3, 16, v3
.LBB101_756:
	s_or_b64 exec, exec, s[42:43]
	s_mov_b32 s2, 0x10000
	v_cmp_gt_u32_e64 s[42:43], s2, v32
	v_lshlrev_b32_e32 v64, 16, v32
	v_mov_b32_e32 v5, v32
	s_and_saveexec_b64 s[44:45], s[42:43]
	s_cbranch_execz .LBB101_762
; %bb.757:
	v_lshlrev_b32_e32 v66, 16, v3
	v_pk_add_f32 v[66:67], v[66:67], v[64:65] op_sel_hi:[0,1]
	s_mov_b32 s2, 0x7f800000
	v_and_b32_e32 v3, 0x7f800000, v66
	v_cmp_ne_u32_e64 s[2:3], s2, v3
                                        ; implicit-def: $vgpr3
	s_and_saveexec_b64 s[46:47], s[2:3]
	s_xor_b64 s[2:3], exec, s[46:47]
; %bb.758:
	v_bfe_u32 v3, v66, 16, 1
	s_movk_i32 s46, 0x7fff
	v_add3_u32 v3, v66, v3, s46
                                        ; implicit-def: $vgpr66_vgpr67
; %bb.759:
	s_andn2_saveexec_b64 s[46:47], s[2:3]
; %bb.760:
	v_mov_b32_e32 v3, 0
	v_or_b32_e32 v5, 0x10000, v66
	v_cmp_eq_u32_sdwa s[2:3], v66, v3 src0_sel:WORD_0 src1_sel:DWORD
	s_nop 1
	v_cndmask_b32_e64 v3, v5, v66, s[2:3]
; %bb.761:
	s_or_b64 exec, exec, s[46:47]
	v_lshrrev_b32_e32 v5, 16, v3
.LBB101_762:
	s_or_b64 exec, exec, s[44:45]
	s_mov_b32 s2, 0x10000
	v_cmp_gt_u32_e64 s[44:45], s2, v33
	v_lshlrev_b32_e32 v66, 16, v33
	v_mov_b32_e32 v3, v33
	s_and_saveexec_b64 s[46:47], s[44:45]
	s_cbranch_execz .LBB101_768
; %bb.763:
	v_lshlrev_b32_e32 v68, 16, v5
	v_pk_add_f32 v[68:69], v[68:69], v[66:67] op_sel_hi:[0,1]
	s_mov_b32 s2, 0x7f800000
	v_and_b32_e32 v3, 0x7f800000, v68
	v_cmp_ne_u32_e64 s[2:3], s2, v3
                                        ; implicit-def: $vgpr3
	s_and_saveexec_b64 s[48:49], s[2:3]
	s_xor_b64 s[2:3], exec, s[48:49]
; %bb.764:
	v_bfe_u32 v3, v68, 16, 1
	s_movk_i32 s48, 0x7fff
	v_add3_u32 v3, v68, v3, s48
                                        ; implicit-def: $vgpr68_vgpr69
; %bb.765:
	s_andn2_saveexec_b64 s[48:49], s[2:3]
; %bb.766:
	v_mov_b32_e32 v3, 0
	v_or_b32_e32 v5, 0x10000, v68
	v_cmp_eq_u32_sdwa s[2:3], v68, v3 src0_sel:WORD_0 src1_sel:DWORD
	s_nop 1
	v_cndmask_b32_e64 v3, v5, v68, s[2:3]
; %bb.767:
	s_or_b64 exec, exec, s[48:49]
	v_lshrrev_b32_e32 v3, 16, v3
.LBB101_768:
	s_or_b64 exec, exec, s[46:47]
	s_mov_b32 s2, 0x10000
	v_cmp_gt_u32_e64 s[46:47], s2, v1
	v_lshlrev_b32_e32 v68, 16, v1
	v_mov_b32_e32 v5, v1
	s_and_saveexec_b64 s[48:49], s[46:47]
	s_cbranch_execz .LBB101_774
; %bb.769:
	v_lshlrev_b32_e32 v70, 16, v3
	v_pk_add_f32 v[70:71], v[70:71], v[68:69] op_sel_hi:[0,1]
	s_mov_b32 s2, 0x7f800000
	v_and_b32_e32 v3, 0x7f800000, v70
	v_cmp_ne_u32_e64 s[2:3], s2, v3
                                        ; implicit-def: $vgpr3
	s_and_saveexec_b64 s[50:51], s[2:3]
	s_xor_b64 s[2:3], exec, s[50:51]
; %bb.770:
	v_bfe_u32 v3, v70, 16, 1
	s_movk_i32 s50, 0x7fff
	v_add3_u32 v3, v70, v3, s50
                                        ; implicit-def: $vgpr70_vgpr71
; %bb.771:
	s_andn2_saveexec_b64 s[50:51], s[2:3]
; %bb.772:
	v_mov_b32_e32 v3, 0
	v_or_b32_e32 v5, 0x10000, v70
	v_cmp_eq_u32_sdwa s[2:3], v70, v3 src0_sel:WORD_0 src1_sel:DWORD
	s_nop 1
	v_cndmask_b32_e64 v3, v5, v70, s[2:3]
; %bb.773:
	s_or_b64 exec, exec, s[50:51]
	v_lshrrev_b32_e32 v5, 16, v3
.LBB101_774:
	s_or_b64 exec, exec, s[48:49]
	s_mov_b32 s2, 0x10000
	v_cmp_gt_u32_e64 s[2:3], s2, v63
	v_mov_b32_e32 v7, v63
	s_and_saveexec_b64 s[48:49], s[2:3]
	s_cbranch_execz .LBB101_780
; %bb.775:
	v_lshlrev_b32_e32 v70, 16, v5
	v_lshlrev_b32_e32 v74, 16, v63
	v_pk_add_f32 v[70:71], v[70:71], v[74:75] op_sel_hi:[0,1]
	s_mov_b32 s2, 0x7f800000
	v_and_b32_e32 v3, 0x7f800000, v70
	v_cmp_ne_u32_e64 s[2:3], s2, v3
                                        ; implicit-def: $vgpr3
	s_and_saveexec_b64 s[50:51], s[2:3]
	s_xor_b64 s[2:3], exec, s[50:51]
; %bb.776:
	v_bfe_u32 v3, v70, 16, 1
	s_movk_i32 s50, 0x7fff
	v_add3_u32 v3, v70, v3, s50
                                        ; implicit-def: $vgpr70_vgpr71
; %bb.777:
	s_andn2_saveexec_b64 s[50:51], s[2:3]
; %bb.778:
	v_mov_b32_e32 v3, 0
	v_or_b32_e32 v5, 0x10000, v70
	v_cmp_eq_u32_sdwa s[2:3], v70, v3 src0_sel:WORD_0 src1_sel:DWORD
	s_nop 1
	v_cndmask_b32_e64 v3, v5, v70, s[2:3]
; %bb.779:
	s_or_b64 exec, exec, s[50:51]
	v_lshrrev_b32_e32 v7, 16, v3
.LBB101_780:
	s_or_b64 exec, exec, s[48:49]
	v_or3_b32 v5, v1, v33, v32
	v_or3_b32 v5, v5, v35, v34
	;; [unrolled: 1-line block ×11, first 2 shown]
	v_and_b32_e32 v5, 0x10000, v5
	v_and_b32_e32 v3, 0x10000, v31
	v_mov_b32_e32 v9, 0x10000
	v_cmp_ne_u32_e64 s[2:3], 0, v5
	v_mov_b32_e32 v11, v7
	s_nop 0
	v_cndmask_b32_e64 v9, v3, v9, s[2:3]
	v_or_b32_sdwa v5, v7, v9 dst_sel:DWORD dst_unused:UNUSED_PAD src0_sel:WORD_0 src1_sel:DWORD
	v_cmp_eq_u32_e64 s[2:3], 0, v9
	s_nop 0
	v_mov_b32_dpp v13, v5 row_shr:1 row_mask:0xf bank_mask:0xf
	s_and_saveexec_b64 s[48:49], s[2:3]
	s_xor_b64 s[48:49], exec, s[48:49]
	s_cbranch_execz .LBB101_786
; %bb.781:
	v_mov_b32_e32 v3, 16
	v_lshlrev_b32_e32 v70, 16, v13
	v_lshlrev_b32_sdwa v74, v3, v7 dst_sel:DWORD dst_unused:UNUSED_PAD src0_sel:DWORD src1_sel:WORD_0
	v_pk_add_f32 v[70:71], v[70:71], v[74:75] op_sel_hi:[0,1]
	s_mov_b32 s2, 0x7f800000
	v_and_b32_e32 v3, 0x7f800000, v70
	v_cmp_ne_u32_e64 s[2:3], s2, v3
                                        ; implicit-def: $vgpr3
	s_and_saveexec_b64 s[50:51], s[2:3]
	s_xor_b64 s[2:3], exec, s[50:51]
; %bb.782:
	v_bfe_u32 v3, v70, 16, 1
	s_movk_i32 s50, 0x7fff
	v_add3_u32 v3, v70, v3, s50
                                        ; implicit-def: $vgpr70_vgpr71
; %bb.783:
	s_andn2_saveexec_b64 s[50:51], s[2:3]
; %bb.784:
	v_mov_b32_e32 v3, 0
	v_or_b32_e32 v11, 0x10000, v70
	v_cmp_eq_u32_sdwa s[2:3], v70, v3 src0_sel:WORD_0 src1_sel:DWORD
	s_nop 1
	v_cndmask_b32_e64 v3, v11, v70, s[2:3]
; %bb.785:
	s_or_b64 exec, exec, s[50:51]
	v_lshrrev_b32_e32 v11, 16, v3
.LBB101_786:
	s_or_b64 exec, exec, s[48:49]
	v_and_b32_e32 v17, 0x10000, v9
	v_mov_b32_e32 v19, 1
	v_mbcnt_lo_u32_b32 v3, -1, 0
	v_and_b32_sdwa v13, v13, v19 dst_sel:DWORD dst_unused:UNUSED_PAD src0_sel:WORD_1 src1_sel:DWORD
	v_cmp_ne_u32_e64 s[2:3], 0, v17
	v_mbcnt_hi_u32_b32 v3, -1, v3
	v_and_b32_e32 v15, 15, v3
	v_cndmask_b32_e64 v13, v13, 1, s[2:3]
	v_lshlrev_b32_e32 v17, 16, v13
	v_or_b32_sdwa v17, v17, v11 dst_sel:DWORD dst_unused:UNUSED_PAD src0_sel:DWORD src1_sel:WORD_0
	v_cmp_eq_u32_e64 s[48:49], 0, v15
	s_mov_b32 s2, 0x10000
	s_nop 0
	v_cndmask_b32_e64 v5, v17, v5, s[48:49]
	v_cmp_gt_u32_e64 s[2:3], s2, v5
	v_mov_b32_e32 v19, v5
	v_mov_b32_dpp v17, v5 row_shr:2 row_mask:0xf bank_mask:0xf
	s_and_saveexec_b64 s[50:51], s[2:3]
	s_cbranch_execz .LBB101_792
; %bb.787:
	v_lshlrev_b32_e32 v70, 16, v5
	v_lshlrev_b32_e32 v74, 16, v17
	v_pk_add_f32 v[70:71], v[70:71], v[74:75] op_sel_hi:[0,1]
	s_mov_b32 s2, 0x7f800000
	v_and_b32_e32 v19, 0x7f800000, v70
	v_cmp_ne_u32_e64 s[2:3], s2, v19
                                        ; implicit-def: $vgpr19
	s_and_saveexec_b64 s[52:53], s[2:3]
	s_xor_b64 s[2:3], exec, s[52:53]
; %bb.788:
	v_bfe_u32 v19, v70, 16, 1
	s_movk_i32 s52, 0x7fff
	v_add3_u32 v19, v70, v19, s52
                                        ; implicit-def: $vgpr70_vgpr71
; %bb.789:
	s_andn2_saveexec_b64 s[52:53], s[2:3]
; %bb.790:
	v_mov_b32_e32 v19, 0
	v_or_b32_e32 v21, 0x10000, v70
	v_cmp_eq_u32_sdwa s[2:3], v70, v19 src0_sel:WORD_0 src1_sel:DWORD
	s_nop 1
	v_cndmask_b32_e64 v19, v21, v70, s[2:3]
; %bb.791:
	s_or_b64 exec, exec, s[52:53]
	v_lshrrev_b32_e32 v19, 16, v19
.LBB101_792:
	s_or_b64 exec, exec, s[50:51]
	v_lshrrev_b32_e32 v21, 16, v9
	v_cndmask_b32_e64 v9, v11, v7, s[48:49]
	v_cndmask_b32_e64 v7, v13, v21, s[48:49]
	v_lshrrev_b32_e32 v11, 16, v5
	v_cmp_lt_u32_e64 s[2:3], 1, v15
	v_mov_b32_e32 v13, v5
	s_and_saveexec_b64 s[48:49], s[2:3]
; %bb.793:
	v_and_b32_e32 v5, 0x10000, v5
	v_mov_b32_e32 v7, 1
	v_and_b32_sdwa v7, v17, v7 dst_sel:DWORD dst_unused:UNUSED_PAD src0_sel:WORD_1 src1_sel:DWORD
	v_cmp_ne_u32_e64 s[2:3], 0, v5
	v_mov_b32_e32 v9, v19
	s_nop 0
	v_cndmask_b32_e64 v7, v7, 1, s[2:3]
	v_lshlrev_b32_e32 v5, 16, v7
	v_or_b32_sdwa v13, v5, v19 dst_sel:DWORD dst_unused:UNUSED_PAD src0_sel:DWORD src1_sel:WORD_0
	v_mov_b32_e32 v11, v7
	v_mov_b32_e32 v5, v19
; %bb.794:
	s_or_b64 exec, exec, s[48:49]
	v_mov_b32_dpp v17, v13 row_shr:4 row_mask:0xf bank_mask:0xf
	v_cmp_eq_u16_e64 s[2:3], 0, v11
	v_mov_b32_e32 v19, v5
	s_and_saveexec_b64 s[48:49], s[2:3]
	s_cbranch_execz .LBB101_800
; %bb.795:
	v_lshlrev_b32_e32 v70, 16, v17
	v_lshlrev_b32_e32 v74, 16, v5
	v_pk_add_f32 v[70:71], v[70:71], v[74:75] op_sel_hi:[0,1]
	s_mov_b32 s2, 0x7f800000
	v_and_b32_e32 v19, 0x7f800000, v70
	v_cmp_ne_u32_e64 s[2:3], s2, v19
                                        ; implicit-def: $vgpr19
	s_and_saveexec_b64 s[50:51], s[2:3]
	s_xor_b64 s[2:3], exec, s[50:51]
; %bb.796:
	v_bfe_u32 v19, v70, 16, 1
	s_movk_i32 s50, 0x7fff
	v_add3_u32 v19, v70, v19, s50
                                        ; implicit-def: $vgpr70_vgpr71
; %bb.797:
	s_andn2_saveexec_b64 s[50:51], s[2:3]
; %bb.798:
	v_mov_b32_e32 v19, 0
	v_or_b32_e32 v21, 0x10000, v70
	v_cmp_eq_u32_sdwa s[2:3], v70, v19 src0_sel:WORD_0 src1_sel:DWORD
	s_nop 1
	v_cndmask_b32_e64 v19, v21, v70, s[2:3]
; %bb.799:
	s_or_b64 exec, exec, s[50:51]
	v_lshrrev_b32_e32 v19, 16, v19
.LBB101_800:
	s_or_b64 exec, exec, s[48:49]
	v_cmp_lt_u32_e64 s[2:3], 3, v15
	s_and_saveexec_b64 s[48:49], s[2:3]
; %bb.801:
	v_and_b32_e32 v5, 1, v11
	v_mov_b32_e32 v7, 1
	v_and_b32_sdwa v7, v17, v7 dst_sel:DWORD dst_unused:UNUSED_PAD src0_sel:WORD_1 src1_sel:DWORD
	v_cmp_eq_u32_e64 s[2:3], 1, v5
	v_mov_b32_e32 v9, v19
	s_nop 0
	v_cndmask_b32_e64 v7, v7, 1, s[2:3]
	v_lshlrev_b32_e32 v5, 16, v7
	v_or_b32_sdwa v13, v5, v19 dst_sel:DWORD dst_unused:UNUSED_PAD src0_sel:DWORD src1_sel:WORD_0
	v_mov_b32_e32 v11, v7
	v_mov_b32_e32 v5, v19
; %bb.802:
	s_or_b64 exec, exec, s[48:49]
	v_mov_b32_dpp v17, v13 row_shr:8 row_mask:0xf bank_mask:0xf
	v_cmp_eq_u16_e64 s[2:3], 0, v11
	v_mov_b32_e32 v19, v5
	s_and_saveexec_b64 s[48:49], s[2:3]
	s_cbranch_execz .LBB101_808
; %bb.803:
	v_lshlrev_b32_e32 v70, 16, v17
	v_lshlrev_b32_e32 v74, 16, v5
	v_pk_add_f32 v[70:71], v[70:71], v[74:75] op_sel_hi:[0,1]
	s_mov_b32 s2, 0x7f800000
	v_and_b32_e32 v19, 0x7f800000, v70
	v_cmp_ne_u32_e64 s[2:3], s2, v19
                                        ; implicit-def: $vgpr19
	s_and_saveexec_b64 s[50:51], s[2:3]
	s_xor_b64 s[2:3], exec, s[50:51]
; %bb.804:
	v_bfe_u32 v19, v70, 16, 1
	s_movk_i32 s50, 0x7fff
	v_add3_u32 v19, v70, v19, s50
                                        ; implicit-def: $vgpr70_vgpr71
; %bb.805:
	s_andn2_saveexec_b64 s[50:51], s[2:3]
; %bb.806:
	v_mov_b32_e32 v19, 0
	v_or_b32_e32 v21, 0x10000, v70
	v_cmp_eq_u32_sdwa s[2:3], v70, v19 src0_sel:WORD_0 src1_sel:DWORD
	s_nop 1
	v_cndmask_b32_e64 v19, v21, v70, s[2:3]
; %bb.807:
	s_or_b64 exec, exec, s[50:51]
	v_lshrrev_b32_e32 v19, 16, v19
.LBB101_808:
	s_or_b64 exec, exec, s[48:49]
	v_cmp_lt_u32_e64 s[2:3], 7, v15
	s_and_saveexec_b64 s[48:49], s[2:3]
; %bb.809:
	v_and_b32_e32 v5, 1, v11
	v_mov_b32_e32 v7, 1
	v_and_b32_sdwa v7, v17, v7 dst_sel:DWORD dst_unused:UNUSED_PAD src0_sel:WORD_1 src1_sel:DWORD
	v_cmp_eq_u32_e64 s[2:3], 1, v5
	v_mov_b32_e32 v9, v19
	s_nop 0
	v_cndmask_b32_e64 v7, v7, 1, s[2:3]
	v_lshlrev_b32_e32 v5, 16, v7
	v_or_b32_sdwa v13, v5, v19 dst_sel:DWORD dst_unused:UNUSED_PAD src0_sel:DWORD src1_sel:WORD_0
	v_mov_b32_e32 v11, v7
	v_mov_b32_e32 v5, v19
; %bb.810:
	s_or_b64 exec, exec, s[48:49]
	v_mov_b32_dpp v15, v13 row_bcast:15 row_mask:0xf bank_mask:0xf
	v_cmp_eq_u16_e64 s[2:3], 0, v11
	v_mov_b32_e32 v17, v5
	s_and_saveexec_b64 s[48:49], s[2:3]
	s_cbranch_execz .LBB101_816
; %bb.811:
	v_lshlrev_b32_e32 v70, 16, v15
	v_lshlrev_b32_e32 v74, 16, v5
	v_pk_add_f32 v[70:71], v[70:71], v[74:75] op_sel_hi:[0,1]
	s_mov_b32 s2, 0x7f800000
	v_and_b32_e32 v17, 0x7f800000, v70
	v_cmp_ne_u32_e64 s[2:3], s2, v17
                                        ; implicit-def: $vgpr17
	s_and_saveexec_b64 s[50:51], s[2:3]
	s_xor_b64 s[2:3], exec, s[50:51]
; %bb.812:
	v_bfe_u32 v17, v70, 16, 1
	s_movk_i32 s50, 0x7fff
	v_add3_u32 v17, v70, v17, s50
                                        ; implicit-def: $vgpr70_vgpr71
; %bb.813:
	s_andn2_saveexec_b64 s[50:51], s[2:3]
; %bb.814:
	v_mov_b32_e32 v17, 0
	v_or_b32_e32 v19, 0x10000, v70
	v_cmp_eq_u32_sdwa s[2:3], v70, v17 src0_sel:WORD_0 src1_sel:DWORD
	s_nop 1
	v_cndmask_b32_e64 v17, v19, v70, s[2:3]
; %bb.815:
	s_or_b64 exec, exec, s[50:51]
	v_lshrrev_b32_e32 v17, 16, v17
.LBB101_816:
	s_or_b64 exec, exec, s[48:49]
	v_and_b32_e32 v19, 16, v3
	v_cmp_ne_u32_e64 s[2:3], 0, v19
	s_and_saveexec_b64 s[48:49], s[2:3]
; %bb.817:
	v_and_b32_e32 v5, 1, v11
	v_mov_b32_e32 v7, 1
	v_and_b32_sdwa v7, v15, v7 dst_sel:DWORD dst_unused:UNUSED_PAD src0_sel:WORD_1 src1_sel:DWORD
	v_cmp_eq_u32_e64 s[2:3], 1, v5
	v_mov_b32_e32 v9, v17
	s_nop 0
	v_cndmask_b32_e64 v7, v7, 1, s[2:3]
	v_lshlrev_b32_e32 v5, 16, v7
	v_or_b32_sdwa v13, v5, v17 dst_sel:DWORD dst_unused:UNUSED_PAD src0_sel:DWORD src1_sel:WORD_0
	v_mov_b32_e32 v11, v7
	v_mov_b32_e32 v5, v17
; %bb.818:
	s_or_b64 exec, exec, s[48:49]
	v_mov_b32_dpp v13, v13 row_bcast:31 row_mask:0xf bank_mask:0xf
	v_cmp_eq_u16_e64 s[2:3], 0, v11
	s_and_saveexec_b64 s[48:49], s[2:3]
	s_cbranch_execz .LBB101_824
; %bb.819:
	v_lshlrev_b32_e32 v70, 16, v13
	v_lshlrev_b32_e32 v74, 16, v5
	v_pk_add_f32 v[70:71], v[70:71], v[74:75] op_sel_hi:[0,1]
	s_mov_b32 s2, 0x7f800000
	v_and_b32_e32 v5, 0x7f800000, v70
	v_cmp_ne_u32_e64 s[2:3], s2, v5
                                        ; implicit-def: $vgpr5
	s_and_saveexec_b64 s[50:51], s[2:3]
	s_xor_b64 s[2:3], exec, s[50:51]
; %bb.820:
	v_bfe_u32 v5, v70, 16, 1
	s_movk_i32 s50, 0x7fff
	v_add3_u32 v5, v70, v5, s50
                                        ; implicit-def: $vgpr70_vgpr71
; %bb.821:
	s_andn2_saveexec_b64 s[50:51], s[2:3]
; %bb.822:
	v_mov_b32_e32 v5, 0
	v_or_b32_e32 v15, 0x10000, v70
	v_cmp_eq_u32_sdwa s[2:3], v70, v5 src0_sel:WORD_0 src1_sel:DWORD
	s_nop 1
	v_cndmask_b32_e64 v5, v15, v70, s[2:3]
; %bb.823:
	s_or_b64 exec, exec, s[50:51]
	v_lshrrev_b32_e32 v5, 16, v5
.LBB101_824:
	s_or_b64 exec, exec, s[48:49]
	v_and_b32_e32 v11, 1, v11
	v_mov_b32_e32 v15, 1
	v_and_b32_sdwa v13, v13, v15 dst_sel:DWORD dst_unused:UNUSED_PAD src0_sel:WORD_1 src1_sel:DWORD
	v_cmp_eq_u32_e64 s[2:3], 1, v11
	s_nop 1
	v_cndmask_b32_e64 v11, v13, 1, s[2:3]
	v_cmp_lt_u32_e64 s[2:3], 31, v3
	s_nop 1
	v_cndmask_b32_e64 v9, v9, v5, s[2:3]
	v_cndmask_b32_e64 v5, v7, v11, s[2:3]
	v_or_b32_e32 v11, 63, v0
	v_lshrrev_b32_e32 v7, 6, v0
	v_cmp_eq_u32_e64 s[2:3], v11, v0
	s_and_saveexec_b64 s[48:49], s[2:3]
	s_cbranch_execz .LBB101_826
; %bb.825:
	v_lshlrev_b32_e32 v11, 2, v7
	ds_write_b16 v11, v9
	ds_write_b8 v11, v5 offset:2
.LBB101_826:
	s_or_b64 exec, exec, s[48:49]
	v_cmp_gt_u32_e64 s[2:3], 4, v0
	s_waitcnt lgkmcnt(0)
	s_barrier
	s_and_saveexec_b64 s[48:49], s[2:3]
	s_cbranch_execz .LBB101_842
; %bb.827:
	v_lshlrev_b32_e32 v11, 2, v0
	ds_read_b32 v13, v11
	v_mov_b32_e32 v17, 0
	s_waitcnt lgkmcnt(0)
	v_lshrrev_b32_e32 v15, 16, v13
	v_mov_b32_dpp v19, v13 row_shr:1 row_mask:0xf bank_mask:0xf
	v_cmp_eq_u16_sdwa s[2:3], v15, v17 src0_sel:BYTE_0 src1_sel:DWORD
	v_mov_b32_e32 v23, v13
	s_and_saveexec_b64 s[50:51], s[2:3]
	s_cbranch_execz .LBB101_833
; %bb.828:
	v_lshlrev_b32_e32 v70, 16, v19
	v_lshlrev_b32_e32 v74, 16, v13
	v_pk_add_f32 v[70:71], v[70:71], v[74:75] op_sel_hi:[0,1]
	s_mov_b32 s2, 0x7f800000
	v_and_b32_e32 v17, 0x7f800000, v70
	v_cmp_ne_u32_e64 s[2:3], s2, v17
                                        ; implicit-def: $vgpr17
	s_and_saveexec_b64 s[52:53], s[2:3]
	s_xor_b64 s[2:3], exec, s[52:53]
; %bb.829:
	v_bfe_u32 v17, v70, 16, 1
	s_movk_i32 s52, 0x7fff
	v_add3_u32 v17, v70, v17, s52
                                        ; implicit-def: $vgpr70_vgpr71
; %bb.830:
	s_andn2_saveexec_b64 s[52:53], s[2:3]
; %bb.831:
	v_mov_b32_e32 v17, 0
	v_or_b32_e32 v21, 0x10000, v70
	v_cmp_eq_u32_sdwa s[2:3], v70, v17 src0_sel:WORD_0 src1_sel:DWORD
	s_nop 1
	v_cndmask_b32_e64 v17, v21, v70, s[2:3]
; %bb.832:
	s_or_b64 exec, exec, s[52:53]
	v_lshrrev_b32_e32 v23, 16, v17
.LBB101_833:
	s_or_b64 exec, exec, s[50:51]
	v_and_b32_e32 v17, 3, v3
	v_cmp_ne_u32_e64 s[2:3], 0, v17
	v_mov_b32_e32 v21, v13
	s_and_saveexec_b64 s[50:51], s[2:3]
; %bb.834:
	v_and_b32_e32 v21, 0xff000000, v13
	v_and_b32_e32 v13, 0x10000, v13
	v_mov_b32_e32 v15, 1
	v_and_b32_sdwa v15, v19, v15 dst_sel:DWORD dst_unused:UNUSED_PAD src0_sel:WORD_1 src1_sel:DWORD
	v_cmp_ne_u32_e64 s[2:3], 0, v13
	v_and_b32_e32 v19, 0xffff, v23
	s_nop 0
	v_cndmask_b32_e64 v15, v15, 1, s[2:3]
	v_lshlrev_b32_e32 v13, 16, v15
	v_or3_b32 v21, v13, v21, v19
	v_mov_b32_e32 v13, v23
; %bb.835:
	s_or_b64 exec, exec, s[50:51]
	v_and_b32_e32 v23, 0xff0000, v21
	v_mov_b32_dpp v19, v21 row_shr:2 row_mask:0xf bank_mask:0xf
	v_cmp_eq_u32_e64 s[2:3], 0, v23
	v_mov_b32_e32 v23, v21
	s_and_saveexec_b64 s[50:51], s[2:3]
	s_cbranch_execz .LBB101_841
; %bb.836:
	v_lshlrev_b32_e32 v70, 16, v19
	v_lshlrev_b32_e32 v74, 16, v21
	v_pk_add_f32 v[70:71], v[70:71], v[74:75] op_sel_hi:[0,1]
	s_mov_b32 s2, 0x7f800000
	v_and_b32_e32 v23, 0x7f800000, v70
	v_cmp_ne_u32_e64 s[2:3], s2, v23
                                        ; implicit-def: $vgpr23
	s_and_saveexec_b64 s[52:53], s[2:3]
	s_xor_b64 s[2:3], exec, s[52:53]
; %bb.837:
	v_bfe_u32 v23, v70, 16, 1
	s_movk_i32 s52, 0x7fff
	v_add3_u32 v23, v70, v23, s52
                                        ; implicit-def: $vgpr70_vgpr71
; %bb.838:
	s_andn2_saveexec_b64 s[52:53], s[2:3]
; %bb.839:
	v_mov_b32_e32 v23, 0
	v_or_b32_e32 v25, 0x10000, v70
	v_cmp_eq_u32_sdwa s[2:3], v70, v23 src0_sel:WORD_0 src1_sel:DWORD
	s_nop 1
	v_cndmask_b32_e64 v23, v25, v70, s[2:3]
; %bb.840:
	s_or_b64 exec, exec, s[52:53]
	v_lshrrev_b32_e32 v23, 16, v23
.LBB101_841:
	s_or_b64 exec, exec, s[50:51]
	v_and_b32_e32 v21, 0x10000, v21
	v_mov_b32_e32 v25, 1
	v_and_b32_sdwa v19, v19, v25 dst_sel:DWORD dst_unused:UNUSED_PAD src0_sel:WORD_1 src1_sel:DWORD
	v_cmp_eq_u32_e64 s[2:3], 0, v21
	s_nop 1
	v_cndmask_b32_e64 v19, 1, v19, s[2:3]
	v_cmp_lt_u32_e64 s[2:3], 1, v17
	s_nop 1
	v_cndmask_b32_e64 v13, v13, v23, s[2:3]
	v_cndmask_b32_e64 v15, v15, v19, s[2:3]
	ds_write_b16 v11, v13
	ds_write_b8 v11, v15 offset:2
.LBB101_842:
	s_or_b64 exec, exec, s[48:49]
	v_cmp_lt_u32_e64 s[2:3], 63, v0
	v_mov_b32_e32 v13, 0
	s_waitcnt vmcnt(0)
	v_mov_b32_e32 v11, v72
	s_waitcnt lgkmcnt(0)
	s_barrier
	s_and_saveexec_b64 s[48:49], s[2:3]
	s_cbranch_execz .LBB101_850
; %bb.843:
	v_lshl_add_u32 v7, v7, 2, -4
	ds_read_u8 v13, v7 offset:2
	ds_read_u16 v11, v7
	s_waitcnt lgkmcnt(1)
	v_cmp_eq_u16_e64 s[2:3], 0, v13
	v_mov_b32_e32 v13, 0x10000
	s_and_saveexec_b64 s[50:51], s[2:3]
	s_cbranch_execz .LBB101_849
; %bb.844:
	v_mov_b32_e32 v7, 16
	v_lshlrev_b32_sdwa v70, v7, v72 dst_sel:DWORD dst_unused:UNUSED_PAD src0_sel:DWORD src1_sel:WORD_0
	s_waitcnt lgkmcnt(0)
	v_lshlrev_b32_e32 v74, 16, v11
	v_pk_add_f32 v[70:71], v[74:75], v[70:71] op_sel_hi:[0,1]
	s_mov_b32 s2, 0x7f800000
	v_and_b32_e32 v7, 0x7f800000, v70
	v_cmp_ne_u32_e64 s[2:3], s2, v7
                                        ; implicit-def: $vgpr7
	s_and_saveexec_b64 s[52:53], s[2:3]
	s_xor_b64 s[2:3], exec, s[52:53]
; %bb.845:
	v_bfe_u32 v7, v70, 16, 1
	s_movk_i32 s52, 0x7fff
	v_add3_u32 v7, v70, v7, s52
                                        ; implicit-def: $vgpr70_vgpr71
; %bb.846:
	s_andn2_saveexec_b64 s[52:53], s[2:3]
; %bb.847:
	v_mov_b32_e32 v7, 0
	v_or_b32_e32 v11, 0x10000, v70
	v_cmp_eq_u32_sdwa s[2:3], v70, v7 src0_sel:WORD_0 src1_sel:DWORD
	s_nop 1
	v_cndmask_b32_e64 v7, v11, v70, s[2:3]
; %bb.848:
	s_or_b64 exec, exec, s[52:53]
	v_lshrrev_b32_e32 v11, 16, v7
	v_mov_b32_e32 v13, 0
.LBB101_849:
	s_or_b64 exec, exec, s[50:51]
.LBB101_850:
	s_or_b64 exec, exec, s[48:49]
	v_cmp_eq_u16_e64 s[2:3], 0, v5
	s_and_saveexec_b64 s[48:49], s[2:3]
	s_cbranch_execz .LBB101_856
; %bb.851:
	s_waitcnt lgkmcnt(0)
	v_lshlrev_b32_e32 v70, 16, v11
	v_lshlrev_b32_e32 v74, 16, v9
	v_pk_add_f32 v[70:71], v[70:71], v[74:75] op_sel_hi:[0,1]
	s_mov_b32 s2, 0x7f800000
	v_and_b32_e32 v7, 0x7f800000, v70
	v_cmp_ne_u32_e64 s[2:3], s2, v7
                                        ; implicit-def: $vgpr7
	s_and_saveexec_b64 s[50:51], s[2:3]
	s_xor_b64 s[2:3], exec, s[50:51]
; %bb.852:
	v_bfe_u32 v7, v70, 16, 1
	s_movk_i32 s50, 0x7fff
	v_add3_u32 v7, v70, v7, s50
                                        ; implicit-def: $vgpr70_vgpr71
; %bb.853:
	s_andn2_saveexec_b64 s[50:51], s[2:3]
; %bb.854:
	v_mov_b32_e32 v7, 0
	v_or_b32_e32 v9, 0x10000, v70
	v_cmp_eq_u32_sdwa s[2:3], v70, v7 src0_sel:WORD_0 src1_sel:DWORD
	s_nop 1
	v_cndmask_b32_e64 v7, v9, v70, s[2:3]
; %bb.855:
	s_or_b64 exec, exec, s[50:51]
	v_lshrrev_b32_e32 v9, 16, v7
.LBB101_856:
	s_or_b64 exec, exec, s[48:49]
	v_and_b32_e32 v5, 1, v5
	v_mov_b32_e32 v7, 0x10000
	v_cmp_eq_u32_e64 s[2:3], 1, v5
	v_cmp_eq_u32_e64 s[48:49], 0, v0
	s_nop 0
	v_cndmask_b32_e64 v5, v13, v7, s[2:3]
	v_or_b32_sdwa v5, v5, v9 dst_sel:DWORD dst_unused:UNUSED_PAD src0_sel:DWORD src1_sel:WORD_0
	v_add_u32_e32 v7, -1, v3
	v_and_b32_e32 v9, 64, v3
	v_cmp_lt_i32_e64 s[2:3], v7, v9
	s_nop 1
	v_cndmask_b32_e64 v7, v7, v3, s[2:3]
	v_lshlrev_b32_e32 v7, 2, v7
	ds_bpermute_b32 v5, v7, v5
	v_cmp_eq_u32_e64 s[2:3], 0, v3
	v_and_b32_e32 v3, 0xff0000, v31
	s_waitcnt lgkmcnt(0)
	v_cndmask_b32_e64 v29, v5, v11, s[2:3]
	v_cmp_eq_u32_e64 s[2:3], 0, v3
	s_and_saveexec_b64 s[50:51], s[2:3]
	s_cbranch_execz .LBB101_923
; %bb.857:
	v_cndmask_b32_e64 v3, v29, v72, s[48:49]
	v_lshlrev_b32_e32 v70, 16, v3
	v_pk_add_f32 v[62:63], v[70:71], v[62:63] op_sel_hi:[0,1]
	s_mov_b32 s2, 0x7f800000
	v_and_b32_e32 v3, 0x7f800000, v62
	v_cmp_ne_u32_e64 s[2:3], s2, v3
                                        ; implicit-def: $vgpr3
	s_and_saveexec_b64 s[52:53], s[2:3]
	s_xor_b64 s[2:3], exec, s[52:53]
; %bb.858:
	v_bfe_u32 v3, v62, 16, 1
	s_movk_i32 s52, 0x7fff
	v_add3_u32 v3, v62, v3, s52
                                        ; implicit-def: $vgpr62_vgpr63
; %bb.859:
	s_andn2_saveexec_b64 s[52:53], s[2:3]
; %bb.860:
	v_mov_b32_e32 v3, 0
	v_or_b32_e32 v5, 0x10000, v62
	v_cmp_eq_u32_sdwa s[2:3], v62, v3 src0_sel:WORD_0 src1_sel:DWORD
	s_nop 1
	v_cndmask_b32_e64 v3, v5, v62, s[2:3]
; %bb.861:
	s_or_b64 exec, exec, s[52:53]
	v_lshrrev_b32_e32 v31, 16, v3
	s_or_b64 exec, exec, s[50:51]
	s_and_saveexec_b64 s[2:3], vcc
	s_cbranch_execnz .LBB101_924
.LBB101_862:
	s_or_b64 exec, exec, s[2:3]
	v_and_b32_e32 v3, 0xffff, v30
	s_and_saveexec_b64 s[2:3], s[4:5]
	s_cbranch_execz .LBB101_929
.LBB101_863:
	v_lshlrev_b32_e32 v2, 16, v3
	v_pk_add_f32 v[4:5], v[2:3], v[4:5] op_sel_hi:[0,1]
	s_mov_b32 s4, 0x7f800000
	v_and_b32_e32 v2, 0x7f800000, v4
	v_cmp_ne_u32_e32 vcc, s4, v2
                                        ; implicit-def: $vgpr2
	s_and_saveexec_b64 s[4:5], vcc
	s_xor_b64 s[4:5], exec, s[4:5]
; %bb.864:
	v_bfe_u32 v2, v4, 16, 1
	s_movk_i32 s50, 0x7fff
	v_add3_u32 v2, v4, v2, s50
                                        ; implicit-def: $vgpr4_vgpr5
; %bb.865:
	s_andn2_saveexec_b64 s[4:5], s[4:5]
; %bb.866:
	v_mov_b32_e32 v2, 0
	v_or_b32_e32 v5, 0x10000, v4
	v_cmp_eq_u32_sdwa vcc, v4, v2 src0_sel:WORD_0 src1_sel:DWORD
	s_nop 1
	v_cndmask_b32_e32 v2, v5, v4, vcc
; %bb.867:
	s_or_b64 exec, exec, s[4:5]
	v_lshrrev_b32_e32 v50, 16, v2
	s_or_b64 exec, exec, s[2:3]
	v_and_b32_e32 v4, 0xffff, v50
	s_and_saveexec_b64 s[2:3], s[6:7]
	s_cbranch_execnz .LBB101_930
.LBB101_868:
	s_or_b64 exec, exec, s[2:3]
	v_and_b32_e32 v5, 0xffff, v51
	s_and_saveexec_b64 s[2:3], s[8:9]
	s_cbranch_execz .LBB101_935
.LBB101_869:
	v_lshlrev_b32_e32 v2, 16, v5
	v_pk_add_f32 v[6:7], v[2:3], v[8:9] op_sel_hi:[0,1]
	s_mov_b32 s4, 0x7f800000
	v_and_b32_e32 v2, 0x7f800000, v6
	v_cmp_ne_u32_e32 vcc, s4, v2
                                        ; implicit-def: $vgpr2
	s_and_saveexec_b64 s[4:5], vcc
	s_xor_b64 s[4:5], exec, s[4:5]
; %bb.870:
	v_bfe_u32 v2, v6, 16, 1
	s_movk_i32 s6, 0x7fff
	v_add3_u32 v2, v6, v2, s6
                                        ; implicit-def: $vgpr6_vgpr7
; %bb.871:
	s_andn2_saveexec_b64 s[4:5], s[4:5]
; %bb.872:
	v_mov_b32_e32 v2, 0
	v_or_b32_e32 v7, 0x10000, v6
	v_cmp_eq_u32_sdwa vcc, v6, v2 src0_sel:WORD_0 src1_sel:DWORD
	s_nop 1
	v_cndmask_b32_e32 v2, v7, v6, vcc
; %bb.873:
	s_or_b64 exec, exec, s[4:5]
	v_lshrrev_b32_e32 v48, 16, v2
	s_or_b64 exec, exec, s[2:3]
	v_and_b32_e32 v6, 0xffff, v48
	s_and_saveexec_b64 s[2:3], s[10:11]
	s_cbranch_execnz .LBB101_936
.LBB101_874:
	s_or_b64 exec, exec, s[2:3]
	v_and_b32_e32 v7, 0xffff, v49
	s_and_saveexec_b64 s[2:3], s[12:13]
	s_cbranch_execz .LBB101_941
.LBB101_875:
	v_lshlrev_b32_e32 v2, 16, v7
	v_pk_add_f32 v[8:9], v[2:3], v[12:13] op_sel_hi:[0,1]
	s_mov_b32 s4, 0x7f800000
	v_and_b32_e32 v2, 0x7f800000, v8
	v_cmp_ne_u32_e32 vcc, s4, v2
                                        ; implicit-def: $vgpr2
	s_and_saveexec_b64 s[4:5], vcc
	s_xor_b64 s[4:5], exec, s[4:5]
; %bb.876:
	v_bfe_u32 v2, v8, 16, 1
	s_movk_i32 s6, 0x7fff
	v_add3_u32 v2, v8, v2, s6
                                        ; implicit-def: $vgpr8_vgpr9
; %bb.877:
	s_andn2_saveexec_b64 s[4:5], s[4:5]
; %bb.878:
	v_mov_b32_e32 v2, 0
	v_or_b32_e32 v9, 0x10000, v8
	v_cmp_eq_u32_sdwa vcc, v8, v2 src0_sel:WORD_0 src1_sel:DWORD
	s_nop 1
	v_cndmask_b32_e32 v2, v9, v8, vcc
; %bb.879:
	s_or_b64 exec, exec, s[4:5]
	v_lshrrev_b32_e32 v46, 16, v2
	s_or_b64 exec, exec, s[2:3]
	v_and_b32_e32 v8, 0xffff, v46
	s_and_saveexec_b64 s[2:3], s[14:15]
	s_cbranch_execnz .LBB101_942
.LBB101_880:
	s_or_b64 exec, exec, s[2:3]
	v_and_b32_e32 v9, 0xffff, v47
	s_and_saveexec_b64 s[2:3], s[16:17]
	s_cbranch_execz .LBB101_947
.LBB101_881:
	v_lshlrev_b32_e32 v2, 16, v9
	v_pk_add_f32 v[10:11], v[2:3], v[16:17] op_sel_hi:[0,1]
	s_mov_b32 s4, 0x7f800000
	v_and_b32_e32 v2, 0x7f800000, v10
	v_cmp_ne_u32_e32 vcc, s4, v2
                                        ; implicit-def: $vgpr2
	s_and_saveexec_b64 s[4:5], vcc
	s_xor_b64 s[4:5], exec, s[4:5]
; %bb.882:
	v_bfe_u32 v2, v10, 16, 1
	s_movk_i32 s6, 0x7fff
	v_add3_u32 v2, v10, v2, s6
                                        ; implicit-def: $vgpr10_vgpr11
; %bb.883:
	s_andn2_saveexec_b64 s[4:5], s[4:5]
; %bb.884:
	v_mov_b32_e32 v2, 0
	v_or_b32_e32 v11, 0x10000, v10
	v_cmp_eq_u32_sdwa vcc, v10, v2 src0_sel:WORD_0 src1_sel:DWORD
	s_nop 1
	v_cndmask_b32_e32 v2, v11, v10, vcc
; %bb.885:
	s_or_b64 exec, exec, s[4:5]
	v_lshrrev_b32_e32 v44, 16, v2
	s_or_b64 exec, exec, s[2:3]
	v_and_b32_e32 v10, 0xffff, v44
	s_and_saveexec_b64 s[2:3], s[18:19]
	s_cbranch_execnz .LBB101_948
.LBB101_886:
	s_or_b64 exec, exec, s[2:3]
	v_and_b32_e32 v11, 0xffff, v45
	s_and_saveexec_b64 s[2:3], s[20:21]
	s_cbranch_execz .LBB101_953
.LBB101_887:
	v_lshlrev_b32_e32 v2, 16, v11
	v_pk_add_f32 v[12:13], v[2:3], v[20:21] op_sel_hi:[0,1]
	s_mov_b32 s4, 0x7f800000
	v_and_b32_e32 v2, 0x7f800000, v12
	v_cmp_ne_u32_e32 vcc, s4, v2
                                        ; implicit-def: $vgpr2
	s_and_saveexec_b64 s[4:5], vcc
	s_xor_b64 s[4:5], exec, s[4:5]
; %bb.888:
	v_bfe_u32 v2, v12, 16, 1
	s_movk_i32 s6, 0x7fff
	v_add3_u32 v2, v12, v2, s6
                                        ; implicit-def: $vgpr12_vgpr13
; %bb.889:
	s_andn2_saveexec_b64 s[4:5], s[4:5]
; %bb.890:
	v_mov_b32_e32 v2, 0
	v_or_b32_e32 v13, 0x10000, v12
	v_cmp_eq_u32_sdwa vcc, v12, v2 src0_sel:WORD_0 src1_sel:DWORD
	s_nop 1
	v_cndmask_b32_e32 v2, v13, v12, vcc
; %bb.891:
	s_or_b64 exec, exec, s[4:5]
	v_lshrrev_b32_e32 v42, 16, v2
	s_or_b64 exec, exec, s[2:3]
	v_and_b32_e32 v12, 0xffff, v42
	s_and_saveexec_b64 s[2:3], s[22:23]
	s_cbranch_execnz .LBB101_954
.LBB101_892:
	s_or_b64 exec, exec, s[2:3]
	v_and_b32_e32 v13, 0xffff, v43
	s_and_saveexec_b64 s[2:3], s[24:25]
	s_cbranch_execz .LBB101_959
.LBB101_893:
	v_lshlrev_b32_e32 v2, 16, v13
	v_pk_add_f32 v[14:15], v[2:3], v[24:25] op_sel_hi:[0,1]
	s_mov_b32 s4, 0x7f800000
	v_and_b32_e32 v2, 0x7f800000, v14
	v_cmp_ne_u32_e32 vcc, s4, v2
                                        ; implicit-def: $vgpr2
	s_and_saveexec_b64 s[4:5], vcc
	s_xor_b64 s[4:5], exec, s[4:5]
; %bb.894:
	v_bfe_u32 v2, v14, 16, 1
	s_movk_i32 s6, 0x7fff
	v_add3_u32 v2, v14, v2, s6
                                        ; implicit-def: $vgpr14_vgpr15
; %bb.895:
	s_andn2_saveexec_b64 s[4:5], s[4:5]
; %bb.896:
	v_mov_b32_e32 v2, 0
	v_or_b32_e32 v15, 0x10000, v14
	v_cmp_eq_u32_sdwa vcc, v14, v2 src0_sel:WORD_0 src1_sel:DWORD
	s_nop 1
	v_cndmask_b32_e32 v2, v15, v14, vcc
; %bb.897:
	s_or_b64 exec, exec, s[4:5]
	v_lshrrev_b32_e32 v40, 16, v2
	s_or_b64 exec, exec, s[2:3]
	v_and_b32_e32 v14, 0xffff, v40
	s_and_saveexec_b64 s[2:3], s[26:27]
	s_cbranch_execnz .LBB101_960
.LBB101_898:
	s_or_b64 exec, exec, s[2:3]
	v_and_b32_e32 v15, 0xffff, v41
	s_and_saveexec_b64 s[2:3], s[28:29]
	s_cbranch_execz .LBB101_965
.LBB101_899:
	v_lshlrev_b32_e32 v2, 16, v15
	v_pk_add_f32 v[16:17], v[2:3], v[28:29] op_sel_hi:[0,1]
	s_mov_b32 s4, 0x7f800000
	v_and_b32_e32 v2, 0x7f800000, v16
	v_cmp_ne_u32_e32 vcc, s4, v2
                                        ; implicit-def: $vgpr2
	s_and_saveexec_b64 s[4:5], vcc
	s_xor_b64 s[4:5], exec, s[4:5]
; %bb.900:
	v_bfe_u32 v2, v16, 16, 1
	s_movk_i32 s6, 0x7fff
	v_add3_u32 v2, v16, v2, s6
                                        ; implicit-def: $vgpr16_vgpr17
; %bb.901:
	s_andn2_saveexec_b64 s[4:5], s[4:5]
; %bb.902:
	v_mov_b32_e32 v2, 0
	v_or_b32_e32 v17, 0x10000, v16
	v_cmp_eq_u32_sdwa vcc, v16, v2 src0_sel:WORD_0 src1_sel:DWORD
	s_nop 1
	v_cndmask_b32_e32 v2, v17, v16, vcc
; %bb.903:
	s_or_b64 exec, exec, s[4:5]
	v_lshrrev_b32_e32 v38, 16, v2
	s_or_b64 exec, exec, s[2:3]
	v_and_b32_e32 v16, 0xffff, v38
	s_and_saveexec_b64 s[2:3], s[30:31]
	s_cbranch_execnz .LBB101_966
.LBB101_904:
	s_or_b64 exec, exec, s[2:3]
	v_and_b32_e32 v17, 0xffff, v39
	s_and_saveexec_b64 s[2:3], s[34:35]
	s_cbranch_execz .LBB101_971
.LBB101_905:
	v_lshlrev_b32_e32 v2, 16, v17
	v_pk_add_f32 v[18:19], v[2:3], v[54:55] op_sel_hi:[0,1]
	s_mov_b32 s4, 0x7f800000
	v_and_b32_e32 v2, 0x7f800000, v18
	v_cmp_ne_u32_e32 vcc, s4, v2
                                        ; implicit-def: $vgpr2
	s_and_saveexec_b64 s[4:5], vcc
	s_xor_b64 s[4:5], exec, s[4:5]
; %bb.906:
	v_bfe_u32 v2, v18, 16, 1
	s_movk_i32 s6, 0x7fff
	v_add3_u32 v2, v18, v2, s6
                                        ; implicit-def: $vgpr18_vgpr19
; %bb.907:
	s_andn2_saveexec_b64 s[4:5], s[4:5]
; %bb.908:
	v_mov_b32_e32 v2, 0
	v_or_b32_e32 v19, 0x10000, v18
	v_cmp_eq_u32_sdwa vcc, v18, v2 src0_sel:WORD_0 src1_sel:DWORD
	s_nop 1
	v_cndmask_b32_e32 v2, v19, v18, vcc
; %bb.909:
	s_or_b64 exec, exec, s[4:5]
	v_lshrrev_b32_e32 v36, 16, v2
	s_or_b64 exec, exec, s[2:3]
	v_and_b32_e32 v18, 0xffff, v36
	s_and_saveexec_b64 s[2:3], s[36:37]
	s_cbranch_execnz .LBB101_972
.LBB101_910:
	s_or_b64 exec, exec, s[2:3]
	v_and_b32_e32 v19, 0xffff, v37
	s_and_saveexec_b64 s[2:3], s[38:39]
	s_cbranch_execz .LBB101_977
.LBB101_911:
	v_lshlrev_b32_e32 v2, 16, v19
	v_pk_add_f32 v[20:21], v[2:3], v[58:59] op_sel_hi:[0,1]
	s_mov_b32 s4, 0x7f800000
	v_and_b32_e32 v2, 0x7f800000, v20
	v_cmp_ne_u32_e32 vcc, s4, v2
                                        ; implicit-def: $vgpr2
	s_and_saveexec_b64 s[4:5], vcc
	s_xor_b64 s[4:5], exec, s[4:5]
; %bb.912:
	v_bfe_u32 v2, v20, 16, 1
	s_movk_i32 s6, 0x7fff
	v_add3_u32 v2, v20, v2, s6
                                        ; implicit-def: $vgpr20_vgpr21
; %bb.913:
	s_andn2_saveexec_b64 s[4:5], s[4:5]
; %bb.914:
	v_mov_b32_e32 v2, 0
	v_or_b32_e32 v21, 0x10000, v20
	v_cmp_eq_u32_sdwa vcc, v20, v2 src0_sel:WORD_0 src1_sel:DWORD
	s_nop 1
	v_cndmask_b32_e32 v2, v21, v20, vcc
; %bb.915:
	s_or_b64 exec, exec, s[4:5]
	v_lshrrev_b32_e32 v34, 16, v2
	s_or_b64 exec, exec, s[2:3]
	v_and_b32_e32 v20, 0xffff, v34
	s_and_saveexec_b64 s[2:3], s[40:41]
	s_cbranch_execnz .LBB101_978
.LBB101_916:
	s_or_b64 exec, exec, s[2:3]
	v_and_b32_e32 v21, 0xffff, v35
	s_and_saveexec_b64 s[2:3], s[42:43]
	s_cbranch_execz .LBB101_983
.LBB101_917:
	v_lshlrev_b32_e32 v2, 16, v21
	v_pk_add_f32 v[22:23], v[2:3], v[64:65] op_sel_hi:[0,1]
	s_mov_b32 s4, 0x7f800000
	v_and_b32_e32 v2, 0x7f800000, v22
	v_cmp_ne_u32_e32 vcc, s4, v2
                                        ; implicit-def: $vgpr2
	s_and_saveexec_b64 s[4:5], vcc
	s_xor_b64 s[4:5], exec, s[4:5]
; %bb.918:
	v_bfe_u32 v2, v22, 16, 1
	s_movk_i32 s6, 0x7fff
	v_add3_u32 v2, v22, v2, s6
                                        ; implicit-def: $vgpr22_vgpr23
; %bb.919:
	s_andn2_saveexec_b64 s[4:5], s[4:5]
; %bb.920:
	v_mov_b32_e32 v2, 0
	v_or_b32_e32 v23, 0x10000, v22
	v_cmp_eq_u32_sdwa vcc, v22, v2 src0_sel:WORD_0 src1_sel:DWORD
	s_nop 1
	v_cndmask_b32_e32 v2, v23, v22, vcc
; %bb.921:
	s_or_b64 exec, exec, s[4:5]
	v_lshrrev_b32_e32 v32, 16, v2
	s_or_b64 exec, exec, s[2:3]
	v_and_b32_e32 v26, 0xffff, v32
	s_and_saveexec_b64 s[2:3], s[44:45]
	s_cbranch_execnz .LBB101_984
.LBB101_922:
	s_or_b64 exec, exec, s[2:3]
	v_and_b32_e32 v27, 0xffff, v33
	s_and_saveexec_b64 s[2:3], s[46:47]
	s_cbranch_execnz .LBB101_989
	s_branch .LBB101_994
.LBB101_923:
	s_or_b64 exec, exec, s[50:51]
	s_and_saveexec_b64 s[2:3], vcc
	s_cbranch_execz .LBB101_862
.LBB101_924:
	v_lshlrev_b32_e32 v30, 16, v31
	v_pk_add_f32 v[2:3], v[30:31], v[2:3] op_sel_hi:[0,1]
	s_mov_b32 s50, 0x7f800000
	v_and_b32_e32 v3, 0x7f800000, v2
	v_cmp_ne_u32_e32 vcc, s50, v3
                                        ; implicit-def: $vgpr5
	s_and_saveexec_b64 s[50:51], vcc
	s_xor_b64 s[50:51], exec, s[50:51]
; %bb.925:
	v_bfe_u32 v3, v2, 16, 1
	s_movk_i32 s52, 0x7fff
	v_add3_u32 v5, v2, v3, s52
                                        ; implicit-def: $vgpr2_vgpr3
; %bb.926:
	s_andn2_saveexec_b64 s[50:51], s[50:51]
; %bb.927:
	v_mov_b32_e32 v3, 0
	v_or_b32_e32 v5, 0x10000, v2
	v_cmp_eq_u32_sdwa vcc, v2, v3 src0_sel:WORD_0 src1_sel:DWORD
	s_nop 1
	v_cndmask_b32_e32 v5, v5, v2, vcc
; %bb.928:
	s_or_b64 exec, exec, s[50:51]
	v_lshrrev_b32_e32 v30, 16, v5
	s_or_b64 exec, exec, s[2:3]
	v_and_b32_e32 v3, 0xffff, v30
	s_and_saveexec_b64 s[2:3], s[4:5]
	s_cbranch_execnz .LBB101_863
.LBB101_929:
	s_or_b64 exec, exec, s[2:3]
	v_and_b32_e32 v4, 0xffff, v50
	s_and_saveexec_b64 s[2:3], s[6:7]
	s_cbranch_execz .LBB101_868
.LBB101_930:
	v_lshlrev_b32_e32 v2, 16, v4
	v_pk_add_f32 v[6:7], v[2:3], v[6:7] op_sel_hi:[0,1]
	s_mov_b32 s4, 0x7f800000
	v_and_b32_e32 v2, 0x7f800000, v6
	v_cmp_ne_u32_e32 vcc, s4, v2
                                        ; implicit-def: $vgpr2
	s_and_saveexec_b64 s[4:5], vcc
	s_xor_b64 s[4:5], exec, s[4:5]
; %bb.931:
	v_bfe_u32 v2, v6, 16, 1
	s_movk_i32 s6, 0x7fff
	v_add3_u32 v2, v6, v2, s6
                                        ; implicit-def: $vgpr6_vgpr7
; %bb.932:
	s_andn2_saveexec_b64 s[4:5], s[4:5]
; %bb.933:
	v_mov_b32_e32 v2, 0
	v_or_b32_e32 v5, 0x10000, v6
	v_cmp_eq_u32_sdwa vcc, v6, v2 src0_sel:WORD_0 src1_sel:DWORD
	s_nop 1
	v_cndmask_b32_e32 v2, v5, v6, vcc
; %bb.934:
	s_or_b64 exec, exec, s[4:5]
	v_lshrrev_b32_e32 v51, 16, v2
	s_or_b64 exec, exec, s[2:3]
	v_and_b32_e32 v5, 0xffff, v51
	s_and_saveexec_b64 s[2:3], s[8:9]
	s_cbranch_execnz .LBB101_869
.LBB101_935:
	s_or_b64 exec, exec, s[2:3]
	v_and_b32_e32 v6, 0xffff, v48
	s_and_saveexec_b64 s[2:3], s[10:11]
	s_cbranch_execz .LBB101_874
.LBB101_936:
	v_lshlrev_b32_e32 v2, 16, v6
	v_pk_add_f32 v[8:9], v[2:3], v[10:11] op_sel_hi:[0,1]
	s_mov_b32 s4, 0x7f800000
	v_and_b32_e32 v2, 0x7f800000, v8
	v_cmp_ne_u32_e32 vcc, s4, v2
                                        ; implicit-def: $vgpr2
	s_and_saveexec_b64 s[4:5], vcc
	s_xor_b64 s[4:5], exec, s[4:5]
; %bb.937:
	v_bfe_u32 v2, v8, 16, 1
	s_movk_i32 s6, 0x7fff
	v_add3_u32 v2, v8, v2, s6
                                        ; implicit-def: $vgpr8_vgpr9
; %bb.938:
	s_andn2_saveexec_b64 s[4:5], s[4:5]
; %bb.939:
	v_mov_b32_e32 v2, 0
	v_or_b32_e32 v7, 0x10000, v8
	v_cmp_eq_u32_sdwa vcc, v8, v2 src0_sel:WORD_0 src1_sel:DWORD
	s_nop 1
	v_cndmask_b32_e32 v2, v7, v8, vcc
; %bb.940:
	s_or_b64 exec, exec, s[4:5]
	v_lshrrev_b32_e32 v49, 16, v2
	s_or_b64 exec, exec, s[2:3]
	v_and_b32_e32 v7, 0xffff, v49
	s_and_saveexec_b64 s[2:3], s[12:13]
	s_cbranch_execnz .LBB101_875
.LBB101_941:
	s_or_b64 exec, exec, s[2:3]
	v_and_b32_e32 v8, 0xffff, v46
	s_and_saveexec_b64 s[2:3], s[14:15]
	s_cbranch_execz .LBB101_880
.LBB101_942:
	v_lshlrev_b32_e32 v2, 16, v8
	v_pk_add_f32 v[10:11], v[2:3], v[14:15] op_sel_hi:[0,1]
	s_mov_b32 s4, 0x7f800000
	v_and_b32_e32 v2, 0x7f800000, v10
	v_cmp_ne_u32_e32 vcc, s4, v2
                                        ; implicit-def: $vgpr2
	s_and_saveexec_b64 s[4:5], vcc
	s_xor_b64 s[4:5], exec, s[4:5]
; %bb.943:
	v_bfe_u32 v2, v10, 16, 1
	s_movk_i32 s6, 0x7fff
	v_add3_u32 v2, v10, v2, s6
                                        ; implicit-def: $vgpr10_vgpr11
; %bb.944:
	s_andn2_saveexec_b64 s[4:5], s[4:5]
; %bb.945:
	v_mov_b32_e32 v2, 0
	v_or_b32_e32 v9, 0x10000, v10
	v_cmp_eq_u32_sdwa vcc, v10, v2 src0_sel:WORD_0 src1_sel:DWORD
	s_nop 1
	v_cndmask_b32_e32 v2, v9, v10, vcc
; %bb.946:
	s_or_b64 exec, exec, s[4:5]
	v_lshrrev_b32_e32 v47, 16, v2
	s_or_b64 exec, exec, s[2:3]
	v_and_b32_e32 v9, 0xffff, v47
	s_and_saveexec_b64 s[2:3], s[16:17]
	s_cbranch_execnz .LBB101_881
.LBB101_947:
	s_or_b64 exec, exec, s[2:3]
	v_and_b32_e32 v10, 0xffff, v44
	s_and_saveexec_b64 s[2:3], s[18:19]
	s_cbranch_execz .LBB101_886
.LBB101_948:
	v_lshlrev_b32_e32 v2, 16, v10
	v_pk_add_f32 v[12:13], v[2:3], v[18:19] op_sel_hi:[0,1]
	s_mov_b32 s4, 0x7f800000
	v_and_b32_e32 v2, 0x7f800000, v12
	v_cmp_ne_u32_e32 vcc, s4, v2
                                        ; implicit-def: $vgpr2
	s_and_saveexec_b64 s[4:5], vcc
	s_xor_b64 s[4:5], exec, s[4:5]
; %bb.949:
	v_bfe_u32 v2, v12, 16, 1
	s_movk_i32 s6, 0x7fff
	v_add3_u32 v2, v12, v2, s6
                                        ; implicit-def: $vgpr12_vgpr13
; %bb.950:
	s_andn2_saveexec_b64 s[4:5], s[4:5]
; %bb.951:
	v_mov_b32_e32 v2, 0
	v_or_b32_e32 v11, 0x10000, v12
	v_cmp_eq_u32_sdwa vcc, v12, v2 src0_sel:WORD_0 src1_sel:DWORD
	s_nop 1
	v_cndmask_b32_e32 v2, v11, v12, vcc
; %bb.952:
	s_or_b64 exec, exec, s[4:5]
	v_lshrrev_b32_e32 v45, 16, v2
	s_or_b64 exec, exec, s[2:3]
	v_and_b32_e32 v11, 0xffff, v45
	s_and_saveexec_b64 s[2:3], s[20:21]
	s_cbranch_execnz .LBB101_887
.LBB101_953:
	s_or_b64 exec, exec, s[2:3]
	v_and_b32_e32 v12, 0xffff, v42
	s_and_saveexec_b64 s[2:3], s[22:23]
	s_cbranch_execz .LBB101_892
.LBB101_954:
	v_lshlrev_b32_e32 v2, 16, v12
	v_pk_add_f32 v[14:15], v[2:3], v[22:23] op_sel_hi:[0,1]
	s_mov_b32 s4, 0x7f800000
	v_and_b32_e32 v2, 0x7f800000, v14
	v_cmp_ne_u32_e32 vcc, s4, v2
                                        ; implicit-def: $vgpr2
	s_and_saveexec_b64 s[4:5], vcc
	s_xor_b64 s[4:5], exec, s[4:5]
; %bb.955:
	v_bfe_u32 v2, v14, 16, 1
	s_movk_i32 s6, 0x7fff
	v_add3_u32 v2, v14, v2, s6
                                        ; implicit-def: $vgpr14_vgpr15
; %bb.956:
	s_andn2_saveexec_b64 s[4:5], s[4:5]
; %bb.957:
	v_mov_b32_e32 v2, 0
	v_or_b32_e32 v13, 0x10000, v14
	v_cmp_eq_u32_sdwa vcc, v14, v2 src0_sel:WORD_0 src1_sel:DWORD
	s_nop 1
	v_cndmask_b32_e32 v2, v13, v14, vcc
; %bb.958:
	s_or_b64 exec, exec, s[4:5]
	v_lshrrev_b32_e32 v43, 16, v2
	s_or_b64 exec, exec, s[2:3]
	v_and_b32_e32 v13, 0xffff, v43
	s_and_saveexec_b64 s[2:3], s[24:25]
	s_cbranch_execnz .LBB101_893
.LBB101_959:
	s_or_b64 exec, exec, s[2:3]
	v_and_b32_e32 v14, 0xffff, v40
	s_and_saveexec_b64 s[2:3], s[26:27]
	s_cbranch_execz .LBB101_898
.LBB101_960:
	v_lshlrev_b32_e32 v2, 16, v14
	v_pk_add_f32 v[16:17], v[2:3], v[26:27] op_sel_hi:[0,1]
	s_mov_b32 s4, 0x7f800000
	v_and_b32_e32 v2, 0x7f800000, v16
	v_cmp_ne_u32_e32 vcc, s4, v2
                                        ; implicit-def: $vgpr2
	s_and_saveexec_b64 s[4:5], vcc
	s_xor_b64 s[4:5], exec, s[4:5]
; %bb.961:
	v_bfe_u32 v2, v16, 16, 1
	s_movk_i32 s6, 0x7fff
	v_add3_u32 v2, v16, v2, s6
                                        ; implicit-def: $vgpr16_vgpr17
; %bb.962:
	s_andn2_saveexec_b64 s[4:5], s[4:5]
; %bb.963:
	v_mov_b32_e32 v2, 0
	v_or_b32_e32 v15, 0x10000, v16
	v_cmp_eq_u32_sdwa vcc, v16, v2 src0_sel:WORD_0 src1_sel:DWORD
	s_nop 1
	v_cndmask_b32_e32 v2, v15, v16, vcc
; %bb.964:
	s_or_b64 exec, exec, s[4:5]
	v_lshrrev_b32_e32 v41, 16, v2
	s_or_b64 exec, exec, s[2:3]
	v_and_b32_e32 v15, 0xffff, v41
	s_and_saveexec_b64 s[2:3], s[28:29]
	s_cbranch_execnz .LBB101_899
.LBB101_965:
	s_or_b64 exec, exec, s[2:3]
	v_and_b32_e32 v16, 0xffff, v38
	s_and_saveexec_b64 s[2:3], s[30:31]
	s_cbranch_execz .LBB101_904
.LBB101_966:
	v_lshlrev_b32_e32 v2, 16, v16
	v_pk_add_f32 v[18:19], v[2:3], v[52:53] op_sel_hi:[0,1]
	s_mov_b32 s4, 0x7f800000
	v_and_b32_e32 v2, 0x7f800000, v18
	v_cmp_ne_u32_e32 vcc, s4, v2
                                        ; implicit-def: $vgpr2
	s_and_saveexec_b64 s[4:5], vcc
	s_xor_b64 s[4:5], exec, s[4:5]
; %bb.967:
	v_bfe_u32 v2, v18, 16, 1
	s_movk_i32 s6, 0x7fff
	v_add3_u32 v2, v18, v2, s6
                                        ; implicit-def: $vgpr18_vgpr19
; %bb.968:
	s_andn2_saveexec_b64 s[4:5], s[4:5]
; %bb.969:
	v_mov_b32_e32 v2, 0
	v_or_b32_e32 v17, 0x10000, v18
	v_cmp_eq_u32_sdwa vcc, v18, v2 src0_sel:WORD_0 src1_sel:DWORD
	s_nop 1
	v_cndmask_b32_e32 v2, v17, v18, vcc
; %bb.970:
	s_or_b64 exec, exec, s[4:5]
	v_lshrrev_b32_e32 v39, 16, v2
	s_or_b64 exec, exec, s[2:3]
	v_and_b32_e32 v17, 0xffff, v39
	s_and_saveexec_b64 s[2:3], s[34:35]
	s_cbranch_execnz .LBB101_905
.LBB101_971:
	s_or_b64 exec, exec, s[2:3]
	v_and_b32_e32 v18, 0xffff, v36
	s_and_saveexec_b64 s[2:3], s[36:37]
	s_cbranch_execz .LBB101_910
.LBB101_972:
	v_lshlrev_b32_e32 v2, 16, v18
	v_pk_add_f32 v[20:21], v[2:3], v[56:57] op_sel_hi:[0,1]
	s_mov_b32 s4, 0x7f800000
	v_and_b32_e32 v2, 0x7f800000, v20
	v_cmp_ne_u32_e32 vcc, s4, v2
                                        ; implicit-def: $vgpr2
	s_and_saveexec_b64 s[4:5], vcc
	s_xor_b64 s[4:5], exec, s[4:5]
; %bb.973:
	v_bfe_u32 v2, v20, 16, 1
	s_movk_i32 s6, 0x7fff
	v_add3_u32 v2, v20, v2, s6
                                        ; implicit-def: $vgpr20_vgpr21
; %bb.974:
	s_andn2_saveexec_b64 s[4:5], s[4:5]
; %bb.975:
	v_mov_b32_e32 v2, 0
	v_or_b32_e32 v19, 0x10000, v20
	v_cmp_eq_u32_sdwa vcc, v20, v2 src0_sel:WORD_0 src1_sel:DWORD
	s_nop 1
	v_cndmask_b32_e32 v2, v19, v20, vcc
; %bb.976:
	s_or_b64 exec, exec, s[4:5]
	v_lshrrev_b32_e32 v37, 16, v2
	s_or_b64 exec, exec, s[2:3]
	v_and_b32_e32 v19, 0xffff, v37
	s_and_saveexec_b64 s[2:3], s[38:39]
	s_cbranch_execnz .LBB101_911
.LBB101_977:
	s_or_b64 exec, exec, s[2:3]
	v_and_b32_e32 v20, 0xffff, v34
	s_and_saveexec_b64 s[2:3], s[40:41]
	s_cbranch_execz .LBB101_916
.LBB101_978:
	v_lshlrev_b32_e32 v2, 16, v20
	v_pk_add_f32 v[22:23], v[2:3], v[60:61] op_sel_hi:[0,1]
	s_mov_b32 s4, 0x7f800000
	v_and_b32_e32 v2, 0x7f800000, v22
	v_cmp_ne_u32_e32 vcc, s4, v2
                                        ; implicit-def: $vgpr2
	s_and_saveexec_b64 s[4:5], vcc
	s_xor_b64 s[4:5], exec, s[4:5]
; %bb.979:
	v_bfe_u32 v2, v22, 16, 1
	s_movk_i32 s6, 0x7fff
	v_add3_u32 v2, v22, v2, s6
                                        ; implicit-def: $vgpr22_vgpr23
; %bb.980:
	s_andn2_saveexec_b64 s[4:5], s[4:5]
; %bb.981:
	v_mov_b32_e32 v2, 0
	v_or_b32_e32 v21, 0x10000, v22
	v_cmp_eq_u32_sdwa vcc, v22, v2 src0_sel:WORD_0 src1_sel:DWORD
	s_nop 1
	v_cndmask_b32_e32 v2, v21, v22, vcc
; %bb.982:
	s_or_b64 exec, exec, s[4:5]
	v_lshrrev_b32_e32 v35, 16, v2
	s_or_b64 exec, exec, s[2:3]
	v_and_b32_e32 v21, 0xffff, v35
	s_and_saveexec_b64 s[2:3], s[42:43]
	s_cbranch_execnz .LBB101_917
.LBB101_983:
	s_or_b64 exec, exec, s[2:3]
	v_and_b32_e32 v26, 0xffff, v32
	s_and_saveexec_b64 s[2:3], s[44:45]
	s_cbranch_execz .LBB101_922
.LBB101_984:
	v_lshlrev_b32_e32 v2, 16, v26
	v_pk_add_f32 v[22:23], v[2:3], v[66:67] op_sel_hi:[0,1]
	s_mov_b32 s4, 0x7f800000
	v_and_b32_e32 v2, 0x7f800000, v22
	v_cmp_ne_u32_e32 vcc, s4, v2
                                        ; implicit-def: $vgpr2
	s_and_saveexec_b64 s[4:5], vcc
	s_xor_b64 s[4:5], exec, s[4:5]
; %bb.985:
	v_bfe_u32 v2, v22, 16, 1
	s_movk_i32 s6, 0x7fff
	v_add3_u32 v2, v22, v2, s6
                                        ; implicit-def: $vgpr22_vgpr23
; %bb.986:
	s_andn2_saveexec_b64 s[4:5], s[4:5]
; %bb.987:
	v_mov_b32_e32 v2, 0
	v_or_b32_e32 v23, 0x10000, v22
	v_cmp_eq_u32_sdwa vcc, v22, v2 src0_sel:WORD_0 src1_sel:DWORD
	s_nop 1
	v_cndmask_b32_e32 v2, v23, v22, vcc
; %bb.988:
	s_or_b64 exec, exec, s[4:5]
	v_lshrrev_b32_e32 v33, 16, v2
	s_or_b64 exec, exec, s[2:3]
	v_and_b32_e32 v27, 0xffff, v33
	s_and_saveexec_b64 s[2:3], s[46:47]
	s_cbranch_execz .LBB101_994
.LBB101_989:
	v_lshlrev_b32_e32 v2, 16, v27
	v_pk_add_f32 v[22:23], v[2:3], v[68:69] op_sel_hi:[0,1]
	s_mov_b32 s4, 0x7f800000
	v_and_b32_e32 v1, 0x7f800000, v22
	v_cmp_ne_u32_e32 vcc, s4, v1
                                        ; implicit-def: $vgpr1
	s_and_saveexec_b64 s[4:5], vcc
	s_xor_b64 s[4:5], exec, s[4:5]
; %bb.990:
	v_bfe_u32 v1, v22, 16, 1
	s_movk_i32 s6, 0x7fff
	v_add3_u32 v1, v22, v1, s6
                                        ; implicit-def: $vgpr22_vgpr23
; %bb.991:
	s_andn2_saveexec_b64 s[4:5], s[4:5]
; %bb.992:
	v_mov_b32_e32 v1, 0
	v_or_b32_e32 v2, 0x10000, v22
	v_cmp_eq_u32_sdwa vcc, v22, v1 src0_sel:WORD_0 src1_sel:DWORD
	s_nop 1
	v_cndmask_b32_e32 v1, v2, v22, vcc
; %bb.993:
	s_or_b64 exec, exec, s[4:5]
	v_lshrrev_b32_e32 v1, 16, v1
.LBB101_994:
	s_or_b64 exec, exec, s[2:3]
	v_mov_b32_e32 v22, 0
	ds_read_u8 v2, v22 offset:14
	ds_read_u16 v22, v22 offset:12
	s_waitcnt lgkmcnt(1)
	v_cmp_ne_u16_e32 vcc, 0, v2
	s_cbranch_vccz .LBB101_1093
; %bb.995:
	s_and_saveexec_b64 s[2:3], s[48:49]
	s_cbranch_execz .LBB101_997
.LBB101_996:
	v_lshlrev_b32_e32 v2, 16, v2
	v_mov_b32_e32 v24, 0
	s_waitcnt lgkmcnt(0)
	v_or_b32_sdwa v22, v2, v22 dst_sel:DWORD dst_unused:UNUSED_PAD src0_sel:DWORD src1_sel:WORD_0
	v_mov_b32_e32 v23, 2
	v_mov_b32_e32 v29, v72
	global_store_dwordx2 v24, v[22:23], s[56:57] offset:512 sc1
.LBB101_997:
	s_or_b64 exec, exec, s[2:3]
	v_mov_b32_e32 v2, v31
	v_mov_b32_e32 v28, v1
.LBB101_998:
	s_load_dwordx2 s[0:1], s[0:1], 0x18
	v_mul_u32_u24_e32 v30, 24, v0
	s_waitcnt lgkmcnt(0)
	s_add_u32 s0, s0, s64
	s_addc_u32 s1, s1, s65
	s_and_b64 vcc, exec, s[54:55]
	s_cbranch_vccz .LBB101_1088
; %bb.999:
	v_or_b32_e32 v1, 1, v30
	s_add_i32 s33, s33, s58
	v_max_u32_e32 v1, v30, v1
	v_cmp_le_u32_e32 vcc, s33, v1
	v_or_b32_e32 v1, 2, v30
	s_and_saveexec_b64 s[2:3], vcc
	s_xor_b64 s[2:3], exec, s[2:3]
; %bb.1000:
	v_or_b32_e32 v1, 2, v30
; %bb.1001:
	s_or_saveexec_b64 s[2:3], s[2:3]
                                        ; implicit-def: $vgpr22
	s_xor_b64 exec, exec, s[2:3]
	s_cbranch_execz .LBB101_1041
; %bb.1002:
	v_cmp_gt_u32_e32 vcc, s33, v1
                                        ; implicit-def: $vgpr23
	s_and_saveexec_b64 s[4:5], vcc
	s_cbranch_execz .LBB101_1040
; %bb.1003:
	v_or_b32_e32 v22, 3, v30
	v_cmp_gt_u32_e32 vcc, s33, v22
                                        ; implicit-def: $vgpr23
	s_and_saveexec_b64 s[6:7], vcc
	s_cbranch_execz .LBB101_1039
; %bb.1004:
	v_or_b32_e32 v22, 4, v30
	v_cmp_gt_u32_e32 vcc, s33, v22
	v_mov_b32_e32 v22, v4
	s_and_saveexec_b64 s[8:9], vcc
	s_cbranch_execz .LBB101_1038
; %bb.1005:
	v_or_b32_e32 v22, 5, v30
	s_mov_b32 s10, 0x5040100
	v_cmp_gt_u32_e32 vcc, s33, v22
	v_perm_b32 v22, v5, v4, s10
	s_and_saveexec_b64 s[10:11], vcc
	s_cbranch_execz .LBB101_1037
; %bb.1006:
	v_or_b32_e32 v23, 6, v30
	s_mov_b32 s12, 0xffff
	v_cmp_gt_u32_e32 vcc, s33, v23
	v_bfi_b32 v23, s12, v6, v0
	s_and_saveexec_b64 s[12:13], vcc
	s_cbranch_execz .LBB101_1036
; %bb.1007:
	v_or_b32_e32 v24, 7, v30
	v_cmp_gt_u32_e32 vcc, s33, v24
	s_mov_b32 s46, 0x5040100
	s_and_saveexec_b64 s[14:15], vcc
	s_cbranch_execz .LBB101_1035
; %bb.1008:
	v_add_u32_e32 v24, 8, v30
	v_cmp_gt_u32_e32 vcc, s33, v24
	s_and_saveexec_b64 s[16:17], vcc
	s_cbranch_execz .LBB101_1034
; %bb.1009:
	v_add_u32_e32 v24, 9, v30
	v_cmp_gt_u32_e32 vcc, s33, v24
	;; [unrolled: 5-line block ×13, first 2 shown]
	s_and_saveexec_b64 s[42:43], vcc
; %bb.1021:
	v_add_u32_e32 v24, 21, v30
	v_cmp_gt_u32_e32 vcc, s33, v24
	s_and_saveexec_b64 s[44:45], vcc
	s_or_b64 exec, exec, s[44:45]
; %bb.1022:
	s_or_b64 exec, exec, s[42:43]
.LBB101_1023:
	s_or_b64 exec, exec, s[40:41]
.LBB101_1024:
	s_or_b64 exec, exec, s[38:39]
.LBB101_1025:
	s_or_b64 exec, exec, s[36:37]
.LBB101_1026:
	s_or_b64 exec, exec, s[34:35]
.LBB101_1027:
	s_or_b64 exec, exec, s[30:31]
.LBB101_1028:
	s_or_b64 exec, exec, s[28:29]
.LBB101_1029:
	s_or_b64 exec, exec, s[26:27]
.LBB101_1030:
	s_or_b64 exec, exec, s[24:25]
.LBB101_1031:
	s_or_b64 exec, exec, s[22:23]
.LBB101_1032:
	s_or_b64 exec, exec, s[20:21]
.LBB101_1033:
	s_or_b64 exec, exec, s[18:19]
.LBB101_1034:
	s_or_b64 exec, exec, s[16:17]
.LBB101_1035:
	s_or_b64 exec, exec, s[14:15]
	v_perm_b32 v23, v7, v23, s46
.LBB101_1036:
	s_or_b64 exec, exec, s[12:13]
.LBB101_1037:
	s_or_b64 exec, exec, s[10:11]
.LBB101_1038:
	s_or_b64 exec, exec, s[8:9]
.LBB101_1039:
	s_or_b64 exec, exec, s[6:7]
.LBB101_1040:
	s_or_b64 exec, exec, s[4:5]
.LBB101_1041:
	s_or_b64 exec, exec, s[2:3]
	s_mov_b32 s2, 0x5040100
	v_lshlrev_b32_e32 v50, 1, v30
	v_perm_b32 v24, v2, v29, s2
	s_barrier
	ds_write_b32 v50, v24
	v_lshlrev_b32_e32 v1, 1, v1
	v_perm_b32 v25, v11, v10, s2
	v_perm_b32 v24, v9, v8, s2
	ds_write_b16 v1, v3
	ds_write_b128 v50, v[22:25] offset:6
	v_perm_b32 v25, v19, v18, s2
	v_perm_b32 v24, v17, v16, s2
	;; [unrolled: 1-line block ×4, first 2 shown]
	ds_write_b128 v50, v[22:25] offset:22
	v_perm_b32 v23, v27, v26, s2
	v_perm_b32 v22, v21, v20, s2
	s_movk_i32 s2, 0xffd2
	ds_write_b64 v50, v[22:23] offset:38
	ds_write_b16 v50, v28 offset:46
	v_mad_i32_i24 v22, v0, s2, v50
	s_waitcnt lgkmcnt(0)
	s_barrier
	ds_read_u16 v53, v22 offset:512
	ds_read_u16 v52, v22 offset:1024
	;; [unrolled: 1-line block ×23, first 2 shown]
	v_mov_b32_e32 v23, 0
	v_lshlrev_b32_e32 v22, 1, v0
	v_lshl_add_u64 v[24:25], s[0:1], 0, v[22:23]
	v_cmp_gt_u32_e32 vcc, s33, v0
	s_and_saveexec_b64 s[2:3], vcc
	s_cbranch_execz .LBB101_1043
; %bb.1042:
	v_mul_i32_i24_e32 v22, 0xffffffd2, v0
	v_add_u32_e32 v22, v50, v22
	ds_read_u16 v22, v22
	s_waitcnt lgkmcnt(0)
	global_store_short v[24:25], v22, off
.LBB101_1043:
	s_or_b64 exec, exec, s[2:3]
	v_or_b32_e32 v22, 0x100, v0
	v_cmp_gt_u32_e32 vcc, s33, v22
	s_and_saveexec_b64 s[2:3], vcc
	s_cbranch_execz .LBB101_1045
; %bb.1044:
	s_waitcnt lgkmcnt(14)
	global_store_short v[24:25], v53, off offset:512
.LBB101_1045:
	s_or_b64 exec, exec, s[2:3]
	v_or_b32_e32 v22, 0x200, v0
	v_cmp_gt_u32_e32 vcc, s33, v22
	s_and_saveexec_b64 s[2:3], vcc
	s_cbranch_execz .LBB101_1047
; %bb.1046:
	s_waitcnt lgkmcnt(14)
	global_store_short v[24:25], v52, off offset:1024
.LBB101_1047:
	;; [unrolled: 9-line block ×7, first 2 shown]
	s_or_b64 exec, exec, s[2:3]
	v_or_b32_e32 v22, 0x800, v0
	v_cmp_gt_u32_e32 vcc, s33, v22
	s_and_saveexec_b64 s[2:3], vcc
	s_cbranch_execz .LBB101_1059
; %bb.1058:
	s_waitcnt lgkmcnt(14)
	v_add_co_u32_e32 v46, vcc, 0x1000, v24
	s_nop 1
	v_addc_co_u32_e32 v47, vcc, 0, v25, vcc
	global_store_short v[46:47], v45, off
.LBB101_1059:
	s_or_b64 exec, exec, s[2:3]
	v_or_b32_e32 v22, 0x900, v0
	v_cmp_gt_u32_e32 vcc, s33, v22
	s_and_saveexec_b64 s[2:3], vcc
	s_cbranch_execz .LBB101_1061
; %bb.1060:
	s_waitcnt lgkmcnt(14)
	v_add_co_u32_e32 v46, vcc, 0x1000, v24
	s_nop 1
	v_addc_co_u32_e32 v47, vcc, 0, v25, vcc
	global_store_short v[46:47], v44, off offset:512
.LBB101_1061:
	s_or_b64 exec, exec, s[2:3]
	v_or_b32_e32 v22, 0xa00, v0
	v_cmp_gt_u32_e32 vcc, s33, v22
	s_and_saveexec_b64 s[2:3], vcc
	s_cbranch_execz .LBB101_1063
; %bb.1062:
	s_waitcnt lgkmcnt(14)
	v_add_co_u32_e32 v44, vcc, 0x1000, v24
	s_nop 1
	v_addc_co_u32_e32 v45, vcc, 0, v25, vcc
	s_waitcnt lgkmcnt(13)
	global_store_short v[44:45], v43, off offset:1024
.LBB101_1063:
	s_or_b64 exec, exec, s[2:3]
	v_or_b32_e32 v22, 0xb00, v0
	v_cmp_gt_u32_e32 vcc, s33, v22
	s_and_saveexec_b64 s[2:3], vcc
	s_cbranch_execz .LBB101_1065
; %bb.1064:
	s_waitcnt lgkmcnt(14)
	v_add_co_u32_e32 v44, vcc, 0x1000, v24
	s_nop 1
	v_addc_co_u32_e32 v45, vcc, 0, v25, vcc
	s_waitcnt lgkmcnt(12)
	global_store_short v[44:45], v42, off offset:1536
.LBB101_1065:
	;; [unrolled: 13-line block ×6, first 2 shown]
	s_or_b64 exec, exec, s[2:3]
	v_or_b32_e32 v22, 0x1000, v0
	v_cmp_gt_u32_e32 vcc, s33, v22
	s_and_saveexec_b64 s[2:3], vcc
	s_cbranch_execz .LBB101_1075
; %bb.1074:
	s_waitcnt lgkmcnt(8)
	v_add_co_u32_e32 v38, vcc, 0x2000, v24
	s_nop 1
	v_addc_co_u32_e32 v39, vcc, 0, v25, vcc
	s_waitcnt lgkmcnt(7)
	global_store_short v[38:39], v37, off
.LBB101_1075:
	s_or_b64 exec, exec, s[2:3]
	v_or_b32_e32 v22, 0x1100, v0
	v_cmp_gt_u32_e32 vcc, s33, v22
	s_and_saveexec_b64 s[2:3], vcc
	s_cbranch_execz .LBB101_1077
; %bb.1076:
	s_waitcnt lgkmcnt(8)
	v_add_co_u32_e32 v38, vcc, 0x2000, v24
	s_nop 1
	v_addc_co_u32_e32 v39, vcc, 0, v25, vcc
	s_waitcnt lgkmcnt(6)
	global_store_short v[38:39], v36, off offset:512
.LBB101_1077:
	s_or_b64 exec, exec, s[2:3]
	v_or_b32_e32 v22, 0x1200, v0
	v_cmp_gt_u32_e32 vcc, s33, v22
	s_and_saveexec_b64 s[2:3], vcc
	s_cbranch_execz .LBB101_1079
; %bb.1078:
	s_waitcnt lgkmcnt(6)
	v_add_co_u32_e32 v36, vcc, 0x2000, v24
	s_nop 1
	v_addc_co_u32_e32 v37, vcc, 0, v25, vcc
	s_waitcnt lgkmcnt(5)
	global_store_short v[36:37], v35, off offset:1024
.LBB101_1079:
	;; [unrolled: 13-line block ×5, first 2 shown]
	s_or_b64 exec, exec, s[2:3]
	v_or_b32_e32 v22, 0x1600, v0
	v_cmp_gt_u32_e32 vcc, s33, v22
	s_and_saveexec_b64 s[2:3], vcc
	s_cbranch_execz .LBB101_1087
; %bb.1086:
	v_add_co_u32_e32 v24, vcc, 0x2000, v24
	s_nop 1
	v_addc_co_u32_e32 v25, vcc, 0, v25, vcc
	s_waitcnt lgkmcnt(1)
	global_store_short v[24:25], v1, off offset:3072
.LBB101_1087:
	s_or_b64 exec, exec, s[2:3]
	v_or_b32_e32 v22, 0x1700, v0
	s_waitcnt lgkmcnt(1)
	v_mov_b32_e32 v1, v23
	v_cmp_gt_u32_e64 s[2:3], s33, v22
	s_branch .LBB101_1090
.LBB101_1088:
	s_mov_b64 s[2:3], 0
                                        ; implicit-def: $vgpr31
	s_cbranch_execz .LBB101_1090
; %bb.1089:
	s_mov_b32 s4, 0x5040100
	v_lshlrev_b32_e32 v22, 1, v30
	v_perm_b32 v9, v9, v8, s4
	v_perm_b32 v8, v7, v6, s4
	;; [unrolled: 1-line block ×8, first 2 shown]
	s_waitcnt lgkmcnt(0)
	s_barrier
	ds_write_b128 v22, v[2:5] offset:18
	v_perm_b32 v4, v27, v26, s4
	v_perm_b32 v3, v21, v20, s4
	;; [unrolled: 1-line block ×3, first 2 shown]
	s_movk_i32 s4, 0xffd2
	ds_write_b16 v22, v29
	ds_write_b128 v22, v[6:9] offset:2
	ds_write_b96 v22, v[2:4] offset:34
	ds_write_b16 v22, v28 offset:46
	v_mov_b32_e32 v1, 0
	v_mad_i32_i24 v2, v0, s4, v22
	s_waitcnt lgkmcnt(0)
	s_barrier
	ds_read_u16 v6, v2
	ds_read_u16 v7, v2 offset:512
	ds_read_u16 v8, v2 offset:1024
	;; [unrolled: 1-line block ×23, first 2 shown]
	v_lshlrev_b32_e32 v2, 1, v0
	v_mov_b32_e32 v3, v1
	v_lshl_add_u64 v[4:5], s[0:1], 0, v[2:3]
	s_movk_i32 s4, 0x1000
	s_waitcnt lgkmcnt(14)
	global_store_short v2, v6, s[0:1]
	global_store_short v2, v7, s[0:1] offset:512
	global_store_short v2, v8, s[0:1] offset:1024
	;; [unrolled: 1-line block ×7, first 2 shown]
	v_add_co_u32_e32 v2, vcc, s4, v4
	s_or_b64 s[2:3], s[2:3], exec
	s_nop 0
	v_addc_co_u32_e32 v3, vcc, 0, v5, vcc
	global_store_short v[2:3], v14, off
	global_store_short v[2:3], v15, off offset:512
	s_waitcnt lgkmcnt(13)
	global_store_short v[2:3], v16, off offset:1024
	s_waitcnt lgkmcnt(12)
	;; [unrolled: 2-line block ×6, first 2 shown]
	global_store_short v[2:3], v21, off offset:3584
	v_add_co_u32_e32 v2, vcc, 0x2000, v4
	s_nop 1
	v_addc_co_u32_e32 v3, vcc, 0, v5, vcc
	s_waitcnt lgkmcnt(7)
	global_store_short v[2:3], v22, off
	s_waitcnt lgkmcnt(6)
	global_store_short v[2:3], v23, off offset:512
	s_waitcnt lgkmcnt(5)
	global_store_short v[2:3], v24, off offset:1024
	s_waitcnt lgkmcnt(4)
	global_store_short v[2:3], v25, off offset:1536
	s_waitcnt lgkmcnt(3)
	global_store_short v[2:3], v26, off offset:2048
	s_waitcnt lgkmcnt(2)
	global_store_short v[2:3], v27, off offset:2560
	s_waitcnt lgkmcnt(1)
	global_store_short v[2:3], v28, off offset:3072
.LBB101_1090:
	s_and_saveexec_b64 s[4:5], s[2:3]
	s_cbranch_execz .LBB101_1092
; %bb.1091:
	v_lshl_add_u64 v[0:1], v[0:1], 1, s[0:1]
	v_add_co_u32_e32 v0, vcc, 0x2000, v0
	s_nop 1
	v_addc_co_u32_e32 v1, vcc, 0, v1, vcc
	s_waitcnt lgkmcnt(0)
	global_store_short v[0:1], v31, off offset:3584
	s_endpgm
.LBB101_1092:
	s_endpgm
.LBB101_1093:
	v_mov_b32_e32 v23, 16
	v_lshlrev_b32_sdwa v24, v23, v72 dst_sel:DWORD dst_unused:UNUSED_PAD src0_sel:DWORD src1_sel:WORD_0
	s_waitcnt lgkmcnt(0)
	v_lshlrev_b32_e32 v22, 16, v22
	v_pk_add_f32 v[22:23], v[22:23], v[24:25] op_sel_hi:[0,1]
	s_nop 0
	v_readfirstlane_b32 s4, v22
	s_and_b32 s2, s4, 0x7f800000
	s_cmp_eq_u32 s2, 0x7f800000
	s_cbranch_scc1 .LBB101_1095
; %bb.1094:
	s_bfe_u32 s2, s4, 0x10010
	s_add_i32 s2, s4, s2
	s_add_i32 s5, s2, 0x7fff
	s_cbranch_execz .LBB101_1096
	s_branch .LBB101_1097
.LBB101_1095:
                                        ; implicit-def: $sgpr5
.LBB101_1096:
	s_and_b32 s2, s4, 0xffff
	s_or_b32 s3, s4, 0x10000
	s_cmp_eq_u32 s2, 0
	s_cselect_b32 s5, s4, s3
.LBB101_1097:
	s_lshr_b32 s2, s5, 16
	v_mov_b32_e32 v22, s2
	s_and_saveexec_b64 s[2:3], s[48:49]
	s_cbranch_execnz .LBB101_996
	s_branch .LBB101_997
	.section	.rodata,"a",@progbits
	.p2align	6, 0x0
	.amdhsa_kernel _ZN7rocprim6detail25device_scan_by_key_kernelILNS0_25lookback_scan_determinismE0ELb1ENS0_26wrapped_scan_by_key_configINS_14default_configEi12hip_bfloat16EEPiN6hipcub22TransformInputIteratorIS5_NS8_6CastOpIS5_EEPS5_lEESC_S5_NS8_8EqualityENS8_3SumENS0_19lookback_scan_stateINS_5tupleIJS5_bEEELb0ELb1EEES5_EEvT2_T3_T4_T5_T6_T7_T8_mmmPKNSH_IJT9_bEEE
		.amdhsa_group_segment_fixed_size 26624
		.amdhsa_private_segment_fixed_size 0
		.amdhsa_kernarg_size 80
		.amdhsa_user_sgpr_count 2
		.amdhsa_user_sgpr_dispatch_ptr 0
		.amdhsa_user_sgpr_queue_ptr 0
		.amdhsa_user_sgpr_kernarg_segment_ptr 1
		.amdhsa_user_sgpr_dispatch_id 0
		.amdhsa_user_sgpr_kernarg_preload_length 0
		.amdhsa_user_sgpr_kernarg_preload_offset 0
		.amdhsa_user_sgpr_private_segment_size 0
		.amdhsa_uses_dynamic_stack 0
		.amdhsa_enable_private_segment 0
		.amdhsa_system_sgpr_workgroup_id_x 1
		.amdhsa_system_sgpr_workgroup_id_y 0
		.amdhsa_system_sgpr_workgroup_id_z 0
		.amdhsa_system_sgpr_workgroup_info 0
		.amdhsa_system_vgpr_workitem_id 0
		.amdhsa_next_free_vgpr 76
		.amdhsa_next_free_sgpr 77
		.amdhsa_accum_offset 76
		.amdhsa_reserve_vcc 1
		.amdhsa_float_round_mode_32 0
		.amdhsa_float_round_mode_16_64 0
		.amdhsa_float_denorm_mode_32 3
		.amdhsa_float_denorm_mode_16_64 3
		.amdhsa_dx10_clamp 1
		.amdhsa_ieee_mode 1
		.amdhsa_fp16_overflow 0
		.amdhsa_tg_split 0
		.amdhsa_exception_fp_ieee_invalid_op 0
		.amdhsa_exception_fp_denorm_src 0
		.amdhsa_exception_fp_ieee_div_zero 0
		.amdhsa_exception_fp_ieee_overflow 0
		.amdhsa_exception_fp_ieee_underflow 0
		.amdhsa_exception_fp_ieee_inexact 0
		.amdhsa_exception_int_div_zero 0
	.end_amdhsa_kernel
	.section	.text._ZN7rocprim6detail25device_scan_by_key_kernelILNS0_25lookback_scan_determinismE0ELb1ENS0_26wrapped_scan_by_key_configINS_14default_configEi12hip_bfloat16EEPiN6hipcub22TransformInputIteratorIS5_NS8_6CastOpIS5_EEPS5_lEESC_S5_NS8_8EqualityENS8_3SumENS0_19lookback_scan_stateINS_5tupleIJS5_bEEELb0ELb1EEES5_EEvT2_T3_T4_T5_T6_T7_T8_mmmPKNSH_IJT9_bEEE,"axG",@progbits,_ZN7rocprim6detail25device_scan_by_key_kernelILNS0_25lookback_scan_determinismE0ELb1ENS0_26wrapped_scan_by_key_configINS_14default_configEi12hip_bfloat16EEPiN6hipcub22TransformInputIteratorIS5_NS8_6CastOpIS5_EEPS5_lEESC_S5_NS8_8EqualityENS8_3SumENS0_19lookback_scan_stateINS_5tupleIJS5_bEEELb0ELb1EEES5_EEvT2_T3_T4_T5_T6_T7_T8_mmmPKNSH_IJT9_bEEE,comdat
.Lfunc_end101:
	.size	_ZN7rocprim6detail25device_scan_by_key_kernelILNS0_25lookback_scan_determinismE0ELb1ENS0_26wrapped_scan_by_key_configINS_14default_configEi12hip_bfloat16EEPiN6hipcub22TransformInputIteratorIS5_NS8_6CastOpIS5_EEPS5_lEESC_S5_NS8_8EqualityENS8_3SumENS0_19lookback_scan_stateINS_5tupleIJS5_bEEELb0ELb1EEES5_EEvT2_T3_T4_T5_T6_T7_T8_mmmPKNSH_IJT9_bEEE, .Lfunc_end101-_ZN7rocprim6detail25device_scan_by_key_kernelILNS0_25lookback_scan_determinismE0ELb1ENS0_26wrapped_scan_by_key_configINS_14default_configEi12hip_bfloat16EEPiN6hipcub22TransformInputIteratorIS5_NS8_6CastOpIS5_EEPS5_lEESC_S5_NS8_8EqualityENS8_3SumENS0_19lookback_scan_stateINS_5tupleIJS5_bEEELb0ELb1EEES5_EEvT2_T3_T4_T5_T6_T7_T8_mmmPKNSH_IJT9_bEEE
                                        ; -- End function
	.section	.AMDGPU.csdata,"",@progbits
; Kernel info:
; codeLenInByte = 31656
; NumSgprs: 83
; NumVgprs: 76
; NumAgprs: 0
; TotalNumVgprs: 76
; ScratchSize: 0
; MemoryBound: 0
; FloatMode: 240
; IeeeMode: 1
; LDSByteSize: 26624 bytes/workgroup (compile time only)
; SGPRBlocks: 10
; VGPRBlocks: 9
; NumSGPRsForWavesPerEU: 83
; NumVGPRsForWavesPerEU: 76
; AccumOffset: 76
; Occupancy: 2
; WaveLimiterHint : 1
; COMPUTE_PGM_RSRC2:SCRATCH_EN: 0
; COMPUTE_PGM_RSRC2:USER_SGPR: 2
; COMPUTE_PGM_RSRC2:TRAP_HANDLER: 0
; COMPUTE_PGM_RSRC2:TGID_X_EN: 1
; COMPUTE_PGM_RSRC2:TGID_Y_EN: 0
; COMPUTE_PGM_RSRC2:TGID_Z_EN: 0
; COMPUTE_PGM_RSRC2:TIDIG_COMP_CNT: 0
; COMPUTE_PGM_RSRC3_GFX90A:ACCUM_OFFSET: 18
; COMPUTE_PGM_RSRC3_GFX90A:TG_SPLIT: 0
	.section	.text._ZN7rocprim6detail25device_scan_by_key_kernelILNS0_25lookback_scan_determinismE0ELb1ENS0_26wrapped_scan_by_key_configINS_14default_configEi12hip_bfloat16EEPiN6hipcub22TransformInputIteratorIS5_NS8_6CastOpIS5_EEPS5_lEESC_S5_NS8_8EqualityENS8_3MaxENS0_19lookback_scan_stateINS_5tupleIJS5_bEEELb1ELb1EEES5_EEvT2_T3_T4_T5_T6_T7_T8_mmmPKNSH_IJT9_bEEE,"axG",@progbits,_ZN7rocprim6detail25device_scan_by_key_kernelILNS0_25lookback_scan_determinismE0ELb1ENS0_26wrapped_scan_by_key_configINS_14default_configEi12hip_bfloat16EEPiN6hipcub22TransformInputIteratorIS5_NS8_6CastOpIS5_EEPS5_lEESC_S5_NS8_8EqualityENS8_3MaxENS0_19lookback_scan_stateINS_5tupleIJS5_bEEELb1ELb1EEES5_EEvT2_T3_T4_T5_T6_T7_T8_mmmPKNSH_IJT9_bEEE,comdat
	.protected	_ZN7rocprim6detail25device_scan_by_key_kernelILNS0_25lookback_scan_determinismE0ELb1ENS0_26wrapped_scan_by_key_configINS_14default_configEi12hip_bfloat16EEPiN6hipcub22TransformInputIteratorIS5_NS8_6CastOpIS5_EEPS5_lEESC_S5_NS8_8EqualityENS8_3MaxENS0_19lookback_scan_stateINS_5tupleIJS5_bEEELb1ELb1EEES5_EEvT2_T3_T4_T5_T6_T7_T8_mmmPKNSH_IJT9_bEEE ; -- Begin function _ZN7rocprim6detail25device_scan_by_key_kernelILNS0_25lookback_scan_determinismE0ELb1ENS0_26wrapped_scan_by_key_configINS_14default_configEi12hip_bfloat16EEPiN6hipcub22TransformInputIteratorIS5_NS8_6CastOpIS5_EEPS5_lEESC_S5_NS8_8EqualityENS8_3MaxENS0_19lookback_scan_stateINS_5tupleIJS5_bEEELb1ELb1EEES5_EEvT2_T3_T4_T5_T6_T7_T8_mmmPKNSH_IJT9_bEEE
	.globl	_ZN7rocprim6detail25device_scan_by_key_kernelILNS0_25lookback_scan_determinismE0ELb1ENS0_26wrapped_scan_by_key_configINS_14default_configEi12hip_bfloat16EEPiN6hipcub22TransformInputIteratorIS5_NS8_6CastOpIS5_EEPS5_lEESC_S5_NS8_8EqualityENS8_3MaxENS0_19lookback_scan_stateINS_5tupleIJS5_bEEELb1ELb1EEES5_EEvT2_T3_T4_T5_T6_T7_T8_mmmPKNSH_IJT9_bEEE
	.p2align	8
	.type	_ZN7rocprim6detail25device_scan_by_key_kernelILNS0_25lookback_scan_determinismE0ELb1ENS0_26wrapped_scan_by_key_configINS_14default_configEi12hip_bfloat16EEPiN6hipcub22TransformInputIteratorIS5_NS8_6CastOpIS5_EEPS5_lEESC_S5_NS8_8EqualityENS8_3MaxENS0_19lookback_scan_stateINS_5tupleIJS5_bEEELb1ELb1EEES5_EEvT2_T3_T4_T5_T6_T7_T8_mmmPKNSH_IJT9_bEEE,@function
_ZN7rocprim6detail25device_scan_by_key_kernelILNS0_25lookback_scan_determinismE0ELb1ENS0_26wrapped_scan_by_key_configINS_14default_configEi12hip_bfloat16EEPiN6hipcub22TransformInputIteratorIS5_NS8_6CastOpIS5_EEPS5_lEESC_S5_NS8_8EqualityENS8_3MaxENS0_19lookback_scan_stateINS_5tupleIJS5_bEEELb1ELb1EEES5_EEvT2_T3_T4_T5_T6_T7_T8_mmmPKNSH_IJT9_bEEE: ; @_ZN7rocprim6detail25device_scan_by_key_kernelILNS0_25lookback_scan_determinismE0ELb1ENS0_26wrapped_scan_by_key_configINS_14default_configEi12hip_bfloat16EEPiN6hipcub22TransformInputIteratorIS5_NS8_6CastOpIS5_EEPS5_lEESC_S5_NS8_8EqualityENS8_3MaxENS0_19lookback_scan_stateINS_5tupleIJS5_bEEELb1ELb1EEES5_EEvT2_T3_T4_T5_T6_T7_T8_mmmPKNSH_IJT9_bEEE
; %bb.0:
	s_endpgm
	.section	.rodata,"a",@progbits
	.p2align	6, 0x0
	.amdhsa_kernel _ZN7rocprim6detail25device_scan_by_key_kernelILNS0_25lookback_scan_determinismE0ELb1ENS0_26wrapped_scan_by_key_configINS_14default_configEi12hip_bfloat16EEPiN6hipcub22TransformInputIteratorIS5_NS8_6CastOpIS5_EEPS5_lEESC_S5_NS8_8EqualityENS8_3MaxENS0_19lookback_scan_stateINS_5tupleIJS5_bEEELb1ELb1EEES5_EEvT2_T3_T4_T5_T6_T7_T8_mmmPKNSH_IJT9_bEEE
		.amdhsa_group_segment_fixed_size 0
		.amdhsa_private_segment_fixed_size 0
		.amdhsa_kernarg_size 80
		.amdhsa_user_sgpr_count 2
		.amdhsa_user_sgpr_dispatch_ptr 0
		.amdhsa_user_sgpr_queue_ptr 0
		.amdhsa_user_sgpr_kernarg_segment_ptr 1
		.amdhsa_user_sgpr_dispatch_id 0
		.amdhsa_user_sgpr_kernarg_preload_length 0
		.amdhsa_user_sgpr_kernarg_preload_offset 0
		.amdhsa_user_sgpr_private_segment_size 0
		.amdhsa_uses_dynamic_stack 0
		.amdhsa_enable_private_segment 0
		.amdhsa_system_sgpr_workgroup_id_x 1
		.amdhsa_system_sgpr_workgroup_id_y 0
		.amdhsa_system_sgpr_workgroup_id_z 0
		.amdhsa_system_sgpr_workgroup_info 0
		.amdhsa_system_vgpr_workitem_id 0
		.amdhsa_next_free_vgpr 1
		.amdhsa_next_free_sgpr 0
		.amdhsa_accum_offset 4
		.amdhsa_reserve_vcc 0
		.amdhsa_float_round_mode_32 0
		.amdhsa_float_round_mode_16_64 0
		.amdhsa_float_denorm_mode_32 3
		.amdhsa_float_denorm_mode_16_64 3
		.amdhsa_dx10_clamp 1
		.amdhsa_ieee_mode 1
		.amdhsa_fp16_overflow 0
		.amdhsa_tg_split 0
		.amdhsa_exception_fp_ieee_invalid_op 0
		.amdhsa_exception_fp_denorm_src 0
		.amdhsa_exception_fp_ieee_div_zero 0
		.amdhsa_exception_fp_ieee_overflow 0
		.amdhsa_exception_fp_ieee_underflow 0
		.amdhsa_exception_fp_ieee_inexact 0
		.amdhsa_exception_int_div_zero 0
	.end_amdhsa_kernel
	.section	.text._ZN7rocprim6detail25device_scan_by_key_kernelILNS0_25lookback_scan_determinismE0ELb1ENS0_26wrapped_scan_by_key_configINS_14default_configEi12hip_bfloat16EEPiN6hipcub22TransformInputIteratorIS5_NS8_6CastOpIS5_EEPS5_lEESC_S5_NS8_8EqualityENS8_3MaxENS0_19lookback_scan_stateINS_5tupleIJS5_bEEELb1ELb1EEES5_EEvT2_T3_T4_T5_T6_T7_T8_mmmPKNSH_IJT9_bEEE,"axG",@progbits,_ZN7rocprim6detail25device_scan_by_key_kernelILNS0_25lookback_scan_determinismE0ELb1ENS0_26wrapped_scan_by_key_configINS_14default_configEi12hip_bfloat16EEPiN6hipcub22TransformInputIteratorIS5_NS8_6CastOpIS5_EEPS5_lEESC_S5_NS8_8EqualityENS8_3MaxENS0_19lookback_scan_stateINS_5tupleIJS5_bEEELb1ELb1EEES5_EEvT2_T3_T4_T5_T6_T7_T8_mmmPKNSH_IJT9_bEEE,comdat
.Lfunc_end102:
	.size	_ZN7rocprim6detail25device_scan_by_key_kernelILNS0_25lookback_scan_determinismE0ELb1ENS0_26wrapped_scan_by_key_configINS_14default_configEi12hip_bfloat16EEPiN6hipcub22TransformInputIteratorIS5_NS8_6CastOpIS5_EEPS5_lEESC_S5_NS8_8EqualityENS8_3MaxENS0_19lookback_scan_stateINS_5tupleIJS5_bEEELb1ELb1EEES5_EEvT2_T3_T4_T5_T6_T7_T8_mmmPKNSH_IJT9_bEEE, .Lfunc_end102-_ZN7rocprim6detail25device_scan_by_key_kernelILNS0_25lookback_scan_determinismE0ELb1ENS0_26wrapped_scan_by_key_configINS_14default_configEi12hip_bfloat16EEPiN6hipcub22TransformInputIteratorIS5_NS8_6CastOpIS5_EEPS5_lEESC_S5_NS8_8EqualityENS8_3MaxENS0_19lookback_scan_stateINS_5tupleIJS5_bEEELb1ELb1EEES5_EEvT2_T3_T4_T5_T6_T7_T8_mmmPKNSH_IJT9_bEEE
                                        ; -- End function
	.section	.AMDGPU.csdata,"",@progbits
; Kernel info:
; codeLenInByte = 4
; NumSgprs: 6
; NumVgprs: 0
; NumAgprs: 0
; TotalNumVgprs: 0
; ScratchSize: 0
; MemoryBound: 0
; FloatMode: 240
; IeeeMode: 1
; LDSByteSize: 0 bytes/workgroup (compile time only)
; SGPRBlocks: 0
; VGPRBlocks: 0
; NumSGPRsForWavesPerEU: 6
; NumVGPRsForWavesPerEU: 1
; AccumOffset: 4
; Occupancy: 8
; WaveLimiterHint : 0
; COMPUTE_PGM_RSRC2:SCRATCH_EN: 0
; COMPUTE_PGM_RSRC2:USER_SGPR: 2
; COMPUTE_PGM_RSRC2:TRAP_HANDLER: 0
; COMPUTE_PGM_RSRC2:TGID_X_EN: 1
; COMPUTE_PGM_RSRC2:TGID_Y_EN: 0
; COMPUTE_PGM_RSRC2:TGID_Z_EN: 0
; COMPUTE_PGM_RSRC2:TIDIG_COMP_CNT: 0
; COMPUTE_PGM_RSRC3_GFX90A:ACCUM_OFFSET: 0
; COMPUTE_PGM_RSRC3_GFX90A:TG_SPLIT: 0
	.section	.text._ZN7rocprim6detail25device_scan_by_key_kernelILNS0_25lookback_scan_determinismE0ELb1ENS0_26wrapped_scan_by_key_configINS_14default_configEi12hip_bfloat16EEPiN6hipcub22TransformInputIteratorIS5_NS8_6CastOpIS5_EEPS5_lEESC_S5_NS8_8EqualityENS8_3MaxENS0_19lookback_scan_stateINS_5tupleIJS5_bEEELb0ELb1EEES5_EEvT2_T3_T4_T5_T6_T7_T8_mmmPKNSH_IJT9_bEEE,"axG",@progbits,_ZN7rocprim6detail25device_scan_by_key_kernelILNS0_25lookback_scan_determinismE0ELb1ENS0_26wrapped_scan_by_key_configINS_14default_configEi12hip_bfloat16EEPiN6hipcub22TransformInputIteratorIS5_NS8_6CastOpIS5_EEPS5_lEESC_S5_NS8_8EqualityENS8_3MaxENS0_19lookback_scan_stateINS_5tupleIJS5_bEEELb0ELb1EEES5_EEvT2_T3_T4_T5_T6_T7_T8_mmmPKNSH_IJT9_bEEE,comdat
	.protected	_ZN7rocprim6detail25device_scan_by_key_kernelILNS0_25lookback_scan_determinismE0ELb1ENS0_26wrapped_scan_by_key_configINS_14default_configEi12hip_bfloat16EEPiN6hipcub22TransformInputIteratorIS5_NS8_6CastOpIS5_EEPS5_lEESC_S5_NS8_8EqualityENS8_3MaxENS0_19lookback_scan_stateINS_5tupleIJS5_bEEELb0ELb1EEES5_EEvT2_T3_T4_T5_T6_T7_T8_mmmPKNSH_IJT9_bEEE ; -- Begin function _ZN7rocprim6detail25device_scan_by_key_kernelILNS0_25lookback_scan_determinismE0ELb1ENS0_26wrapped_scan_by_key_configINS_14default_configEi12hip_bfloat16EEPiN6hipcub22TransformInputIteratorIS5_NS8_6CastOpIS5_EEPS5_lEESC_S5_NS8_8EqualityENS8_3MaxENS0_19lookback_scan_stateINS_5tupleIJS5_bEEELb0ELb1EEES5_EEvT2_T3_T4_T5_T6_T7_T8_mmmPKNSH_IJT9_bEEE
	.globl	_ZN7rocprim6detail25device_scan_by_key_kernelILNS0_25lookback_scan_determinismE0ELb1ENS0_26wrapped_scan_by_key_configINS_14default_configEi12hip_bfloat16EEPiN6hipcub22TransformInputIteratorIS5_NS8_6CastOpIS5_EEPS5_lEESC_S5_NS8_8EqualityENS8_3MaxENS0_19lookback_scan_stateINS_5tupleIJS5_bEEELb0ELb1EEES5_EEvT2_T3_T4_T5_T6_T7_T8_mmmPKNSH_IJT9_bEEE
	.p2align	8
	.type	_ZN7rocprim6detail25device_scan_by_key_kernelILNS0_25lookback_scan_determinismE0ELb1ENS0_26wrapped_scan_by_key_configINS_14default_configEi12hip_bfloat16EEPiN6hipcub22TransformInputIteratorIS5_NS8_6CastOpIS5_EEPS5_lEESC_S5_NS8_8EqualityENS8_3MaxENS0_19lookback_scan_stateINS_5tupleIJS5_bEEELb0ELb1EEES5_EEvT2_T3_T4_T5_T6_T7_T8_mmmPKNSH_IJT9_bEEE,@function
_ZN7rocprim6detail25device_scan_by_key_kernelILNS0_25lookback_scan_determinismE0ELb1ENS0_26wrapped_scan_by_key_configINS_14default_configEi12hip_bfloat16EEPiN6hipcub22TransformInputIteratorIS5_NS8_6CastOpIS5_EEPS5_lEESC_S5_NS8_8EqualityENS8_3MaxENS0_19lookback_scan_stateINS_5tupleIJS5_bEEELb0ELb1EEES5_EEvT2_T3_T4_T5_T6_T7_T8_mmmPKNSH_IJT9_bEEE: ; @_ZN7rocprim6detail25device_scan_by_key_kernelILNS0_25lookback_scan_determinismE0ELb1ENS0_26wrapped_scan_by_key_configINS_14default_configEi12hip_bfloat16EEPiN6hipcub22TransformInputIteratorIS5_NS8_6CastOpIS5_EEPS5_lEESC_S5_NS8_8EqualityENS8_3MaxENS0_19lookback_scan_stateINS_5tupleIJS5_bEEELb0ELb1EEES5_EEvT2_T3_T4_T5_T6_T7_T8_mmmPKNSH_IJT9_bEEE
; %bb.0:
	s_load_dwordx4 s[4:7], s[0:1], 0x0
	s_load_dword s76, s[0:1], 0x20
	s_load_dwordx8 s[56:63], s[0:1], 0x28
	s_load_dwordx2 s[66:67], s[0:1], 0x48
	s_mul_i32 s8, s2, 0x1800
	s_mov_b32 s9, 0
	s_lshl_b64 s[10:11], s[8:9], 2
	s_waitcnt lgkmcnt(0)
	s_add_u32 s70, s4, s10
	s_addc_u32 s71, s5, s11
	s_lshl_b64 s[64:65], s[8:9], 1
	s_add_u32 s68, s6, s64
	s_addc_u32 s69, s7, s65
	s_add_u32 s4, s2, s60
	s_addc_u32 s5, 0, s61
	s_add_u32 s6, s62, -1
	s_addc_u32 s7, s63, -1
	v_mov_b64_e32 v[2:3], s[6:7]
	v_cmp_ge_u64_e64 s[54:55], s[4:5], v[2:3]
	s_mov_b64 s[20:21], -1
	s_and_b64 vcc, exec, s[54:55]
	s_mul_i32 s33, s6, 0xffffe800
	s_cbranch_vccz .LBB103_126
; %bb.1:
	s_load_dword s59, s[70:71], 0x0
	s_add_i32 s3, s33, s58
	v_mov_b32_e32 v3, 0
	v_lshlrev_b32_e32 v2, 2, v0
	v_lshl_add_u64 v[4:5], s[70:71], 0, v[2:3]
	v_cmp_gt_u32_e64 s[4:5], s3, v0
	s_waitcnt lgkmcnt(0)
	v_mov_b32_e32 v1, s59
	s_and_saveexec_b64 s[6:7], s[4:5]
	s_cbranch_execz .LBB103_3
; %bb.2:
	global_load_dword v1, v[4:5], off
.LBB103_3:
	s_or_b64 exec, exec, s[6:7]
	v_or_b32_e32 v3, 0x100, v0
	v_cmp_gt_u32_e64 s[6:7], s3, v3
	v_mov_b32_e32 v3, s59
	s_and_saveexec_b64 s[8:9], s[6:7]
	s_cbranch_execz .LBB103_5
; %bb.4:
	global_load_dword v3, v[4:5], off offset:1024
.LBB103_5:
	s_or_b64 exec, exec, s[8:9]
	v_or_b32_e32 v6, 0x200, v0
	v_cmp_gt_u32_e64 s[8:9], s3, v6
	v_mov_b32_e32 v6, s59
	s_and_saveexec_b64 s[10:11], s[8:9]
	s_cbranch_execz .LBB103_7
; %bb.6:
	global_load_dword v6, v[4:5], off offset:2048
.LBB103_7:
	;; [unrolled: 9-line block ×3, first 2 shown]
	s_or_b64 exec, exec, s[12:13]
	v_or_b32_e32 v8, 0x400, v0
	v_cmp_gt_u32_e64 s[12:13], s3, v8
	v_mov_b32_e32 v8, s59
	s_and_saveexec_b64 s[14:15], s[12:13]
	s_cbranch_execz .LBB103_11
; %bb.10:
	v_add_co_u32_e32 v8, vcc, 0x1000, v4
	s_nop 1
	v_addc_co_u32_e32 v9, vcc, 0, v5, vcc
	global_load_dword v8, v[8:9], off
.LBB103_11:
	s_or_b64 exec, exec, s[14:15]
	v_or_b32_e32 v9, 0x500, v0
	v_cmp_gt_u32_e64 s[14:15], s3, v9
	v_mov_b32_e32 v9, s59
	s_and_saveexec_b64 s[16:17], s[14:15]
	s_cbranch_execz .LBB103_13
; %bb.12:
	v_add_co_u32_e32 v10, vcc, 0x1000, v4
	s_nop 1
	v_addc_co_u32_e32 v11, vcc, 0, v5, vcc
	global_load_dword v9, v[10:11], off offset:1024
.LBB103_13:
	s_or_b64 exec, exec, s[16:17]
	v_or_b32_e32 v10, 0x600, v0
	v_cmp_gt_u32_e64 s[16:17], s3, v10
	v_mov_b32_e32 v10, s59
	s_and_saveexec_b64 s[18:19], s[16:17]
	s_cbranch_execz .LBB103_15
; %bb.14:
	v_add_co_u32_e32 v10, vcc, 0x1000, v4
	s_nop 1
	v_addc_co_u32_e32 v11, vcc, 0, v5, vcc
	global_load_dword v10, v[10:11], off offset:2048
.LBB103_15:
	s_or_b64 exec, exec, s[18:19]
	v_or_b32_e32 v11, 0x700, v0
	v_cmp_gt_u32_e64 s[18:19], s3, v11
	v_mov_b32_e32 v11, s59
	s_and_saveexec_b64 s[20:21], s[18:19]
	s_cbranch_execz .LBB103_17
; %bb.16:
	v_add_co_u32_e32 v12, vcc, 0x1000, v4
	s_nop 1
	v_addc_co_u32_e32 v13, vcc, 0, v5, vcc
	global_load_dword v11, v[12:13], off offset:3072
.LBB103_17:
	s_or_b64 exec, exec, s[20:21]
	v_or_b32_e32 v12, 0x800, v0
	v_cmp_gt_u32_e64 s[20:21], s3, v12
	v_mov_b32_e32 v12, s59
	s_and_saveexec_b64 s[22:23], s[20:21]
	s_cbranch_execz .LBB103_19
; %bb.18:
	v_add_co_u32_e32 v12, vcc, 0x2000, v4
	s_nop 1
	v_addc_co_u32_e32 v13, vcc, 0, v5, vcc
	global_load_dword v12, v[12:13], off
.LBB103_19:
	s_or_b64 exec, exec, s[22:23]
	v_or_b32_e32 v13, 0x900, v0
	v_cmp_gt_u32_e64 s[22:23], s3, v13
	v_mov_b32_e32 v13, s59
	s_and_saveexec_b64 s[24:25], s[22:23]
	s_cbranch_execz .LBB103_21
; %bb.20:
	v_add_co_u32_e32 v14, vcc, 0x2000, v4
	s_nop 1
	v_addc_co_u32_e32 v15, vcc, 0, v5, vcc
	global_load_dword v13, v[14:15], off offset:1024
.LBB103_21:
	s_or_b64 exec, exec, s[24:25]
	v_or_b32_e32 v14, 0xa00, v0
	v_cmp_gt_u32_e64 s[24:25], s3, v14
	v_mov_b32_e32 v14, s59
	s_and_saveexec_b64 s[26:27], s[24:25]
	s_cbranch_execz .LBB103_23
; %bb.22:
	v_add_co_u32_e32 v14, vcc, 0x2000, v4
	s_nop 1
	v_addc_co_u32_e32 v15, vcc, 0, v5, vcc
	global_load_dword v14, v[14:15], off offset:2048
.LBB103_23:
	s_or_b64 exec, exec, s[26:27]
	v_or_b32_e32 v15, 0xb00, v0
	v_cmp_gt_u32_e64 s[26:27], s3, v15
	v_mov_b32_e32 v15, s59
	s_and_saveexec_b64 s[28:29], s[26:27]
	s_cbranch_execz .LBB103_25
; %bb.24:
	v_add_co_u32_e32 v16, vcc, 0x2000, v4
	s_nop 1
	v_addc_co_u32_e32 v17, vcc, 0, v5, vcc
	global_load_dword v15, v[16:17], off offset:3072
.LBB103_25:
	;; [unrolled: 48-line block ×5, first 2 shown]
	s_or_b64 exec, exec, s[60:61]
	s_movk_i32 s59, 0x5c
	s_waitcnt vmcnt(0)
	ds_write2st64_b32 v2, v1, v3 offset1:4
	ds_write2st64_b32 v2, v6, v7 offset0:8 offset1:12
	ds_write2st64_b32 v2, v8, v9 offset0:16 offset1:20
	;; [unrolled: 1-line block ×11, first 2 shown]
	v_mad_u32_u24 v1, v0, s59, v2
	s_waitcnt lgkmcnt(0)
	s_barrier
	ds_read_b128 v[42:45], v1
	ds_read_b128 v[38:41], v1 offset:16
	ds_read_b128 v[34:37], v1 offset:32
	;; [unrolled: 1-line block ×5, first 2 shown]
	s_load_dword s59, s[70:71], 0x0
	s_movk_i32 s60, 0xffa4
	v_mad_i32_i24 v1, v0, s60, v1
	s_movk_i32 s60, 0xff
	v_cmp_ne_u32_e32 vcc, s60, v0
	s_waitcnt lgkmcnt(0)
	v_mov_b32_e32 v52, s59
	ds_write_b32 v1, v42 offset:25600
	s_waitcnt lgkmcnt(0)
	s_barrier
	s_and_saveexec_b64 s[60:61], vcc
	s_cbranch_execz .LBB103_51
; %bb.50:
	ds_read_b32 v52, v2 offset:25604
.LBB103_51:
	s_or_b64 exec, exec, s[60:61]
	v_lshlrev_b32_e32 v2, 1, v0
	v_mov_b32_e32 v3, 0
	v_lshl_add_u64 v[4:5], s[68:69], 0, v[2:3]
	s_waitcnt lgkmcnt(0)
	s_barrier
	s_waitcnt lgkmcnt(0)
                                        ; implicit-def: $vgpr3
	s_and_saveexec_b64 s[60:61], s[4:5]
	s_cbranch_execz .LBB103_203
; %bb.52:
	global_load_ushort v3, v[4:5], off
	s_or_b64 exec, exec, s[60:61]
                                        ; implicit-def: $vgpr6
	s_and_saveexec_b64 s[4:5], s[6:7]
	s_cbranch_execnz .LBB103_204
.LBB103_53:
	s_or_b64 exec, exec, s[4:5]
                                        ; implicit-def: $vgpr7
	s_and_saveexec_b64 s[4:5], s[8:9]
	s_cbranch_execz .LBB103_205
.LBB103_54:
	global_load_ushort v7, v[4:5], off offset:1024
	s_or_b64 exec, exec, s[4:5]
                                        ; implicit-def: $vgpr8
	s_and_saveexec_b64 s[4:5], s[10:11]
	s_cbranch_execnz .LBB103_206
.LBB103_55:
	s_or_b64 exec, exec, s[4:5]
                                        ; implicit-def: $vgpr9
	s_and_saveexec_b64 s[4:5], s[12:13]
	s_cbranch_execz .LBB103_207
.LBB103_56:
	global_load_ushort v9, v[4:5], off offset:2048
	s_or_b64 exec, exec, s[4:5]
                                        ; implicit-def: $vgpr10
	s_and_saveexec_b64 s[4:5], s[14:15]
	s_cbranch_execnz .LBB103_208
.LBB103_57:
	s_or_b64 exec, exec, s[4:5]
                                        ; implicit-def: $vgpr11
	s_and_saveexec_b64 s[4:5], s[16:17]
	s_cbranch_execz .LBB103_209
.LBB103_58:
	global_load_ushort v11, v[4:5], off offset:3072
	s_or_b64 exec, exec, s[4:5]
                                        ; implicit-def: $vgpr12
	s_and_saveexec_b64 s[4:5], s[18:19]
	s_cbranch_execnz .LBB103_210
.LBB103_59:
	s_or_b64 exec, exec, s[4:5]
                                        ; implicit-def: $vgpr13
	s_and_saveexec_b64 s[4:5], s[20:21]
	s_cbranch_execz .LBB103_211
.LBB103_60:
	v_add_co_u32_e32 v14, vcc, 0x1000, v4
	s_nop 1
	v_addc_co_u32_e32 v15, vcc, 0, v5, vcc
	global_load_ushort v13, v[14:15], off
	s_or_b64 exec, exec, s[4:5]
                                        ; implicit-def: $vgpr14
	s_and_saveexec_b64 s[4:5], s[22:23]
	s_cbranch_execnz .LBB103_212
.LBB103_61:
	s_or_b64 exec, exec, s[4:5]
                                        ; implicit-def: $vgpr15
	s_and_saveexec_b64 s[4:5], s[24:25]
	s_cbranch_execz .LBB103_213
.LBB103_62:
	v_add_co_u32_e32 v16, vcc, 0x1000, v4
	s_nop 1
	v_addc_co_u32_e32 v17, vcc, 0, v5, vcc
	global_load_ushort v15, v[16:17], off offset:1024
	s_or_b64 exec, exec, s[4:5]
                                        ; implicit-def: $vgpr16
	s_and_saveexec_b64 s[4:5], s[26:27]
	s_cbranch_execnz .LBB103_214
.LBB103_63:
	s_or_b64 exec, exec, s[4:5]
                                        ; implicit-def: $vgpr17
	s_and_saveexec_b64 s[4:5], s[28:29]
	s_cbranch_execz .LBB103_215
.LBB103_64:
	v_add_co_u32_e32 v18, vcc, 0x1000, v4
	s_nop 1
	v_addc_co_u32_e32 v19, vcc, 0, v5, vcc
	global_load_ushort v17, v[18:19], off offset:2048
	s_or_b64 exec, exec, s[4:5]
                                        ; implicit-def: $vgpr18
	s_and_saveexec_b64 s[4:5], s[30:31]
	s_cbranch_execnz .LBB103_216
.LBB103_65:
	s_or_b64 exec, exec, s[4:5]
                                        ; implicit-def: $vgpr19
	s_and_saveexec_b64 s[4:5], s[34:35]
	s_cbranch_execz .LBB103_217
.LBB103_66:
	v_add_co_u32_e32 v20, vcc, 0x1000, v4
	s_nop 1
	v_addc_co_u32_e32 v21, vcc, 0, v5, vcc
	global_load_ushort v19, v[20:21], off offset:3072
	s_or_b64 exec, exec, s[4:5]
                                        ; implicit-def: $vgpr20
	s_and_saveexec_b64 s[4:5], s[36:37]
	s_cbranch_execnz .LBB103_218
.LBB103_67:
	s_or_b64 exec, exec, s[4:5]
                                        ; implicit-def: $vgpr21
	s_and_saveexec_b64 s[4:5], s[38:39]
	s_cbranch_execz .LBB103_219
.LBB103_68:
	v_add_co_u32_e32 v46, vcc, 0x2000, v4
	s_nop 1
	v_addc_co_u32_e32 v47, vcc, 0, v5, vcc
	global_load_ushort v21, v[46:47], off
	s_or_b64 exec, exec, s[4:5]
                                        ; implicit-def: $vgpr46
	s_and_saveexec_b64 s[4:5], s[40:41]
	s_cbranch_execnz .LBB103_220
.LBB103_69:
	s_or_b64 exec, exec, s[4:5]
                                        ; implicit-def: $vgpr48
	s_and_saveexec_b64 s[4:5], s[42:43]
	s_cbranch_execz .LBB103_221
.LBB103_70:
	v_add_co_u32_e32 v48, vcc, 0x2000, v4
	s_nop 1
	v_addc_co_u32_e32 v49, vcc, 0, v5, vcc
	global_load_ushort v48, v[48:49], off offset:1024
	s_or_b64 exec, exec, s[4:5]
                                        ; implicit-def: $vgpr49
	s_and_saveexec_b64 s[4:5], s[44:45]
	s_cbranch_execnz .LBB103_222
.LBB103_71:
	s_or_b64 exec, exec, s[4:5]
                                        ; implicit-def: $vgpr50
	s_and_saveexec_b64 s[4:5], s[46:47]
	s_cbranch_execz .LBB103_223
.LBB103_72:
	v_add_co_u32_e32 v50, vcc, 0x2000, v4
	s_nop 1
	v_addc_co_u32_e32 v51, vcc, 0, v5, vcc
	global_load_ushort v50, v[50:51], off offset:2048
	s_or_b64 exec, exec, s[4:5]
                                        ; implicit-def: $vgpr51
	s_and_saveexec_b64 s[4:5], s[48:49]
	s_cbranch_execnz .LBB103_224
.LBB103_73:
	s_or_b64 exec, exec, s[4:5]
                                        ; implicit-def: $vgpr54
	s_and_saveexec_b64 s[4:5], s[50:51]
	s_cbranch_execz .LBB103_75
.LBB103_74:
	v_add_co_u32_e32 v54, vcc, 0x2000, v4
	s_nop 1
	v_addc_co_u32_e32 v55, vcc, 0, v5, vcc
	global_load_ushort v54, v[54:55], off offset:3072
.LBB103_75:
	s_or_b64 exec, exec, s[4:5]
	v_mul_u32_u24_e32 v53, 24, v0
                                        ; implicit-def: $vgpr55
	s_and_saveexec_b64 s[4:5], s[52:53]
	s_cbranch_execz .LBB103_77
; %bb.76:
	v_add_co_u32_e32 v4, vcc, 0x2000, v4
	s_nop 1
	v_addc_co_u32_e32 v5, vcc, 0, v5, vcc
	global_load_ushort v55, v[4:5], off offset:3584
.LBB103_77:
	s_or_b64 exec, exec, s[4:5]
	s_mov_b32 s4, 0
	v_sub_u32_e32 v47, v1, v2
	s_mov_b32 s5, s4
	s_waitcnt vmcnt(0)
	ds_write_b16 v47, v3
	ds_write_b16 v47, v6 offset:512
	ds_write_b16 v47, v7 offset:1024
	;; [unrolled: 1-line block ×23, first 2 shown]
	s_mov_b32 s6, s4
	s_mov_b32 s7, s4
	;; [unrolled: 1-line block ×6, first 2 shown]
	v_mov_b64_e32 v[2:3], s[4:5]
	s_mov_b32 s14, s4
	s_mov_b32 s15, s4
	v_mov_b64_e32 v[8:9], s[10:11]
	s_mov_b32 s12, s4
	s_mov_b32 s13, s4
	;; [unrolled: 1-line block ×4, first 2 shown]
	v_mov_b64_e32 v[20:21], s[14:15]
	v_mov_b64_e32 v[4:5], s[6:7]
	;; [unrolled: 1-line block ×4, first 2 shown]
	v_cmp_gt_u32_e32 vcc, s3, v53
	s_mov_b64 s[20:21], 0
	v_mov_b64_e32 v[50:51], s[16:17]
	v_mov_b64_e32 v[18:19], s[12:13]
	v_mov_b32_e32 v1, 0
	s_mov_b64 s[10:11], 0
	v_mov_b64_e32 v[14:15], v[6:7]
	v_mov_b64_e32 v[12:13], v[4:5]
	;; [unrolled: 1-line block ×3, first 2 shown]
	s_waitcnt lgkmcnt(0)
	s_barrier
	s_waitcnt lgkmcnt(0)
                                        ; implicit-def: $sgpr8_sgpr9
                                        ; implicit-def: $vgpr54
	s_and_saveexec_b64 s[6:7], vcc
	s_cbranch_execz .LBB103_125
; %bb.78:
	v_mad_u32_u24 v1, v0, 46, v47
	ds_read_u16 v1, v1
	v_mov_b32_e32 v3, s76
	v_cmp_eq_u32_e32 vcc, v42, v43
	s_mov_b32 s8, 0
	v_or_b32_e32 v2, 1, v53
	s_waitcnt lgkmcnt(0)
	v_cndmask_b32_e32 v1, v3, v1, vcc
	v_cmp_ne_u32_e32 vcc, v42, v43
	v_and_b32_e32 v1, 0xffff, v1
	s_mov_b32 s9, s8
	v_cndmask_b32_e64 v3, 0, 1, vcc
	v_lshl_or_b32 v50, v3, 16, v1
	v_cmp_gt_u32_e32 vcc, s3, v2
	s_mov_b32 s10, s8
	s_mov_b32 s11, s8
	;; [unrolled: 1-line block ×6, first 2 shown]
	v_mov_b64_e32 v[2:3], s[8:9]
	s_mov_b32 s18, s8
	s_mov_b32 s19, s8
	v_mov_b64_e32 v[8:9], s[14:15]
	v_mov_b32_e32 v51, 0
	s_mov_b32 s16, s8
	s_mov_b32 s17, s8
	v_mov_b64_e32 v[20:21], s[18:19]
	v_mov_b64_e32 v[4:5], s[10:11]
	;; [unrolled: 1-line block ×4, first 2 shown]
	s_mov_b64 s[24:25], 0
	v_mov_b64_e32 v[18:19], s[16:17]
	v_mov_b64_e32 v[14:15], v[6:7]
	v_mov_b64_e32 v[12:13], v[4:5]
	v_mov_b64_e32 v[10:11], v[2:3]
	v_mov_b32_e32 v1, v51
                                        ; implicit-def: $sgpr26_sgpr27
                                        ; implicit-def: $vgpr54
	s_and_saveexec_b64 s[22:23], vcc
	s_cbranch_execz .LBB103_124
; %bb.79:
	v_mul_u32_u24_e32 v1, 46, v0
	v_add_u32_e32 v42, v47, v1
	ds_read_b128 v[46:49], v42 offset:2
	v_mov_b32_e32 v2, s76
	v_cmp_eq_u32_e32 vcc, v43, v44
	v_or_b32_e32 v1, 2, v53
	v_mov_b64_e32 v[20:21], s[18:19]
	s_waitcnt lgkmcnt(0)
	v_cndmask_b32_e32 v2, v2, v46, vcc
	v_cmp_ne_u32_e32 vcc, v43, v44
	v_and_b32_e32 v2, 0xffff, v2
	v_mov_b64_e32 v[18:19], s[16:17]
	v_cndmask_b32_e64 v3, 0, 1, vcc
	v_lshl_or_b32 v51, v3, 16, v2
	v_mov_b64_e32 v[2:3], s[8:9]
	v_mov_b64_e32 v[8:9], s[14:15]
	;; [unrolled: 1-line block ×5, first 2 shown]
	v_cmp_gt_u32_e32 vcc, s3, v1
	v_mov_b32_e32 v1, 0
	v_mov_b64_e32 v[14:15], v[6:7]
	v_mov_b64_e32 v[12:13], v[4:5]
	;; [unrolled: 1-line block ×3, first 2 shown]
                                        ; implicit-def: $sgpr8_sgpr9
                                        ; implicit-def: $vgpr54
	s_and_saveexec_b64 s[16:17], vcc
	s_cbranch_execz .LBB103_123
; %bb.80:
	v_lshrrev_b32_e32 v1, 16, v46
	v_mov_b32_e32 v3, s76
	v_cmp_eq_u32_e32 vcc, v44, v45
	s_mov_b32 s8, 0
	v_or_b32_e32 v2, 3, v53
	v_cndmask_b32_e32 v1, v3, v1, vcc
	v_cmp_ne_u32_e32 vcc, v44, v45
	v_and_b32_e32 v1, 0xffff, v1
	s_mov_b32 s9, s8
	v_cndmask_b32_e64 v3, 0, 1, vcc
	v_lshl_or_b32 v21, v3, 16, v1
	v_cmp_gt_u32_e32 vcc, s3, v2
	s_mov_b32 s10, s8
	s_mov_b32 s11, s8
	;; [unrolled: 1-line block ×6, first 2 shown]
	v_mov_b64_e32 v[2:3], s[8:9]
	v_mov_b64_e32 v[8:9], s[14:15]
	v_mov_b32_e32 v18, 0
	v_mov_b64_e32 v[4:5], s[10:11]
	v_mov_b64_e32 v[6:7], s[12:13]
	;; [unrolled: 1-line block ×3, first 2 shown]
	v_mov_b32_e32 v19, v18
	v_mov_b32_e32 v20, v18
	v_mov_b64_e32 v[14:15], v[6:7]
	v_mov_b64_e32 v[12:13], v[4:5]
	;; [unrolled: 1-line block ×3, first 2 shown]
	v_mov_b32_e32 v1, v18
                                        ; implicit-def: $sgpr28_sgpr29
                                        ; implicit-def: $vgpr54
	s_and_saveexec_b64 s[18:19], vcc
	s_cbranch_execz .LBB103_122
; %bb.81:
	v_mov_b32_e32 v2, s76
	v_cmp_eq_u32_e32 vcc, v45, v38
	v_or_b32_e32 v1, 4, v53
	v_mov_b32_e32 v18, 0
	v_cndmask_b32_e32 v2, v2, v47, vcc
	v_cmp_ne_u32_e32 vcc, v45, v38
	v_and_b32_e32 v2, 0xffff, v2
	v_mov_b32_e32 v19, v18
	v_cndmask_b32_e64 v3, 0, 1, vcc
	v_lshl_or_b32 v20, v3, 16, v2
	v_mov_b64_e32 v[2:3], s[8:9]
	v_mov_b64_e32 v[8:9], s[14:15]
	;; [unrolled: 1-line block ×5, first 2 shown]
	v_cmp_gt_u32_e32 vcc, s3, v1
	s_mov_b64 s[26:27], 0
	v_mov_b64_e32 v[14:15], v[6:7]
	v_mov_b64_e32 v[12:13], v[4:5]
	;; [unrolled: 1-line block ×3, first 2 shown]
	v_mov_b32_e32 v1, v18
                                        ; implicit-def: $sgpr8_sgpr9
                                        ; implicit-def: $vgpr54
	s_and_saveexec_b64 s[24:25], vcc
	s_cbranch_execz .LBB103_121
; %bb.82:
	v_lshrrev_b32_e32 v1, 16, v47
	v_mov_b32_e32 v3, s76
	v_cmp_eq_u32_e32 vcc, v38, v39
	s_mov_b32 s8, 0
	v_or_b32_e32 v2, 5, v53
	v_cndmask_b32_e32 v1, v3, v1, vcc
	v_cmp_ne_u32_e32 vcc, v38, v39
	v_and_b32_e32 v1, 0xffff, v1
	s_mov_b32 s9, s8
	v_cndmask_b32_e64 v3, 0, 1, vcc
	v_lshl_or_b32 v19, v3, 16, v1
	v_cmp_gt_u32_e32 vcc, s3, v2
	s_mov_b32 s10, s8
	s_mov_b32 s11, s8
	;; [unrolled: 1-line block ×6, first 2 shown]
	v_mov_b64_e32 v[2:3], s[8:9]
	v_mov_b64_e32 v[8:9], s[14:15]
	;; [unrolled: 1-line block ×5, first 2 shown]
	v_mov_b32_e32 v18, s8
	s_mov_b64 s[28:29], 0
	v_mov_b32_e32 v1, 0
	v_mov_b64_e32 v[14:15], v[6:7]
	v_mov_b64_e32 v[12:13], v[4:5]
	;; [unrolled: 1-line block ×3, first 2 shown]
                                        ; implicit-def: $sgpr34_sgpr35
                                        ; implicit-def: $vgpr54
	s_and_saveexec_b64 s[26:27], vcc
	s_cbranch_execz .LBB103_120
; %bb.83:
	v_mov_b32_e32 v2, s76
	v_cmp_eq_u32_e32 vcc, v39, v40
	v_or_b32_e32 v1, 6, v53
	s_mov_b64 s[30:31], 0
	v_cndmask_b32_e32 v2, v2, v48, vcc
	v_cmp_ne_u32_e32 vcc, v39, v40
	v_and_b32_e32 v2, 0xffff, v2
                                        ; implicit-def: $vgpr54
	s_nop 0
	v_cndmask_b32_e64 v3, 0, 1, vcc
	v_lshl_or_b32 v18, v3, 16, v2
	v_mov_b64_e32 v[2:3], s[8:9]
	v_mov_b64_e32 v[8:9], s[14:15]
	;; [unrolled: 1-line block ×5, first 2 shown]
	v_cmp_gt_u32_e32 vcc, s3, v1
	v_mov_b32_e32 v1, 0
	v_mov_b64_e32 v[14:15], v[6:7]
	v_mov_b64_e32 v[12:13], v[4:5]
	;; [unrolled: 1-line block ×3, first 2 shown]
                                        ; implicit-def: $sgpr8_sgpr9
	s_and_saveexec_b64 s[28:29], vcc
	s_cbranch_execz .LBB103_119
; %bb.84:
	v_lshrrev_b32_e32 v1, 16, v48
	v_mov_b32_e32 v3, s76
	v_cmp_eq_u32_e32 vcc, v40, v41
	s_mov_b32 s8, 0
	v_or_b32_e32 v2, 7, v53
	v_cndmask_b32_e32 v1, v3, v1, vcc
	v_cmp_ne_u32_e32 vcc, v40, v41
	v_and_b32_e32 v1, 0xffff, v1
	s_mov_b32 s9, s8
	v_cndmask_b32_e64 v3, 0, 1, vcc
	v_lshl_or_b32 v1, v3, 16, v1
	v_cmp_gt_u32_e32 vcc, s3, v2
	s_mov_b32 s10, s8
	s_mov_b32 s11, s8
	;; [unrolled: 1-line block ×6, first 2 shown]
	v_mov_b64_e32 v[2:3], s[8:9]
	v_mov_b64_e32 v[8:9], s[14:15]
	;; [unrolled: 1-line block ×5, first 2 shown]
	s_mov_b64 s[34:35], 0
	v_mov_b64_e32 v[14:15], v[6:7]
	v_mov_b64_e32 v[12:13], v[4:5]
	;; [unrolled: 1-line block ×3, first 2 shown]
                                        ; implicit-def: $sgpr38_sgpr39
                                        ; implicit-def: $vgpr54
	s_and_saveexec_b64 s[30:31], vcc
	s_cbranch_execz .LBB103_118
; %bb.85:
	v_mov_b32_e32 v3, s76
	v_cmp_eq_u32_e32 vcc, v41, v34
	v_add_u32_e32 v2, 8, v53
	v_mov_b64_e32 v[16:17], s[14:15]
	v_cndmask_b32_e32 v3, v3, v49, vcc
	v_cmp_ne_u32_e32 vcc, v41, v34
	v_and_b32_e32 v3, 0xffff, v3
	s_mov_b64 s[36:37], 0
	v_cndmask_b32_e64 v4, 0, 1, vcc
	v_cmp_gt_u32_e32 vcc, s3, v2
	v_mov_b32_e32 v2, 0
	v_lshl_or_b32 v9, v4, 16, v3
	v_mov_b32_e32 v3, v2
	v_mov_b32_e32 v4, v2
	;; [unrolled: 1-line block ×6, first 2 shown]
	v_mov_b64_e32 v[14:15], s[12:13]
	v_mov_b64_e32 v[12:13], s[10:11]
	;; [unrolled: 1-line block ×3, first 2 shown]
                                        ; implicit-def: $sgpr8_sgpr9
                                        ; implicit-def: $vgpr54
	s_and_saveexec_b64 s[34:35], vcc
	s_cbranch_execz .LBB103_117
; %bb.86:
	v_lshrrev_b32_e32 v3, 16, v49
	v_mov_b32_e32 v5, s76
	v_cmp_eq_u32_e32 vcc, v34, v35
	s_mov_b32 s8, 0
	s_mov_b32 s14, s8
	v_cndmask_b32_e32 v3, v5, v3, vcc
	v_cmp_ne_u32_e32 vcc, v34, v35
	s_mov_b32 s15, s8
	v_add_u32_e32 v4, 9, v53
	v_and_b32_e32 v3, 0xffff, v3
	v_cndmask_b32_e64 v5, 0, 1, vcc
	s_mov_b32 s9, s8
	s_mov_b32 s10, s8
	;; [unrolled: 1-line block ×5, first 2 shown]
	v_mov_b64_e32 v[16:17], s[14:15]
	v_lshl_or_b32 v8, v5, 16, v3
	v_cmp_gt_u32_e32 vcc, s3, v4
	v_mov_b32_e32 v3, v2
	v_mov_b32_e32 v4, v2
	;; [unrolled: 1-line block ×5, first 2 shown]
	s_mov_b64 s[38:39], 0
	v_mov_b64_e32 v[14:15], s[12:13]
	v_mov_b64_e32 v[12:13], s[10:11]
	v_mov_b64_e32 v[10:11], s[8:9]
                                        ; implicit-def: $sgpr42_sgpr43
                                        ; implicit-def: $vgpr54
	s_and_saveexec_b64 s[36:37], vcc
	s_cbranch_execz .LBB103_116
; %bb.87:
	ds_read_b128 v[38:41], v42 offset:18
	v_mov_b32_e32 v3, s76
	v_cmp_eq_u32_e32 vcc, v35, v36
	v_add_u32_e32 v2, 10, v53
	v_mov_b64_e32 v[16:17], s[14:15]
	s_waitcnt lgkmcnt(0)
	v_cndmask_b32_e32 v3, v3, v38, vcc
	v_cmp_ne_u32_e32 vcc, v35, v36
	v_and_b32_e32 v3, 0xffff, v3
	s_mov_b64 s[40:41], 0
	v_cndmask_b32_e64 v4, 0, 1, vcc
	v_cmp_gt_u32_e32 vcc, s3, v2
	v_mov_b32_e32 v2, 0
	v_lshl_or_b32 v7, v4, 16, v3
	v_mov_b32_e32 v3, v2
	v_mov_b32_e32 v4, v2
	;; [unrolled: 1-line block ×4, first 2 shown]
	v_mov_b64_e32 v[14:15], s[12:13]
	v_mov_b64_e32 v[12:13], s[10:11]
	;; [unrolled: 1-line block ×3, first 2 shown]
                                        ; implicit-def: $sgpr8_sgpr9
                                        ; implicit-def: $vgpr54
	s_and_saveexec_b64 s[38:39], vcc
	s_cbranch_execz .LBB103_115
; %bb.88:
	v_lshrrev_b32_e32 v3, 16, v38
	v_mov_b32_e32 v5, s76
	v_cmp_eq_u32_e32 vcc, v36, v37
	s_mov_b32 s8, 0
	s_mov_b32 s14, s8
	v_cndmask_b32_e32 v3, v5, v3, vcc
	v_cmp_ne_u32_e32 vcc, v36, v37
	s_mov_b32 s15, s8
	v_add_u32_e32 v4, 11, v53
	v_and_b32_e32 v3, 0xffff, v3
	v_cndmask_b32_e64 v5, 0, 1, vcc
	s_mov_b32 s9, s8
	s_mov_b32 s10, s8
	;; [unrolled: 1-line block ×5, first 2 shown]
	v_mov_b64_e32 v[16:17], s[14:15]
	v_lshl_or_b32 v6, v5, 16, v3
	v_cmp_gt_u32_e32 vcc, s3, v4
	v_mov_b32_e32 v3, v2
	v_mov_b32_e32 v4, v2
	;; [unrolled: 1-line block ×3, first 2 shown]
	s_mov_b64 s[42:43], 0
	v_mov_b64_e32 v[14:15], s[12:13]
	v_mov_b64_e32 v[12:13], s[10:11]
	v_mov_b64_e32 v[10:11], s[8:9]
                                        ; implicit-def: $sgpr46_sgpr47
                                        ; implicit-def: $vgpr54
	s_and_saveexec_b64 s[40:41], vcc
	s_cbranch_execz .LBB103_114
; %bb.89:
	v_mov_b32_e32 v3, s76
	v_cmp_eq_u32_e32 vcc, v37, v30
	v_add_u32_e32 v2, 12, v53
	v_mov_b64_e32 v[16:17], s[14:15]
	v_cndmask_b32_e32 v3, v3, v39, vcc
	v_cmp_ne_u32_e32 vcc, v37, v30
	v_and_b32_e32 v3, 0xffff, v3
	s_mov_b64 s[44:45], 0
	v_cndmask_b32_e64 v4, 0, 1, vcc
	v_cmp_gt_u32_e32 vcc, s3, v2
	v_mov_b32_e32 v2, 0
	v_lshl_or_b32 v5, v4, 16, v3
	v_mov_b32_e32 v3, v2
	v_mov_b32_e32 v4, v2
	v_mov_b64_e32 v[14:15], s[12:13]
	v_mov_b64_e32 v[12:13], s[10:11]
	;; [unrolled: 1-line block ×3, first 2 shown]
                                        ; implicit-def: $sgpr8_sgpr9
                                        ; implicit-def: $vgpr54
	s_and_saveexec_b64 s[42:43], vcc
	s_cbranch_execz .LBB103_113
; %bb.90:
	v_lshrrev_b32_e32 v3, 16, v39
	v_mov_b32_e32 v4, s76
	v_cmp_eq_u32_e32 vcc, v30, v31
	s_mov_b32 s8, 0
	v_add_u32_e32 v10, 13, v53
	v_cndmask_b32_e32 v3, v4, v3, vcc
	v_cmp_ne_u32_e32 vcc, v30, v31
	s_mov_b32 s14, s8
	s_mov_b32 s15, s8
	v_and_b32_e32 v3, 0xffff, v3
	v_cndmask_b32_e64 v4, 0, 1, vcc
	v_cmp_gt_u32_e32 vcc, s3, v10
	s_mov_b32 s9, s8
	s_mov_b32 s10, s8
	;; [unrolled: 1-line block ×5, first 2 shown]
	v_mov_b64_e32 v[16:17], s[14:15]
	v_lshl_or_b32 v4, v4, 16, v3
	v_mov_b32_e32 v3, v2
	s_mov_b64 s[46:47], 0
	v_mov_b64_e32 v[14:15], s[12:13]
	v_mov_b64_e32 v[12:13], s[10:11]
	;; [unrolled: 1-line block ×3, first 2 shown]
                                        ; implicit-def: $sgpr48_sgpr49
                                        ; implicit-def: $vgpr54
	s_and_saveexec_b64 s[44:45], vcc
	s_cbranch_execz .LBB103_112
; %bb.91:
	v_mov_b32_e32 v3, s76
	v_cmp_eq_u32_e32 vcc, v31, v32
	v_add_u32_e32 v2, 14, v53
                                        ; implicit-def: $vgpr54
	s_nop 0
	v_cndmask_b32_e32 v3, v3, v40, vcc
	v_cmp_ne_u32_e32 vcc, v31, v32
	v_and_b32_e32 v3, 0xffff, v3
	s_nop 0
	v_cndmask_b32_e64 v10, 0, 1, vcc
	v_lshl_or_b32 v3, v10, 16, v3
	v_mov_b64_e32 v[16:17], s[14:15]
	v_cmp_gt_u32_e32 vcc, s3, v2
	v_mov_b32_e32 v2, s8
	v_mov_b64_e32 v[14:15], s[12:13]
	v_mov_b64_e32 v[12:13], s[10:11]
	v_mov_b64_e32 v[10:11], s[8:9]
                                        ; implicit-def: $sgpr10_sgpr11
	s_and_saveexec_b64 s[8:9], vcc
	s_cbranch_execz .LBB103_111
; %bb.92:
	v_lshrrev_b32_e32 v2, 16, v40
	v_mov_b32_e32 v11, s76
	v_cmp_eq_u32_e32 vcc, v32, v33
	s_mov_b32 s80, 0
	v_add_u32_e32 v10, 15, v53
	v_cndmask_b32_e32 v2, v11, v2, vcc
	v_cmp_ne_u32_e32 vcc, v32, v33
	v_and_b32_e32 v2, 0xffff, v2
	s_mov_b32 s81, s80
	v_cndmask_b32_e64 v11, 0, 1, vcc
	v_lshl_or_b32 v2, v11, 16, v2
	v_cmp_gt_u32_e32 vcc, s3, v10
	s_mov_b32 s82, s80
	s_mov_b32 s83, s80
	;; [unrolled: 1-line block ×6, first 2 shown]
	v_mov_b64_e32 v[10:11], s[80:81]
	s_mov_b64 s[12:13], 0
	v_mov_b64_e32 v[12:13], s[82:83]
	v_mov_b64_e32 v[14:15], s[84:85]
	;; [unrolled: 1-line block ×3, first 2 shown]
                                        ; implicit-def: $sgpr46_sgpr47
                                        ; implicit-def: $vgpr54
	s_and_saveexec_b64 s[10:11], vcc
	s_cbranch_execz .LBB103_110
; %bb.93:
	v_mov_b32_e32 v10, s76
	v_cmp_eq_u32_e32 vcc, v33, v26
	v_add_u32_e32 v11, 16, v53
	s_mov_b64 s[14:15], 0
	v_cndmask_b32_e32 v10, v10, v41, vcc
	v_cmp_ne_u32_e32 vcc, v33, v26
	v_and_b32_e32 v10, 0xffff, v10
                                        ; implicit-def: $sgpr48_sgpr49
                                        ; implicit-def: $vgpr54
	s_nop 0
	v_cndmask_b32_e64 v12, 0, 1, vcc
	v_lshl_or_b32 v10, v12, 16, v10
	v_mov_b32_e32 v12, 0
	v_cmp_gt_u32_e32 vcc, s3, v11
	v_mov_b32_e32 v11, v12
	v_mov_b32_e32 v13, v12
	;; [unrolled: 1-line block ×6, first 2 shown]
	s_and_saveexec_b64 s[12:13], vcc
	s_cbranch_execz .LBB103_109
; %bb.94:
	v_lshrrev_b32_e32 v11, 16, v41
	v_mov_b32_e32 v14, s76
	v_cmp_eq_u32_e32 vcc, v26, v27
	v_add_u32_e32 v13, 17, v53
	v_mov_b32_e32 v15, v12
	v_cndmask_b32_e32 v11, v14, v11, vcc
	v_cmp_ne_u32_e32 vcc, v26, v27
	v_and_b32_e32 v11, 0xffff, v11
	v_mov_b32_e32 v16, v12
	v_cndmask_b32_e64 v14, 0, 1, vcc
	v_lshl_or_b32 v11, v14, 16, v11
	v_cmp_gt_u32_e32 vcc, s3, v13
	v_mov_b32_e32 v13, v12
	v_mov_b32_e32 v14, v12
	;; [unrolled: 1-line block ×3, first 2 shown]
	s_mov_b64 s[46:47], 0
                                        ; implicit-def: $sgpr50_sgpr51
                                        ; implicit-def: $vgpr54
	s_and_saveexec_b64 s[14:15], vcc
	s_cbranch_execz .LBB103_108
; %bb.95:
	ds_read_b96 v[30:32], v42 offset:34
	v_mov_b32_e32 v12, s76
	v_cmp_eq_u32_e32 vcc, v27, v28
	v_add_u32_e32 v13, 18, v53
	s_mov_b64 s[48:49], 0
	s_waitcnt lgkmcnt(0)
	v_cndmask_b32_e32 v12, v12, v30, vcc
	v_cmp_ne_u32_e32 vcc, v27, v28
	v_and_b32_e32 v12, 0xffff, v12
                                        ; implicit-def: $sgpr52_sgpr53
                                        ; implicit-def: $vgpr54
	s_nop 0
	v_cndmask_b32_e64 v14, 0, 1, vcc
	v_lshl_or_b32 v12, v14, 16, v12
	v_mov_b32_e32 v14, 0
	v_cmp_gt_u32_e32 vcc, s3, v13
	v_mov_b32_e32 v13, v14
	v_mov_b32_e32 v15, v14
	;; [unrolled: 1-line block ×4, first 2 shown]
	s_and_saveexec_b64 s[46:47], vcc
	s_cbranch_execz .LBB103_107
; %bb.96:
	v_lshrrev_b32_e32 v13, 16, v30
	v_mov_b32_e32 v16, s76
	v_cmp_eq_u32_e32 vcc, v28, v29
	v_add_u32_e32 v15, 19, v53
	v_mov_b32_e32 v17, v14
	v_cndmask_b32_e32 v13, v16, v13, vcc
	v_cmp_ne_u32_e32 vcc, v28, v29
	v_and_b32_e32 v13, 0xffff, v13
	s_mov_b64 s[50:51], 0
	v_cndmask_b32_e64 v16, 0, 1, vcc
	v_lshl_or_b32 v13, v16, 16, v13
	v_cmp_gt_u32_e32 vcc, s3, v15
	v_mov_b32_e32 v15, v14
	v_mov_b32_e32 v16, v14
                                        ; implicit-def: $sgpr60_sgpr61
                                        ; implicit-def: $vgpr54
	s_and_saveexec_b64 s[48:49], vcc
	s_cbranch_execz .LBB103_106
; %bb.97:
	v_mov_b32_e32 v14, s76
	v_cmp_eq_u32_e32 vcc, v29, v22
	v_add_u32_e32 v15, 20, v53
	s_mov_b64 s[52:53], 0
	v_cndmask_b32_e32 v14, v14, v31, vcc
	v_cmp_ne_u32_e32 vcc, v29, v22
	v_and_b32_e32 v14, 0xffff, v14
                                        ; implicit-def: $sgpr62_sgpr63
                                        ; implicit-def: $vgpr54
	s_nop 0
	v_cndmask_b32_e64 v16, 0, 1, vcc
	v_lshl_or_b32 v14, v16, 16, v14
	v_mov_b32_e32 v16, 0
	v_cmp_gt_u32_e32 vcc, s3, v15
	v_mov_b32_e32 v15, v16
	v_mov_b32_e32 v17, v16
	s_and_saveexec_b64 s[50:51], vcc
	s_cbranch_execz .LBB103_105
; %bb.98:
	v_lshrrev_b32_e32 v15, 16, v31
	v_mov_b32_e32 v26, s76
	v_cmp_eq_u32_e32 vcc, v22, v23
	v_add_u32_e32 v17, 21, v53
	s_mov_b32 s5, 0
	v_cndmask_b32_e32 v15, v26, v15, vcc
	v_cmp_ne_u32_e32 vcc, v22, v23
	v_and_b32_e32 v15, 0xffff, v15
	s_mov_b64 s[60:61], 0
	v_cndmask_b32_e64 v22, 0, 1, vcc
	v_lshl_or_b32 v15, v22, 16, v15
	v_cmp_gt_u32_e32 vcc, s3, v17
	v_mov_b32_e32 v17, v16
                                        ; implicit-def: $sgpr72_sgpr73
                                        ; implicit-def: $vgpr54
	s_and_saveexec_b64 s[52:53], vcc
	s_cbranch_execz .LBB103_104
; %bb.99:
	v_mov_b32_e32 v16, s76
	v_cmp_eq_u32_e32 vcc, v23, v24
	v_add_u32_e32 v17, 22, v53
	s_mov_b64 s[62:63], 0
	v_cndmask_b32_e32 v16, v16, v32, vcc
	v_cmp_ne_u32_e32 vcc, v23, v24
	v_and_b32_e32 v16, 0xffff, v16
                                        ; implicit-def: $sgpr72_sgpr73
                                        ; implicit-def: $vgpr54
	s_nop 0
	v_cndmask_b32_e64 v22, 0, 1, vcc
	v_lshl_or_b32 v16, v22, 16, v16
	v_cmp_gt_u32_e32 vcc, s3, v17
	v_mov_b32_e32 v17, s5
	s_and_saveexec_b64 s[60:61], vcc
	s_cbranch_execz .LBB103_103
; %bb.100:
	v_lshrrev_b32_e32 v17, 16, v32
	v_mov_b32_e32 v23, s76
	v_cmp_eq_u32_e32 vcc, v24, v25
	v_add_u32_e32 v22, 23, v53
                                        ; implicit-def: $sgpr72_sgpr73
                                        ; implicit-def: $vgpr54
	s_nop 0
	v_cndmask_b32_e32 v17, v23, v17, vcc
	v_cmp_ne_u32_e32 vcc, v24, v25
	v_and_b32_e32 v17, 0xffff, v17
	s_nop 0
	v_cndmask_b32_e64 v23, 0, 1, vcc
	v_lshl_or_b32 v17, v23, 16, v17
	v_cmp_gt_u32_e32 vcc, s3, v22
	s_and_saveexec_b64 s[74:75], vcc
	s_xor_b64 s[74:75], exec, s[74:75]
	s_cbranch_execz .LBB103_102
; %bb.101:
	ds_read_u16 v22, v42 offset:46
	v_mov_b32_e32 v23, s76
	v_cmp_ne_u32_e32 vcc, v25, v52
	s_mov_b64 s[62:63], exec
	s_and_b64 s[72:73], vcc, exec
	s_waitcnt lgkmcnt(0)
	v_cndmask_b32_e32 v54, v22, v23, vcc
.LBB103_102:
	s_or_b64 exec, exec, s[74:75]
	s_and_b64 s[72:73], s[72:73], exec
	s_and_b64 s[62:63], s[62:63], exec
.LBB103_103:
	s_or_b64 exec, exec, s[60:61]
	s_and_b64 s[72:73], s[72:73], exec
	s_and_b64 s[60:61], s[62:63], exec
.LBB103_104:
	s_or_b64 exec, exec, s[52:53]
	s_and_b64 s[62:63], s[72:73], exec
	s_and_b64 s[52:53], s[60:61], exec
.LBB103_105:
	s_or_b64 exec, exec, s[50:51]
	s_and_b64 s[60:61], s[62:63], exec
	s_and_b64 s[50:51], s[52:53], exec
.LBB103_106:
	s_or_b64 exec, exec, s[48:49]
	s_and_b64 s[52:53], s[60:61], exec
	s_and_b64 s[48:49], s[50:51], exec
.LBB103_107:
	s_or_b64 exec, exec, s[46:47]
	s_and_b64 s[50:51], s[52:53], exec
	s_and_b64 s[46:47], s[48:49], exec
.LBB103_108:
	s_or_b64 exec, exec, s[14:15]
	s_and_b64 s[48:49], s[50:51], exec
	s_and_b64 s[14:15], s[46:47], exec
.LBB103_109:
	s_or_b64 exec, exec, s[12:13]
	s_and_b64 s[46:47], s[48:49], exec
	s_and_b64 s[12:13], s[14:15], exec
.LBB103_110:
	s_or_b64 exec, exec, s[10:11]
	s_and_b64 s[10:11], s[46:47], exec
	s_and_b64 s[46:47], s[12:13], exec
.LBB103_111:
	s_or_b64 exec, exec, s[8:9]
	s_and_b64 s[48:49], s[10:11], exec
	s_and_b64 s[46:47], s[46:47], exec
.LBB103_112:
	s_or_b64 exec, exec, s[44:45]
	s_and_b64 s[8:9], s[48:49], exec
	s_and_b64 s[44:45], s[46:47], exec
.LBB103_113:
	s_or_b64 exec, exec, s[42:43]
	s_and_b64 s[46:47], s[8:9], exec
	s_and_b64 s[42:43], s[44:45], exec
.LBB103_114:
	s_or_b64 exec, exec, s[40:41]
	s_and_b64 s[8:9], s[46:47], exec
	s_and_b64 s[40:41], s[42:43], exec
.LBB103_115:
	s_or_b64 exec, exec, s[38:39]
	s_and_b64 s[42:43], s[8:9], exec
	s_and_b64 s[38:39], s[40:41], exec
.LBB103_116:
	s_or_b64 exec, exec, s[36:37]
	s_and_b64 s[8:9], s[42:43], exec
	s_and_b64 s[36:37], s[38:39], exec
.LBB103_117:
	s_or_b64 exec, exec, s[34:35]
	s_and_b64 s[38:39], s[8:9], exec
	s_and_b64 s[34:35], s[36:37], exec
.LBB103_118:
	s_or_b64 exec, exec, s[30:31]
	s_and_b64 s[8:9], s[38:39], exec
	s_and_b64 s[30:31], s[34:35], exec
.LBB103_119:
	s_or_b64 exec, exec, s[28:29]
	s_and_b64 s[34:35], s[8:9], exec
	s_and_b64 s[28:29], s[30:31], exec
.LBB103_120:
	s_or_b64 exec, exec, s[26:27]
	s_and_b64 s[8:9], s[34:35], exec
	s_and_b64 s[26:27], s[28:29], exec
.LBB103_121:
	s_or_b64 exec, exec, s[24:25]
	s_and_b64 s[28:29], s[8:9], exec
	s_and_b64 s[24:25], s[26:27], exec
.LBB103_122:
	s_or_b64 exec, exec, s[18:19]
	s_and_b64 s[8:9], s[28:29], exec
	s_and_b64 s[24:25], s[24:25], exec
.LBB103_123:
	s_or_b64 exec, exec, s[16:17]
	s_and_b64 s[26:27], s[8:9], exec
	s_and_b64 s[24:25], s[24:25], exec
.LBB103_124:
	s_or_b64 exec, exec, s[22:23]
	s_and_b64 s[8:9], s[26:27], exec
	s_and_b64 s[10:11], s[24:25], exec
.LBB103_125:
	s_or_b64 exec, exec, s[6:7]
	s_and_b64 vcc, exec, s[20:21]
	s_cbranch_vccnz .LBB103_127
	s_branch .LBB103_132
.LBB103_126:
	s_mov_b64 s[10:11], 0
                                        ; implicit-def: $sgpr8_sgpr9
                                        ; implicit-def: $vgpr50_vgpr51
                                        ; implicit-def: $vgpr18_vgpr19_vgpr20_vgpr21
                                        ; implicit-def: $vgpr2_vgpr3_vgpr4_vgpr5_vgpr6_vgpr7_vgpr8_vgpr9
                                        ; implicit-def: $vgpr10_vgpr11_vgpr12_vgpr13_vgpr14_vgpr15_vgpr16_vgpr17
                                        ; implicit-def: $vgpr1
                                        ; implicit-def: $vgpr54
                                        ; implicit-def: $sgpr4
	s_and_b64 vcc, exec, s[20:21]
	s_cbranch_vccz .LBB103_132
.LBB103_127:
	v_mov_b32_e32 v7, 0
	v_lshlrev_b32_e32 v6, 2, v0
	v_lshl_add_u64 v[2:3], s[70:71], 0, v[6:7]
	v_add_co_u32_e32 v4, vcc, 0x1000, v2
	global_load_dword v10, v6, s[70:71]
	global_load_dword v11, v6, s[70:71] offset:1024
	global_load_dword v12, v6, s[70:71] offset:2048
	;; [unrolled: 1-line block ×3, first 2 shown]
	v_addc_co_u32_e32 v5, vcc, 0, v3, vcc
	v_add_co_u32_e32 v8, vcc, 0x2000, v2
	s_movk_i32 s4, 0x5c
	s_nop 0
	v_addc_co_u32_e32 v9, vcc, 0, v3, vcc
	global_load_dword v14, v[4:5], off
	global_load_dword v15, v[4:5], off offset:1024
	global_load_dword v16, v[4:5], off offset:2048
	;; [unrolled: 1-line block ×3, first 2 shown]
	global_load_dword v18, v[8:9], off
	global_load_dword v19, v[8:9], off offset:1024
	global_load_dword v20, v[8:9], off offset:2048
	;; [unrolled: 1-line block ×3, first 2 shown]
	v_add_co_u32_e32 v4, vcc, 0x3000, v2
	v_mad_u32_u24 v40, v0, s4, v6
	s_nop 0
	v_addc_co_u32_e32 v5, vcc, 0, v3, vcc
	v_add_co_u32_e32 v8, vcc, 0x4000, v2
	s_movk_i32 s5, 0xffa4
	s_nop 0
	v_addc_co_u32_e32 v9, vcc, 0, v3, vcc
	v_add_co_u32_e32 v2, vcc, 0x5000, v2
	global_load_dword v22, v[4:5], off
	global_load_dword v23, v[4:5], off offset:1024
	global_load_dword v24, v[4:5], off offset:2048
	;; [unrolled: 1-line block ×3, first 2 shown]
	global_load_dword v26, v[8:9], off
	global_load_dword v27, v[8:9], off offset:1024
	global_load_dword v28, v[8:9], off offset:2048
	;; [unrolled: 1-line block ×3, first 2 shown]
	v_addc_co_u32_e32 v3, vcc, 0, v3, vcc
	global_load_dword v4, v[2:3], off
	global_load_dword v5, v[2:3], off offset:1024
	global_load_dword v8, v[2:3], off offset:2048
	;; [unrolled: 1-line block ×3, first 2 shown]
	s_movk_i32 s7, 0xff
	s_movk_i32 s6, 0x1000
	;; [unrolled: 1-line block ×3, first 2 shown]
	v_cmp_ne_u32_e32 vcc, s7, v0
	v_mad_i32_i24 v1, v0, s5, v40
	s_waitcnt vmcnt(22)
	ds_write2st64_b32 v6, v10, v11 offset1:4
	s_waitcnt vmcnt(20)
	ds_write2st64_b32 v6, v12, v13 offset0:8 offset1:12
	s_waitcnt vmcnt(18)
	ds_write2st64_b32 v6, v14, v15 offset0:16 offset1:20
	;; [unrolled: 2-line block ×11, first 2 shown]
	s_waitcnt lgkmcnt(0)
	s_barrier
	ds_read2_b32 v[22:23], v40 offset0:6 offset1:23
	ds_read_b64 v[18:19], v40
	ds_read2_b64 v[2:5], v40 offset0:1 offset1:2
	ds_read2_b32 v[32:33], v40 offset0:13 offset1:14
	ds_read2_b32 v[34:35], v40 offset0:11 offset1:12
	;; [unrolled: 1-line block ×8, first 2 shown]
	s_load_dword s4, s[70:71], 0x6000
	s_waitcnt lgkmcnt(0)
	ds_write_b32 v1, v18 offset:25600
	s_waitcnt lgkmcnt(0)
	s_barrier
	v_mov_b32_e32 v40, s4
	s_and_saveexec_b64 s[4:5], vcc
	s_cbranch_execz .LBB103_129
; %bb.128:
	ds_read_b32 v40, v6 offset:25604
.LBB103_129:
	s_or_b64 exec, exec, s[4:5]
	v_lshlrev_b32_e32 v6, 1, v0
	v_lshl_add_u64 v[8:9], s[68:69], 0, v[6:7]
	v_add_co_u32_e32 v10, vcc, s6, v8
	s_waitcnt lgkmcnt(0)
	s_nop 0
	v_addc_co_u32_e32 v11, vcc, 0, v9, vcc
	v_add_co_u32_e32 v8, vcc, s3, v8
	s_barrier
	global_load_ushort v7, v6, s[68:69]
	v_addc_co_u32_e32 v9, vcc, 0, v9, vcc
	global_load_ushort v12, v6, s[68:69] offset:512
	global_load_ushort v13, v6, s[68:69] offset:1024
	;; [unrolled: 1-line block ×7, first 2 shown]
	global_load_ushort v21, v[8:9], off offset:-4096
	global_load_ushort v41, v[10:11], off offset:512
	global_load_ushort v42, v[10:11], off offset:1024
	;; [unrolled: 1-line block ×7, first 2 shown]
                                        ; kill: killed $vgpr10 killed $vgpr11
                                        ; kill: killed $sgpr68 killed $sgpr69
	s_nop 0
	global_load_ushort v10, v[8:9], off
	global_load_ushort v11, v[8:9], off offset:512
	global_load_ushort v48, v[8:9], off offset:1024
	global_load_ushort v49, v[8:9], off offset:1536
	global_load_ushort v50, v[8:9], off offset:2048
	global_load_ushort v51, v[8:9], off offset:2560
	global_load_ushort v52, v[8:9], off offset:3072
	global_load_ushort v53, v[8:9], off offset:3584
	v_sub_u32_e32 v1, v1, v6
	v_mad_u32_u24 v54, v0, 46, v1
	v_cmp_eq_u32_e32 vcc, v18, v19
	v_mov_b32_e32 v18, s76
	s_waitcnt vmcnt(23)
	ds_write_b16 v1, v7
	s_waitcnt vmcnt(22)
	ds_write_b16 v1, v12 offset:512
	s_waitcnt vmcnt(21)
	ds_write_b16 v1, v13 offset:1024
	;; [unrolled: 2-line block ×23, first 2 shown]
	s_waitcnt lgkmcnt(0)
	s_barrier
	ds_read_b96 v[14:16], v54 offset:2
	ds_read_b128 v[6:9], v54 offset:14
	ds_read_b128 v[10:13], v54 offset:30
	ds_read_u16 v41, v54 offset:46
	v_mov_b32_e32 v17, 0x10000
	s_and_saveexec_b64 s[4:5], vcc
	s_cbranch_execz .LBB103_131
; %bb.130:
	v_mul_u32_u24_e32 v17, 46, v0
	v_add_u32_e32 v1, v1, v17
	ds_read_u16 v18, v1
	v_mov_b32_e32 v17, 0
.LBB103_131:
	s_or_b64 exec, exec, s[4:5]
	v_mov_b32_e32 v47, s76
	v_cmp_eq_u32_e32 vcc, v19, v2
	s_waitcnt lgkmcnt(3)
	v_lshrrev_b32_e32 v20, 16, v14
	v_lshrrev_b32_e32 v1, 16, v15
	v_cndmask_b32_e32 v14, v47, v14, vcc
	v_cmp_ne_u32_e32 vcc, v19, v2
	v_and_b32_e32 v14, 0xffff, v14
	v_lshrrev_b32_e32 v42, 16, v16
	v_cndmask_b32_e64 v19, 0, 1, vcc
	v_cmp_eq_u32_e32 vcc, v2, v3
	v_lshl_or_b32 v51, v19, 16, v14
	s_waitcnt lgkmcnt(0)
	v_or_b32_sdwa v50, v17, v18 dst_sel:DWORD dst_unused:UNUSED_PAD src0_sel:DWORD src1_sel:WORD_0
	v_cndmask_b32_e32 v14, v47, v20, vcc
	v_cmp_eq_u32_e32 vcc, v4, v5
	v_and_b32_e32 v14, 0xffff, v14
	v_lshrrev_b32_e32 v46, 16, v6
	v_cndmask_b32_e32 v1, v47, v1, vcc
	v_cmp_eq_u32_e32 vcc, v3, v4
	v_and_b32_e32 v1, 0xffff, v1
	v_lshrrev_b32_e32 v45, 16, v7
	;; [unrolled: 4-line block ×3, first 2 shown]
	v_cndmask_b32_e32 v16, v47, v16, vcc
	v_cmp_ne_u32_e32 vcc, v3, v4
	v_lshrrev_b32_e32 v43, 16, v9
	v_and_b32_e32 v16, 0xffff, v16
	v_cndmask_b32_e64 v17, 0, 1, vcc
	v_cmp_ne_u32_e32 vcc, v5, v22
	v_lshl_or_b32 v20, v17, 16, v15
	v_lshrrev_b32_e32 v17, 16, v10
	v_cndmask_b32_e64 v15, 0, 1, vcc
	v_cmp_ne_u32_e32 vcc, v2, v3
	v_lshl_or_b32 v18, v15, 16, v16
	v_lshrrev_b32_e32 v16, 16, v11
	v_cndmask_b32_e64 v2, 0, 1, vcc
	v_cmp_ne_u32_e32 vcc, v4, v5
	v_lshl_or_b32 v21, v2, 16, v14
	v_cmp_ne_u32_e64 s[8:9], v23, v40
	v_cndmask_b32_e64 v2, 0, 1, vcc
	v_cmp_eq_u32_e32 vcc, v22, v38
	v_lshl_or_b32 v19, v2, 16, v1
	v_cndmask_b32_e64 v54, v41, v47, s[8:9]
	v_cndmask_b32_e32 v1, v47, v42, vcc
	v_cmp_ne_u32_e32 vcc, v22, v38
	v_and_b32_e32 v1, 0xffff, v1
	s_mov_b64 s[10:11], -1
	v_cndmask_b32_e64 v2, 0, 1, vcc
	v_cmp_eq_u32_e32 vcc, v39, v36
	v_lshl_or_b32 v1, v2, 16, v1
                                        ; implicit-def: $sgpr4
	s_nop 0
	v_cndmask_b32_e32 v2, v47, v46, vcc
	v_cmp_eq_u32_e32 vcc, v37, v34
	v_and_b32_e32 v2, 0xffff, v2
	s_nop 0
	v_cndmask_b32_e32 v3, v47, v45, vcc
	v_cmp_eq_u32_e32 vcc, v35, v32
	v_and_b32_e32 v15, 0xffff, v3
	s_nop 0
	v_cndmask_b32_e32 v4, v47, v44, vcc
	v_cmp_eq_u32_e32 vcc, v33, v26
	v_and_b32_e32 v4, 0xffff, v4
	s_nop 0
	v_cndmask_b32_e32 v5, v47, v43, vcc
	v_cmp_eq_u32_e32 vcc, v38, v39
	v_and_b32_e32 v14, 0xffff, v5
	s_nop 0
	v_cndmask_b32_e32 v6, v47, v6, vcc
	v_cmp_eq_u32_e32 vcc, v36, v37
	v_and_b32_e32 v6, 0xffff, v6
	s_nop 0
	v_cndmask_b32_e32 v7, v47, v7, vcc
	v_cmp_eq_u32_e32 vcc, v34, v35
	v_and_b32_e32 v7, 0xffff, v7
	s_nop 0
	v_cndmask_b32_e32 v8, v47, v8, vcc
	v_cmp_eq_u32_e32 vcc, v32, v33
	v_and_b32_e32 v5, 0xffff, v8
	s_nop 0
	v_cndmask_b32_e32 v9, v47, v9, vcc
	v_cmp_ne_u32_e32 vcc, v38, v39
	v_and_b32_e32 v3, 0xffff, v9
	s_nop 0
	v_cndmask_b32_e64 v8, 0, 1, vcc
	v_cmp_ne_u32_e32 vcc, v36, v37
	v_lshl_or_b32 v9, v8, 16, v6
	s_nop 0
	v_cndmask_b32_e64 v6, 0, 1, vcc
	v_cmp_ne_u32_e32 vcc, v34, v35
	v_lshl_or_b32 v7, v6, 16, v7
	;; [unrolled: 4-line block ×6, first 2 shown]
	v_lshrrev_b32_e32 v15, 16, v12
	v_cndmask_b32_e64 v2, 0, 1, vcc
	v_cmp_ne_u32_e32 vcc, v33, v26
	v_lshl_or_b32 v4, v2, 16, v4
	s_nop 0
	v_cndmask_b32_e64 v2, 0, 1, vcc
	v_lshl_or_b32 v2, v2, 16, v14
	v_lshrrev_b32_e32 v14, 16, v13
	v_cmp_eq_u32_e32 vcc, v31, v23
	s_nop 1
	v_cndmask_b32_e32 v14, v47, v14, vcc
	v_cmp_eq_u32_e32 vcc, v29, v30
	s_nop 1
	v_cndmask_b32_e32 v15, v47, v15, vcc
	v_cmp_eq_u32_e32 vcc, v25, v28
	v_and_b32_e32 v15, 0xffff, v15
	s_nop 0
	v_cndmask_b32_e32 v16, v47, v16, vcc
	v_cmp_eq_u32_e32 vcc, v27, v24
	v_and_b32_e32 v32, 0xffff, v16
	;; [unrolled: 4-line block ×3, first 2 shown]
	v_and_b32_e32 v17, 0xffff, v14
	v_cndmask_b32_e32 v13, v47, v13, vcc
	v_cmp_eq_u32_e32 vcc, v28, v29
	v_and_b32_e32 v13, 0xffff, v13
	s_nop 0
	v_cndmask_b32_e32 v12, v47, v12, vcc
	v_cmp_eq_u32_e32 vcc, v24, v25
	v_and_b32_e32 v12, 0xffff, v12
	s_nop 0
	;; [unrolled: 4-line block ×3, first 2 shown]
	v_cndmask_b32_e32 v10, v47, v10, vcc
	v_cmp_ne_u32_e32 vcc, v30, v31
	v_and_b32_e32 v10, 0xffff, v10
	s_nop 0
	v_cndmask_b32_e64 v14, 0, 1, vcc
	v_cmp_ne_u32_e32 vcc, v28, v29
	v_lshl_or_b32 v16, v14, 16, v13
	s_nop 0
	v_cndmask_b32_e64 v13, 0, 1, vcc
	v_cmp_ne_u32_e32 vcc, v24, v25
	v_lshl_or_b32 v14, v13, 16, v12
	;; [unrolled: 4-line block ×7, first 2 shown]
	s_nop 0
	v_cndmask_b32_e64 v11, 0, 1, vcc
	v_lshl_or_b32 v11, v11, 16, v22
.LBB103_132:
	v_mov_b32_e32 v57, s4
	s_and_saveexec_b64 s[4:5], s[10:11]
; %bb.133:
	v_mov_b32_e32 v22, 0x10000
	v_cndmask_b32_e64 v22, 0, v22, s[8:9]
	v_or_b32_sdwa v57, v22, v54 dst_sel:DWORD dst_unused:UNUSED_PAD src0_sel:DWORD src1_sel:WORD_0
; %bb.134:
	s_or_b64 exec, exec, s[4:5]
	s_cmp_lg_u32 s2, 0
	v_lshlrev_b32_e32 v56, 16, v50
	v_lshlrev_b32_e32 v55, 16, v51
	;; [unrolled: 1-line block ×24, first 2 shown]
	v_mbcnt_lo_u32_b32 v58, -1, 0
	s_barrier
	s_cbranch_scc0 .LBB103_225
; %bb.135:
	s_mov_b32 s3, 0x10000
	v_cmp_lt_f32_e32 vcc, v56, v55
	v_cmp_gt_u32_e64 s[4:5], s3, v51
	v_cmp_gt_u32_e64 s[6:7], s3, v21
	v_cndmask_b32_e32 v22, v50, v51, vcc
	v_cndmask_b32_e64 v22, v51, v22, s[4:5]
	v_lshlrev_b32_e32 v23, 16, v22
	v_cmp_lt_f32_e32 vcc, v23, v54
	v_cmp_gt_u32_e64 s[8:9], s3, v20
	v_cmp_gt_u32_e64 s[10:11], s3, v19
	v_cndmask_b32_e32 v22, v22, v21, vcc
	v_cndmask_b32_e64 v22, v21, v22, s[6:7]
	v_lshlrev_b32_e32 v23, 16, v22
	;; [unrolled: 6-line block ×11, first 2 shown]
	v_cmp_lt_f32_e32 vcc, v23, v42
	v_and_b32_e32 v24, 0x10000, v50
	v_mov_b32_e32 v25, 0x10000
	v_cndmask_b32_e32 v22, v22, v4, vcc
	v_cndmask_b32_e64 v22, v4, v22, s[26:27]
	v_lshlrev_b32_e32 v23, 16, v22
	v_cmp_lt_f32_e32 vcc, v23, v41
	s_nop 1
	v_cndmask_b32_e32 v22, v22, v3, vcc
	v_cndmask_b32_e64 v22, v3, v22, s[28:29]
	v_lshlrev_b32_e32 v23, 16, v22
	v_cmp_lt_f32_e32 vcc, v23, v40
	s_nop 1
	;; [unrolled: 5-line block ×11, first 2 shown]
	v_cndmask_b32_e32 v22, v22, v57, vcc
	v_cmp_gt_u32_e32 vcc, s3, v57
	s_nop 1
	v_cndmask_b32_e32 v23, v57, v22, vcc
	v_or3_b32 v22, v57, v17, v16
	v_or3_b32 v22, v22, v15, v14
	;; [unrolled: 1-line block ×11, first 2 shown]
	v_and_b32_e32 v22, 0x10000, v22
	v_cmp_ne_u32_e32 vcc, 0, v22
	s_nop 1
	v_cndmask_b32_e32 v24, v24, v25, vcc
	v_mbcnt_hi_u32_b32 v25, -1, v58
	v_and_b32_e32 v28, 15, v25
	v_or_b32_sdwa v27, v24, v23 dst_sel:DWORD dst_unused:UNUSED_PAD src0_sel:DWORD src1_sel:WORD_0
	v_lshrrev_b32_e32 v22, 16, v24
	v_cmp_ne_u32_e32 vcc, 0, v28
	v_mov_b32_dpp v26, v27 row_shr:1 row_mask:0xf bank_mask:0xf
	s_and_saveexec_b64 s[50:51], vcc
	s_cbranch_execz .LBB103_137
; %bb.136:
	v_and_b32_e32 v22, 0x10000, v24
	v_mov_b32_e32 v27, 1
	v_and_b32_sdwa v27, v26, v27 dst_sel:DWORD dst_unused:UNUSED_PAD src0_sel:WORD_1 src1_sel:DWORD
	v_cmp_ne_u32_e32 vcc, 0, v22
	v_lshlrev_b32_e32 v29, 16, v26
	s_nop 0
	v_cndmask_b32_e64 v22, v27, 1, vcc
	v_mov_b32_e32 v27, 16
	v_lshlrev_b32_sdwa v27, v27, v23 dst_sel:DWORD dst_unused:UNUSED_PAD src0_sel:DWORD src1_sel:WORD_0
	v_cmp_lt_f32_e32 vcc, v29, v27
	s_nop 1
	v_cndmask_b32_e32 v26, v26, v23, vcc
	v_cmp_eq_u32_e32 vcc, 0, v24
	v_lshlrev_b32_e32 v24, 16, v22
	s_nop 0
	v_cndmask_b32_e32 v23, v23, v26, vcc
	v_or_b32_sdwa v27, v24, v23 dst_sel:DWORD dst_unused:UNUSED_PAD src0_sel:DWORD src1_sel:WORD_0
.LBB103_137:
	s_or_b64 exec, exec, s[50:51]
	v_lshrrev_b32_e32 v26, 16, v27
	v_mov_b32_dpp v29, v27 row_shr:2 row_mask:0xf bank_mask:0xf
	v_cmp_lt_u32_e32 vcc, 1, v28
	v_mov_b32_e32 v24, v27
	s_and_saveexec_b64 s[50:51], vcc
	s_cbranch_execz .LBB103_139
; %bb.138:
	v_and_b32_e32 v22, 0x10000, v27
	v_mov_b32_e32 v23, 1
	v_and_b32_sdwa v23, v29, v23 dst_sel:DWORD dst_unused:UNUSED_PAD src0_sel:WORD_1 src1_sel:DWORD
	v_cmp_ne_u32_e32 vcc, 0, v22
	v_lshlrev_b32_e32 v24, 16, v29
	s_nop 0
	v_cndmask_b32_e64 v22, v23, 1, vcc
	v_lshlrev_b32_e32 v23, 16, v27
	v_cmp_lt_f32_e32 vcc, v24, v23
	v_lshlrev_b32_e32 v24, 16, v22
	v_mov_b32_e32 v26, v22
	v_cndmask_b32_e32 v23, v29, v27, vcc
	v_cmp_gt_u32_e32 vcc, s3, v27
	s_nop 1
	v_cndmask_b32_e32 v23, v27, v23, vcc
	v_or_b32_sdwa v27, v24, v23 dst_sel:DWORD dst_unused:UNUSED_PAD src0_sel:DWORD src1_sel:WORD_0
	v_mov_b32_e32 v24, v23
.LBB103_139:
	s_or_b64 exec, exec, s[50:51]
	v_mov_b32_dpp v29, v27 row_shr:4 row_mask:0xf bank_mask:0xf
	v_cmp_lt_u32_e32 vcc, 3, v28
	s_and_saveexec_b64 s[50:51], vcc
	s_cbranch_execz .LBB103_141
; %bb.140:
	v_and_b32_e32 v22, 1, v26
	v_mov_b32_e32 v23, 1
	v_and_b32_sdwa v23, v29, v23 dst_sel:DWORD dst_unused:UNUSED_PAD src0_sel:WORD_1 src1_sel:DWORD
	v_cmp_eq_u32_e32 vcc, 1, v22
	v_lshlrev_b32_e32 v27, 16, v24
	s_nop 0
	v_cndmask_b32_e64 v22, v23, 1, vcc
	v_lshlrev_b32_e32 v23, 16, v29
	v_cmp_lt_f32_e32 vcc, v23, v27
	s_nop 1
	v_cndmask_b32_e32 v23, v29, v24, vcc
	v_cmp_eq_u16_e32 vcc, 0, v26
	v_mov_b32_e32 v26, v22
	s_nop 0
	v_cndmask_b32_e32 v23, v24, v23, vcc
	v_lshlrev_b32_e32 v24, 16, v22
	v_or_b32_sdwa v27, v24, v23 dst_sel:DWORD dst_unused:UNUSED_PAD src0_sel:DWORD src1_sel:WORD_0
	v_mov_b32_e32 v24, v23
.LBB103_141:
	s_or_b64 exec, exec, s[50:51]
	v_mov_b32_dpp v29, v27 row_shr:8 row_mask:0xf bank_mask:0xf
	v_cmp_lt_u32_e32 vcc, 7, v28
	s_and_saveexec_b64 s[50:51], vcc
	s_cbranch_execz .LBB103_143
; %bb.142:
	v_and_b32_e32 v22, 1, v26
	v_mov_b32_e32 v23, 1
	v_and_b32_sdwa v23, v29, v23 dst_sel:DWORD dst_unused:UNUSED_PAD src0_sel:WORD_1 src1_sel:DWORD
	v_cmp_eq_u32_e32 vcc, 1, v22
	v_lshlrev_b32_e32 v27, 16, v24
	s_nop 0
	v_cndmask_b32_e64 v22, v23, 1, vcc
	v_lshlrev_b32_e32 v23, 16, v29
	v_cmp_lt_f32_e32 vcc, v23, v27
	s_nop 1
	v_cndmask_b32_e32 v23, v29, v24, vcc
	v_cmp_eq_u16_e32 vcc, 0, v26
	v_mov_b32_e32 v26, v22
	s_nop 0
	v_cndmask_b32_e32 v23, v24, v23, vcc
	v_lshlrev_b32_e32 v24, 16, v22
	v_or_b32_sdwa v27, v24, v23 dst_sel:DWORD dst_unused:UNUSED_PAD src0_sel:DWORD src1_sel:WORD_0
	v_mov_b32_e32 v24, v23
.LBB103_143:
	s_or_b64 exec, exec, s[50:51]
	v_and_b32_e32 v29, 16, v25
	v_mov_b32_dpp v28, v27 row_bcast:15 row_mask:0xf bank_mask:0xf
	v_cmp_ne_u32_e32 vcc, 0, v29
	s_and_saveexec_b64 s[50:51], vcc
	s_cbranch_execz .LBB103_145
; %bb.144:
	v_and_b32_e32 v22, 1, v26
	v_mov_b32_e32 v23, 1
	v_and_b32_sdwa v23, v28, v23 dst_sel:DWORD dst_unused:UNUSED_PAD src0_sel:WORD_1 src1_sel:DWORD
	v_cmp_eq_u32_e32 vcc, 1, v22
	v_lshlrev_b32_e32 v27, 16, v24
	s_nop 0
	v_cndmask_b32_e64 v22, v23, 1, vcc
	v_lshlrev_b32_e32 v23, 16, v28
	v_cmp_lt_f32_e32 vcc, v23, v27
	s_nop 1
	v_cndmask_b32_e32 v23, v28, v24, vcc
	v_cmp_eq_u16_e32 vcc, 0, v26
	v_mov_b32_e32 v26, v22
	s_nop 0
	v_cndmask_b32_e32 v23, v24, v23, vcc
	v_lshlrev_b32_e32 v24, 16, v22
	v_or_b32_sdwa v27, v24, v23 dst_sel:DWORD dst_unused:UNUSED_PAD src0_sel:DWORD src1_sel:WORD_0
	v_mov_b32_e32 v24, v23
.LBB103_145:
	s_or_b64 exec, exec, s[50:51]
	v_mov_b32_dpp v27, v27 row_bcast:31 row_mask:0xf bank_mask:0xf
	v_cmp_lt_u32_e32 vcc, 31, v25
	s_and_saveexec_b64 s[50:51], vcc
; %bb.146:
	v_and_b32_e32 v22, 1, v26
	v_mov_b32_e32 v23, 1
	v_and_b32_sdwa v23, v27, v23 dst_sel:DWORD dst_unused:UNUSED_PAD src0_sel:WORD_1 src1_sel:DWORD
	v_cmp_eq_u32_e32 vcc, 1, v22
	v_lshlrev_b32_e32 v28, 16, v24
	s_nop 0
	v_cndmask_b32_e64 v22, v23, 1, vcc
	v_lshlrev_b32_e32 v23, 16, v27
	v_cmp_lt_f32_e32 vcc, v23, v28
	s_nop 1
	v_cndmask_b32_e32 v23, v27, v24, vcc
	v_cmp_eq_u16_e32 vcc, 0, v26
	s_nop 1
	v_cndmask_b32_e32 v23, v24, v23, vcc
; %bb.147:
	s_or_b64 exec, exec, s[50:51]
	v_or_b32_e32 v26, 63, v0
	v_lshrrev_b32_e32 v24, 6, v0
	v_cmp_eq_u32_e32 vcc, v26, v0
	s_and_saveexec_b64 s[50:51], vcc
	s_cbranch_execz .LBB103_149
; %bb.148:
	v_lshlrev_b32_e32 v26, 2, v24
	ds_write_b16 v26, v23
	ds_write_b8 v26, v22 offset:2
.LBB103_149:
	s_or_b64 exec, exec, s[50:51]
	v_cmp_gt_u32_e32 vcc, 4, v0
	s_waitcnt lgkmcnt(0)
	s_barrier
	s_and_saveexec_b64 s[50:51], vcc
	s_cbranch_execz .LBB103_155
; %bb.150:
	v_lshlrev_b32_e32 v26, 2, v0
	ds_read_b32 v27, v26
	v_and_b32_e32 v29, 3, v25
	v_cmp_ne_u32_e32 vcc, 0, v29
	s_waitcnt lgkmcnt(0)
	v_lshrrev_b32_e32 v28, 16, v27
	v_mov_b32_dpp v31, v27 row_shr:1 row_mask:0xf bank_mask:0xf
	v_mov_b32_e32 v30, v27
	s_and_saveexec_b64 s[52:53], vcc
	s_cbranch_execz .LBB103_152
; %bb.151:
	v_and_b32_e32 v30, 0x10000, v27
	v_mov_b32_e32 v61, 1
	v_and_b32_sdwa v61, v31, v61 dst_sel:DWORD dst_unused:UNUSED_PAD src0_sel:WORD_1 src1_sel:DWORD
	v_cmp_ne_u32_e32 vcc, 0, v30
	v_lshlrev_b32_e32 v62, 16, v27
	v_lshlrev_b32_e32 v63, 16, v31
	v_cndmask_b32_e64 v61, v61, 1, vcc
	v_mov_b32_e32 v30, 0
	v_cmp_lt_f32_e32 vcc, v63, v62
	v_and_b32_e32 v60, 0xff000000, v27
	s_nop 0
	v_cndmask_b32_e32 v31, v31, v27, vcc
	v_cmp_eq_u16_sdwa vcc, v28, v30 src0_sel:BYTE_0 src1_sel:DWORD
	s_nop 1
	v_cndmask_b32_e32 v30, v27, v31, vcc
	v_lshlrev_b32_e32 v27, 16, v61
	v_and_b32_e32 v28, 0xffff, v30
	v_or3_b32 v27, v27, v60, v28
	v_mov_b32_e32 v28, v61
.LBB103_152:
	s_or_b64 exec, exec, s[52:53]
	v_mov_b32_dpp v31, v27 row_shr:2 row_mask:0xf bank_mask:0xf
	v_cmp_lt_u32_e32 vcc, 1, v29
	s_and_saveexec_b64 s[52:53], vcc
	s_cbranch_execz .LBB103_154
; %bb.153:
	v_and_b32_e32 v28, 0x10000, v27
	v_mov_b32_e32 v29, 1
	v_and_b32_sdwa v29, v31, v29 dst_sel:DWORD dst_unused:UNUSED_PAD src0_sel:WORD_1 src1_sel:DWORD
	v_cmp_eq_u32_e32 vcc, 0, v28
	v_lshlrev_b32_e32 v30, 16, v27
	v_lshlrev_b32_e32 v60, 16, v31
	v_cndmask_b32_e32 v28, 1, v29, vcc
	v_and_b32_e32 v29, 0xff0000, v27
	v_cmp_lt_f32_e32 vcc, v60, v30
	s_nop 1
	v_cndmask_b32_e32 v30, v31, v27, vcc
	v_cmp_eq_u32_e32 vcc, 0, v29
	s_nop 1
	v_cndmask_b32_e32 v30, v27, v30, vcc
.LBB103_154:
	s_or_b64 exec, exec, s[52:53]
	ds_write_b16 v26, v30
	ds_write_b8 v26, v28 offset:2
.LBB103_155:
	s_or_b64 exec, exec, s[50:51]
	v_cmp_gt_u32_e32 vcc, 64, v0
	v_cmp_lt_u32_e64 s[50:51], 63, v0
	v_mov_b32_e32 v60, 0
	v_mov_b32_e32 v61, 0
	s_waitcnt lgkmcnt(0)
	s_barrier
	s_and_saveexec_b64 s[52:53], s[50:51]
	s_cbranch_execz .LBB103_157
; %bb.156:
	v_lshl_add_u32 v24, v24, 2, -4
	ds_read_u16 v60, v24
	ds_read_u8 v61, v24 offset:2
	v_lshlrev_b32_e32 v26, 16, v23
	s_waitcnt lgkmcnt(1)
	v_lshlrev_b32_e32 v24, 16, v60
	v_cmp_lt_f32_e64 s[50:51], v24, v26
	s_nop 1
	v_cndmask_b32_e64 v24, v60, v23, s[50:51]
	v_cmp_eq_u16_e64 s[50:51], 0, v22
	v_and_b32_e32 v22, 1, v22
	s_nop 0
	v_cndmask_b32_e64 v23, v23, v24, s[50:51]
	v_cmp_eq_u32_e64 s[50:51], 1, v22
	s_waitcnt lgkmcnt(0)
	s_nop 0
	v_cndmask_b32_e64 v22, v61, 1, s[50:51]
.LBB103_157:
	s_or_b64 exec, exec, s[52:53]
	v_and_b32_e32 v22, 0xff, v22
	v_and_b32_e32 v23, 0xffff, v23
	v_lshl_or_b32 v22, v22, 16, v23
	v_add_u32_e32 v23, -1, v25
	v_and_b32_e32 v24, 64, v25
	v_cmp_lt_i32_e64 s[50:51], v23, v24
	s_nop 1
	v_cndmask_b32_e64 v23, v23, v25, s[50:51]
	v_lshlrev_b32_e32 v23, 2, v23
	ds_bpermute_b32 v62, v23, v22
	v_cmp_eq_u32_e64 s[50:51], 0, v25
	s_and_saveexec_b64 s[52:53], vcc
	s_cbranch_execz .LBB103_200
; %bb.158:
	v_mov_b32_e32 v29, 0
	ds_read_b32 v22, v29 offset:12
	s_and_saveexec_b64 s[60:61], s[50:51]
	s_cbranch_execz .LBB103_160
; %bb.159:
	s_add_i32 s62, s2, 64
	s_mov_b32 s63, 0
	s_lshl_b64 s[62:63], s[62:63], 3
	s_add_u32 s62, s56, s62
	s_addc_u32 s63, s57, s63
	v_mov_b32_e32 v23, 1
	s_waitcnt lgkmcnt(0)
	global_store_dwordx2 v29, v[22:23], s[62:63] sc1
.LBB103_160:
	s_or_b64 exec, exec, s[60:61]
	v_xad_u32 v24, v25, -1, s2
	v_add_u32_e32 v28, 64, v24
	v_lshl_add_u64 v[30:31], v[28:29], 3, s[56:57]
	global_load_dwordx2 v[26:27], v[30:31], off sc1
	s_waitcnt vmcnt(0)
	v_cmp_eq_u16_sdwa s[62:63], v27, v29 src0_sel:BYTE_0 src1_sel:DWORD
	s_and_saveexec_b64 s[60:61], s[62:63]
	s_cbranch_execz .LBB103_164
; %bb.161:
	s_mov_b64 s[62:63], 0
	v_mov_b32_e32 v23, 0
.LBB103_162:                            ; =>This Inner Loop Header: Depth=1
	global_load_dwordx2 v[26:27], v[30:31], off sc1
	s_waitcnt vmcnt(0)
	v_cmp_ne_u16_sdwa s[68:69], v27, v23 src0_sel:BYTE_0 src1_sel:DWORD
	s_or_b64 s[62:63], s[68:69], s[62:63]
	s_andn2_b64 exec, exec, s[62:63]
	s_cbranch_execnz .LBB103_162
; %bb.163:
	s_or_b64 exec, exec, s[62:63]
.LBB103_164:
	s_or_b64 exec, exec, s[60:61]
	v_mov_b32_e32 v23, 2
	v_cmp_eq_u16_sdwa s[60:61], v27, v23 src0_sel:BYTE_0 src1_sel:DWORD
	v_lshlrev_b64 v[28:29], v25, -1
	v_and_b32_e32 v31, 63, v25
	v_and_b32_e32 v23, s61, v29
	v_or_b32_e32 v23, 0x80000000, v23
	v_and_b32_e32 v30, s60, v28
	v_ffbl_b32_e32 v23, v23
	v_add_u32_e32 v23, 32, v23
	v_ffbl_b32_e32 v30, v30
	v_cmp_ne_u32_e32 vcc, 63, v31
	v_min_u32_e32 v30, v30, v23
	v_and_b32_e32 v74, 0xffffff, v26
	v_addc_co_u32_e32 v23, vcc, 0, v25, vcc
	v_lshlrev_b32_e32 v23, 2, v23
	ds_bpermute_b32 v64, v23, v74
	v_add_u32_e32 v63, 1, v25
	v_lshrrev_b32_e32 v78, 16, v26
	v_cmp_le_u32_e32 vcc, v63, v30
	v_bfe_u32 v72, v26, 16, 8
	s_and_saveexec_b64 s[60:61], vcc
	s_cbranch_execz .LBB103_166
; %bb.165:
	s_waitcnt lgkmcnt(0)
	v_lshlrev_b32_e32 v66, 16, v64
	v_lshlrev_b32_e32 v67, 16, v26
	v_and_b32_e32 v65, 0xff0000, v26
	v_cmp_lt_f32_e32 vcc, v66, v67
	s_nop 1
	v_cndmask_b32_e32 v66, v64, v26, vcc
	v_cmp_eq_u32_e32 vcc, 0, v65
	v_and_b32_e32 v65, 0x10000, v65
	s_nop 0
	v_cndmask_b32_e32 v26, v26, v66, vcc
	v_mov_b32_e32 v66, 1
	v_and_b32_sdwa v64, v64, v66 dst_sel:DWORD dst_unused:UNUSED_PAD src0_sel:WORD_1 src1_sel:DWORD
	v_cmp_ne_u32_e32 vcc, 0, v65
	s_nop 1
	v_cndmask_b32_e64 v78, v64, 1, vcc
	v_lshlrev_b32_e32 v64, 16, v78
	v_or_b32_sdwa v74, v64, v26 dst_sel:DWORD dst_unused:UNUSED_PAD src0_sel:DWORD src1_sel:WORD_0
	v_mov_b32_e32 v72, v78
.LBB103_166:
	s_or_b64 exec, exec, s[60:61]
	v_cmp_gt_u32_e32 vcc, 62, v31
	v_add_u32_e32 v65, 2, v25
	s_waitcnt lgkmcnt(0)
	v_cndmask_b32_e64 v64, 0, 1, vcc
	v_lshlrev_b32_e32 v64, 1, v64
	v_add_lshl_u32 v64, v64, v25, 2
	ds_bpermute_b32 v66, v64, v74
	v_cmp_le_u32_e32 vcc, v65, v30
	s_and_saveexec_b64 s[60:61], vcc
	s_cbranch_execz .LBB103_168
; %bb.167:
	s_waitcnt lgkmcnt(0)
	v_lshlrev_b32_e32 v67, 16, v66
	v_lshlrev_b32_e32 v68, 16, v26
	v_cmp_lt_f32_e32 vcc, v67, v68
	v_mov_b32_e32 v68, 1
	s_nop 0
	v_cndmask_b32_e32 v67, v66, v26, vcc
	v_cmp_eq_u16_e32 vcc, 0, v72
	v_and_b32_sdwa v66, v66, v68 dst_sel:DWORD dst_unused:UNUSED_PAD src0_sel:WORD_1 src1_sel:DWORD
	s_nop 0
	v_cndmask_b32_e32 v26, v26, v67, vcc
	v_and_b32_e32 v67, 1, v72
	v_cmp_eq_u32_e32 vcc, 1, v67
	s_nop 1
	v_cndmask_b32_e64 v78, v66, 1, vcc
	v_lshlrev_b32_e32 v66, 16, v78
	v_or_b32_sdwa v74, v66, v26 dst_sel:DWORD dst_unused:UNUSED_PAD src0_sel:DWORD src1_sel:WORD_0
	v_mov_b32_e32 v72, v78
.LBB103_168:
	s_or_b64 exec, exec, s[60:61]
	v_cmp_gt_u32_e32 vcc, 60, v31
	v_add_u32_e32 v67, 4, v25
	s_waitcnt lgkmcnt(0)
	v_cndmask_b32_e64 v66, 0, 1, vcc
	v_lshlrev_b32_e32 v66, 2, v66
	v_add_lshl_u32 v66, v66, v25, 2
	ds_bpermute_b32 v68, v66, v74
	v_cmp_le_u32_e32 vcc, v67, v30
	s_and_saveexec_b64 s[60:61], vcc
	s_cbranch_execz .LBB103_170
; %bb.169:
	s_waitcnt lgkmcnt(0)
	v_lshlrev_b32_e32 v69, 16, v68
	v_lshlrev_b32_e32 v70, 16, v26
	v_cmp_lt_f32_e32 vcc, v69, v70
	v_mov_b32_e32 v70, 1
	s_nop 0
	v_cndmask_b32_e32 v69, v68, v26, vcc
	v_cmp_eq_u16_e32 vcc, 0, v72
	v_and_b32_sdwa v68, v68, v70 dst_sel:DWORD dst_unused:UNUSED_PAD src0_sel:WORD_1 src1_sel:DWORD
	s_nop 0
	v_cndmask_b32_e32 v26, v26, v69, vcc
	v_and_b32_e32 v69, 1, v72
	v_cmp_eq_u32_e32 vcc, 1, v69
	s_nop 1
	v_cndmask_b32_e64 v78, v68, 1, vcc
	v_lshlrev_b32_e32 v68, 16, v78
	v_or_b32_sdwa v74, v68, v26 dst_sel:DWORD dst_unused:UNUSED_PAD src0_sel:DWORD src1_sel:WORD_0
	v_mov_b32_e32 v72, v78
.LBB103_170:
	s_or_b64 exec, exec, s[60:61]
	v_cmp_gt_u32_e32 vcc, 56, v31
	v_add_u32_e32 v69, 8, v25
	s_waitcnt lgkmcnt(0)
	v_cndmask_b32_e64 v68, 0, 1, vcc
	v_lshlrev_b32_e32 v68, 3, v68
	v_add_lshl_u32 v68, v68, v25, 2
	ds_bpermute_b32 v70, v68, v74
	v_cmp_le_u32_e32 vcc, v69, v30
	s_and_saveexec_b64 s[60:61], vcc
	s_cbranch_execz .LBB103_172
; %bb.171:
	s_waitcnt lgkmcnt(0)
	v_lshlrev_b32_e32 v71, 16, v70
	v_lshlrev_b32_e32 v73, 16, v26
	v_cmp_lt_f32_e32 vcc, v71, v73
	s_nop 1
	v_cndmask_b32_e32 v71, v70, v26, vcc
	v_cmp_eq_u16_e32 vcc, 0, v72
	s_nop 1
	v_cndmask_b32_e32 v26, v26, v71, vcc
	v_and_b32_e32 v71, 1, v72
	v_mov_b32_e32 v72, 1
	v_and_b32_sdwa v70, v70, v72 dst_sel:DWORD dst_unused:UNUSED_PAD src0_sel:WORD_1 src1_sel:DWORD
	v_cmp_eq_u32_e32 vcc, 1, v71
	s_nop 1
	v_cndmask_b32_e64 v78, v70, 1, vcc
	v_lshlrev_b32_e32 v70, 16, v78
	v_or_b32_sdwa v74, v70, v26 dst_sel:DWORD dst_unused:UNUSED_PAD src0_sel:DWORD src1_sel:WORD_0
	v_mov_b32_e32 v72, v78
.LBB103_172:
	s_or_b64 exec, exec, s[60:61]
	v_cmp_gt_u32_e32 vcc, 48, v31
	v_add_u32_e32 v71, 16, v25
	s_waitcnt lgkmcnt(0)
	v_cndmask_b32_e64 v70, 0, 1, vcc
	v_lshlrev_b32_e32 v70, 4, v70
	v_add_lshl_u32 v70, v70, v25, 2
	ds_bpermute_b32 v73, v70, v74
	v_cmp_le_u32_e32 vcc, v71, v30
	s_and_saveexec_b64 s[60:61], vcc
	s_cbranch_execz .LBB103_174
; %bb.173:
	s_waitcnt lgkmcnt(0)
	v_lshlrev_b32_e32 v74, 16, v73
	v_lshlrev_b32_e32 v75, 16, v26
	v_cmp_lt_f32_e32 vcc, v74, v75
	s_nop 1
	v_cndmask_b32_e32 v74, v73, v26, vcc
	v_cmp_eq_u16_e32 vcc, 0, v72
	v_and_b32_e32 v72, 1, v72
	s_nop 0
	v_cndmask_b32_e32 v26, v26, v74, vcc
	v_mov_b32_e32 v74, 1
	v_and_b32_sdwa v73, v73, v74 dst_sel:DWORD dst_unused:UNUSED_PAD src0_sel:WORD_1 src1_sel:DWORD
	v_cmp_eq_u32_e32 vcc, 1, v72
	s_nop 1
	v_cndmask_b32_e64 v78, v73, 1, vcc
	v_lshlrev_b32_e32 v72, 16, v78
	v_or_b32_sdwa v74, v72, v26 dst_sel:DWORD dst_unused:UNUSED_PAD src0_sel:DWORD src1_sel:WORD_0
	v_mov_b32_e32 v72, v78
.LBB103_174:
	s_or_b64 exec, exec, s[60:61]
	v_cmp_gt_u32_e32 vcc, 32, v31
	v_add_u32_e32 v75, 32, v25
	s_nop 0
	v_cndmask_b32_e64 v31, 0, 1, vcc
	v_lshlrev_b32_e32 v31, 5, v31
	s_waitcnt lgkmcnt(0)
	v_add_lshl_u32 v73, v31, v25, 2
	ds_bpermute_b32 v31, v73, v74
	v_cmp_le_u32_e32 vcc, v75, v30
	s_and_saveexec_b64 s[60:61], vcc
	s_cbranch_execz .LBB103_176
; %bb.175:
	s_waitcnt lgkmcnt(0)
	v_lshlrev_b32_e32 v25, 16, v31
	v_lshlrev_b32_e32 v30, 16, v26
	v_cmp_lt_f32_e32 vcc, v25, v30
	v_mov_b32_e32 v30, 1
	v_and_b32_sdwa v30, v31, v30 dst_sel:DWORD dst_unused:UNUSED_PAD src0_sel:WORD_1 src1_sel:DWORD
	v_cndmask_b32_e32 v25, v31, v26, vcc
	v_cmp_eq_u16_e32 vcc, 0, v72
	s_nop 1
	v_cndmask_b32_e32 v26, v26, v25, vcc
	v_and_b32_e32 v25, 1, v72
	v_cmp_eq_u32_e32 vcc, 1, v25
	s_nop 1
	v_cndmask_b32_e64 v78, v30, 1, vcc
.LBB103_176:
	s_or_b64 exec, exec, s[60:61]
	v_mov_b32_e32 v25, 0
	v_mov_b32_e32 v76, 2
	;; [unrolled: 1-line block ×3, first 2 shown]
	s_branch .LBB103_178
.LBB103_177:                            ;   in Loop: Header=BB103_178 Depth=1
	s_or_b64 exec, exec, s[60:61]
	v_lshlrev_b32_e32 v30, 16, v26
	v_lshlrev_b32_e32 v78, 16, v74
	v_cmp_lt_f32_e32 vcc, v30, v78
	v_and_b32_e32 v30, 1, v72
	v_and_b32_e32 v31, 1, v31
	v_cndmask_b32_e32 v26, v26, v74, vcc
	v_cmp_eq_u16_sdwa vcc, v72, v25 src0_sel:BYTE_0 src1_sel:DWORD
	v_subrev_u32_e32 v24, 64, v24
	s_nop 0
	v_cndmask_b32_e32 v26, v74, v26, vcc
	v_cmp_eq_u32_e32 vcc, 1, v30
	s_nop 1
	v_cndmask_b32_e64 v78, v31, 1, vcc
.LBB103_178:                            ; =>This Loop Header: Depth=1
                                        ;     Child Loop BB103_181 Depth 2
	v_cmp_ne_u16_sdwa s[60:61], v27, v76 src0_sel:BYTE_0 src1_sel:DWORD
	v_mov_b32_e32 v72, v78
	v_mov_b32_e32 v74, v26
	v_cndmask_b32_e64 v27, 0, 1, s[60:61]
	;;#ASMSTART
	;;#ASMEND
	s_nop 0
	v_cmp_ne_u32_e32 vcc, 0, v27
	s_cmp_lg_u64 vcc, exec
	s_cbranch_scc1 .LBB103_195
; %bb.179:                              ;   in Loop: Header=BB103_178 Depth=1
	s_waitcnt lgkmcnt(0)
	v_lshl_add_u64 v[30:31], v[24:25], 3, s[56:57]
	global_load_dwordx2 v[26:27], v[30:31], off sc1
	s_waitcnt vmcnt(0)
	v_cmp_eq_u16_sdwa s[62:63], v27, v25 src0_sel:BYTE_0 src1_sel:DWORD
	s_and_saveexec_b64 s[60:61], s[62:63]
	s_cbranch_execz .LBB103_183
; %bb.180:                              ;   in Loop: Header=BB103_178 Depth=1
	s_mov_b64 s[62:63], 0
.LBB103_181:                            ;   Parent Loop BB103_178 Depth=1
                                        ; =>  This Inner Loop Header: Depth=2
	global_load_dwordx2 v[26:27], v[30:31], off sc1
	s_waitcnt vmcnt(0)
	v_cmp_ne_u16_sdwa s[68:69], v27, v25 src0_sel:BYTE_0 src1_sel:DWORD
	s_or_b64 s[62:63], s[68:69], s[62:63]
	s_andn2_b64 exec, exec, s[62:63]
	s_cbranch_execnz .LBB103_181
; %bb.182:                              ;   in Loop: Header=BB103_178 Depth=1
	s_or_b64 exec, exec, s[62:63]
.LBB103_183:                            ;   in Loop: Header=BB103_178 Depth=1
	s_or_b64 exec, exec, s[60:61]
	v_cmp_eq_u16_sdwa s[60:61], v27, v76 src0_sel:BYTE_0 src1_sel:DWORD
	v_and_b32_e32 v79, 0xffffff, v26
	ds_bpermute_b32 v80, v23, v79
	v_and_b32_e32 v30, s61, v29
	v_or_b32_e32 v30, 0x80000000, v30
	v_and_b32_e32 v31, s60, v28
	v_ffbl_b32_e32 v30, v30
	v_add_u32_e32 v30, 32, v30
	v_ffbl_b32_e32 v31, v31
	v_min_u32_e32 v30, v31, v30
	v_lshrrev_b32_e32 v31, 16, v26
	v_cmp_le_u32_e32 vcc, v63, v30
	v_bfe_u32 v78, v26, 16, 8
	s_and_saveexec_b64 s[60:61], vcc
	s_cbranch_execz .LBB103_185
; %bb.184:                              ;   in Loop: Header=BB103_178 Depth=1
	s_waitcnt lgkmcnt(0)
	v_lshlrev_b32_e32 v78, 16, v80
	v_lshlrev_b32_e32 v79, 16, v26
	v_and_b32_e32 v31, 0xff0000, v26
	v_cmp_lt_f32_e32 vcc, v78, v79
	s_nop 1
	v_cndmask_b32_e32 v78, v80, v26, vcc
	v_cmp_eq_u32_e32 vcc, 0, v31
	v_and_b32_e32 v31, 0x10000, v31
	s_nop 0
	v_cndmask_b32_e32 v26, v26, v78, vcc
	v_and_b32_sdwa v78, v80, v77 dst_sel:DWORD dst_unused:UNUSED_PAD src0_sel:WORD_1 src1_sel:DWORD
	v_cmp_ne_u32_e32 vcc, 0, v31
	s_nop 1
	v_cndmask_b32_e64 v31, v78, 1, vcc
	v_lshlrev_b32_e32 v78, 16, v31
	v_or_b32_sdwa v79, v78, v26 dst_sel:DWORD dst_unused:UNUSED_PAD src0_sel:DWORD src1_sel:WORD_0
	v_mov_b32_e32 v78, v31
.LBB103_185:                            ;   in Loop: Header=BB103_178 Depth=1
	s_or_b64 exec, exec, s[60:61]
	s_waitcnt lgkmcnt(0)
	ds_bpermute_b32 v80, v64, v79
	v_cmp_le_u32_e32 vcc, v65, v30
	s_and_saveexec_b64 s[60:61], vcc
	s_cbranch_execz .LBB103_187
; %bb.186:                              ;   in Loop: Header=BB103_178 Depth=1
	s_waitcnt lgkmcnt(0)
	v_lshlrev_b32_e32 v31, 16, v80
	v_lshlrev_b32_e32 v79, 16, v26
	v_cmp_lt_f32_e32 vcc, v31, v79
	s_nop 1
	v_cndmask_b32_e32 v31, v80, v26, vcc
	v_cmp_eq_u16_e32 vcc, 0, v78
	s_nop 1
	v_cndmask_b32_e32 v26, v26, v31, vcc
	v_and_b32_e32 v31, 1, v78
	v_and_b32_sdwa v78, v80, v77 dst_sel:DWORD dst_unused:UNUSED_PAD src0_sel:WORD_1 src1_sel:DWORD
	v_cmp_eq_u32_e32 vcc, 1, v31
	s_nop 1
	v_cndmask_b32_e64 v31, v78, 1, vcc
	v_lshlrev_b32_e32 v78, 16, v31
	v_or_b32_sdwa v79, v78, v26 dst_sel:DWORD dst_unused:UNUSED_PAD src0_sel:DWORD src1_sel:WORD_0
	v_mov_b32_e32 v78, v31
.LBB103_187:                            ;   in Loop: Header=BB103_178 Depth=1
	s_or_b64 exec, exec, s[60:61]
	s_waitcnt lgkmcnt(0)
	ds_bpermute_b32 v80, v66, v79
	v_cmp_le_u32_e32 vcc, v67, v30
	s_and_saveexec_b64 s[60:61], vcc
	s_cbranch_execz .LBB103_189
; %bb.188:                              ;   in Loop: Header=BB103_178 Depth=1
	s_waitcnt lgkmcnt(0)
	v_lshlrev_b32_e32 v31, 16, v80
	v_lshlrev_b32_e32 v79, 16, v26
	v_cmp_lt_f32_e32 vcc, v31, v79
	s_nop 1
	v_cndmask_b32_e32 v31, v80, v26, vcc
	v_cmp_eq_u16_e32 vcc, 0, v78
	s_nop 1
	v_cndmask_b32_e32 v26, v26, v31, vcc
	v_and_b32_e32 v31, 1, v78
	v_and_b32_sdwa v78, v80, v77 dst_sel:DWORD dst_unused:UNUSED_PAD src0_sel:WORD_1 src1_sel:DWORD
	v_cmp_eq_u32_e32 vcc, 1, v31
	s_nop 1
	v_cndmask_b32_e64 v31, v78, 1, vcc
	v_lshlrev_b32_e32 v78, 16, v31
	v_or_b32_sdwa v79, v78, v26 dst_sel:DWORD dst_unused:UNUSED_PAD src0_sel:DWORD src1_sel:WORD_0
	v_mov_b32_e32 v78, v31
.LBB103_189:                            ;   in Loop: Header=BB103_178 Depth=1
	;; [unrolled: 25-line block ×4, first 2 shown]
	s_or_b64 exec, exec, s[60:61]
	ds_bpermute_b32 v79, v73, v79
	v_cmp_le_u32_e32 vcc, v75, v30
	s_and_saveexec_b64 s[60:61], vcc
	s_cbranch_execz .LBB103_177
; %bb.194:                              ;   in Loop: Header=BB103_178 Depth=1
	s_waitcnt lgkmcnt(0)
	v_lshlrev_b32_e32 v30, 16, v79
	v_lshlrev_b32_e32 v31, 16, v26
	v_cmp_lt_f32_e32 vcc, v30, v31
	v_lshrrev_b32_e32 v31, 16, v79
	s_nop 0
	v_cndmask_b32_e32 v30, v79, v26, vcc
	v_cmp_eq_u16_e32 vcc, 0, v78
	s_nop 1
	v_cndmask_b32_e32 v26, v26, v30, vcc
	v_and_b32_e32 v30, 1, v78
	v_cmp_eq_u32_e32 vcc, 1, v30
	s_nop 1
	v_cndmask_b32_e64 v31, v31, 1, vcc
	s_branch .LBB103_177
.LBB103_195:                            ;   in Loop: Header=BB103_178 Depth=1
                                        ; implicit-def: $vgpr78
                                        ; implicit-def: $vgpr26
	s_cbranch_execz .LBB103_178
; %bb.196:
	s_and_saveexec_b64 s[60:61], s[50:51]
	s_cbranch_execz .LBB103_198
; %bb.197:
	v_lshlrev_b32_e32 v24, 16, v22
	v_lshlrev_b32_e32 v25, 16, v74
	v_and_b32_e32 v23, 0xff0000, v22
	v_cmp_lt_f32_e32 vcc, v25, v24
	s_mov_b32 s3, 0
	s_add_i32 s2, s2, 64
	v_cndmask_b32_e32 v24, v74, v22, vcc
	v_cmp_eq_u32_e32 vcc, 0, v23
	s_lshl_b64 s[2:3], s[2:3], 3
	s_add_u32 s2, s56, s2
	v_cndmask_b32_e32 v23, v22, v24, vcc
	v_and_b32_e32 v22, 0x10000, v22
	v_mov_b32_e32 v24, 1
	v_and_b32_sdwa v24, v72, v24 dst_sel:WORD_1 dst_unused:UNUSED_PAD src0_sel:DWORD src1_sel:DWORD
	v_and_b32_e32 v25, 0xffff, v23
	v_mov_b32_e32 v23, 0x10000
	v_cmp_eq_u32_e32 vcc, 0, v22
	s_addc_u32 s3, s57, s3
	v_mov_b32_e32 v26, 0
	v_cndmask_b32_e32 v22, v23, v24, vcc
	v_mov_b32_e32 v23, 2
	v_or_b32_e32 v22, v22, v25
	global_store_dwordx2 v26, v[22:23], s[2:3] sc1
.LBB103_198:
	s_or_b64 exec, exec, s[60:61]
	v_cmp_eq_u32_e32 vcc, 0, v0
	s_and_b64 exec, exec, vcc
	s_cbranch_execz .LBB103_200
; %bb.199:
	v_mov_b32_e32 v22, 0
	ds_write_b16 v22, v74 offset:12
	ds_write_b8 v22, v72 offset:14
.LBB103_200:
	s_or_b64 exec, exec, s[52:53]
	v_mov_b32_e32 v23, 0
	s_waitcnt lgkmcnt(0)
	s_barrier
	ds_read_b32 v22, v23 offset:12
	v_cmp_ne_u32_e32 vcc, 0, v0
	s_and_saveexec_b64 s[2:3], vcc
	s_cbranch_execz .LBB103_202
; %bb.201:
	v_cndmask_b32_e64 v25, v62, v60, s[50:51]
	v_lshrrev_b32_e32 v24, 16, v62
	v_lshlrev_b32_e32 v26, 16, v25
	s_waitcnt lgkmcnt(0)
	v_lshlrev_b32_e32 v27, 16, v22
	v_cndmask_b32_e64 v24, v24, v61, s[50:51]
	v_cmp_lt_f32_e32 vcc, v27, v26
	s_nop 1
	v_cndmask_b32_e32 v22, v22, v25, vcc
	v_cmp_eq_u16_sdwa vcc, v24, v23 src0_sel:BYTE_0 src1_sel:DWORD
	s_nop 1
	v_cndmask_b32_e32 v22, v25, v22, vcc
.LBB103_202:
	s_or_b64 exec, exec, s[2:3]
	s_waitcnt lgkmcnt(0)
	v_lshlrev_b32_e32 v24, 16, v22
	v_and_b32_e32 v23, 0xff0000, v50
	v_cmp_gt_f32_e32 vcc, v56, v24
	s_nop 1
	v_cndmask_b32_e32 v24, v22, v50, vcc
	v_cmp_eq_u32_e32 vcc, 0, v23
	s_nop 1
	v_cndmask_b32_e32 v23, v50, v24, vcc
	v_lshlrev_b32_e32 v24, 16, v23
	v_cmp_gt_f32_e32 vcc, v55, v24
	s_nop 1
	v_cndmask_b32_e32 v24, v23, v51, vcc
	v_cndmask_b32_e64 v24, v51, v24, s[4:5]
	v_lshlrev_b32_e32 v25, 16, v24
	v_cmp_gt_f32_e32 vcc, v54, v25
	s_nop 1
	v_cndmask_b32_e32 v25, v24, v21, vcc
	v_cndmask_b32_e64 v25, v21, v25, s[6:7]
	;; [unrolled: 5-line block ×22, first 2 shown]
	s_branch .LBB103_255
.LBB103_203:
	s_or_b64 exec, exec, s[60:61]
                                        ; implicit-def: $vgpr6
	s_and_saveexec_b64 s[4:5], s[6:7]
	s_cbranch_execz .LBB103_53
.LBB103_204:
	global_load_ushort v6, v[4:5], off offset:512
	s_or_b64 exec, exec, s[4:5]
                                        ; implicit-def: $vgpr7
	s_and_saveexec_b64 s[4:5], s[8:9]
	s_cbranch_execnz .LBB103_54
.LBB103_205:
	s_or_b64 exec, exec, s[4:5]
                                        ; implicit-def: $vgpr8
	s_and_saveexec_b64 s[4:5], s[10:11]
	s_cbranch_execz .LBB103_55
.LBB103_206:
	global_load_ushort v8, v[4:5], off offset:1536
	s_or_b64 exec, exec, s[4:5]
                                        ; implicit-def: $vgpr9
	s_and_saveexec_b64 s[4:5], s[12:13]
	s_cbranch_execnz .LBB103_56
.LBB103_207:
	s_or_b64 exec, exec, s[4:5]
                                        ; implicit-def: $vgpr10
	s_and_saveexec_b64 s[4:5], s[14:15]
	s_cbranch_execz .LBB103_57
.LBB103_208:
	global_load_ushort v10, v[4:5], off offset:2560
	s_or_b64 exec, exec, s[4:5]
                                        ; implicit-def: $vgpr11
	s_and_saveexec_b64 s[4:5], s[16:17]
	s_cbranch_execnz .LBB103_58
.LBB103_209:
	s_or_b64 exec, exec, s[4:5]
                                        ; implicit-def: $vgpr12
	s_and_saveexec_b64 s[4:5], s[18:19]
	s_cbranch_execz .LBB103_59
.LBB103_210:
	global_load_ushort v12, v[4:5], off offset:3584
	s_or_b64 exec, exec, s[4:5]
                                        ; implicit-def: $vgpr13
	s_and_saveexec_b64 s[4:5], s[20:21]
	s_cbranch_execnz .LBB103_60
.LBB103_211:
	s_or_b64 exec, exec, s[4:5]
                                        ; implicit-def: $vgpr14
	s_and_saveexec_b64 s[4:5], s[22:23]
	s_cbranch_execz .LBB103_61
.LBB103_212:
	v_add_co_u32_e32 v14, vcc, 0x1000, v4
	s_nop 1
	v_addc_co_u32_e32 v15, vcc, 0, v5, vcc
	global_load_ushort v14, v[14:15], off offset:512
	s_or_b64 exec, exec, s[4:5]
                                        ; implicit-def: $vgpr15
	s_and_saveexec_b64 s[4:5], s[24:25]
	s_cbranch_execnz .LBB103_62
.LBB103_213:
	s_or_b64 exec, exec, s[4:5]
                                        ; implicit-def: $vgpr16
	s_and_saveexec_b64 s[4:5], s[26:27]
	s_cbranch_execz .LBB103_63
.LBB103_214:
	v_add_co_u32_e32 v16, vcc, 0x1000, v4
	s_nop 1
	v_addc_co_u32_e32 v17, vcc, 0, v5, vcc
	global_load_ushort v16, v[16:17], off offset:1536
	s_or_b64 exec, exec, s[4:5]
                                        ; implicit-def: $vgpr17
	s_and_saveexec_b64 s[4:5], s[28:29]
	s_cbranch_execnz .LBB103_64
.LBB103_215:
	s_or_b64 exec, exec, s[4:5]
                                        ; implicit-def: $vgpr18
	s_and_saveexec_b64 s[4:5], s[30:31]
	s_cbranch_execz .LBB103_65
.LBB103_216:
	v_add_co_u32_e32 v18, vcc, 0x1000, v4
	s_nop 1
	v_addc_co_u32_e32 v19, vcc, 0, v5, vcc
	global_load_ushort v18, v[18:19], off offset:2560
	s_or_b64 exec, exec, s[4:5]
                                        ; implicit-def: $vgpr19
	s_and_saveexec_b64 s[4:5], s[34:35]
	s_cbranch_execnz .LBB103_66
.LBB103_217:
	s_or_b64 exec, exec, s[4:5]
                                        ; implicit-def: $vgpr20
	s_and_saveexec_b64 s[4:5], s[36:37]
	s_cbranch_execz .LBB103_67
.LBB103_218:
	v_add_co_u32_e32 v20, vcc, 0x1000, v4
	s_nop 1
	v_addc_co_u32_e32 v21, vcc, 0, v5, vcc
	global_load_ushort v20, v[20:21], off offset:3584
	s_or_b64 exec, exec, s[4:5]
                                        ; implicit-def: $vgpr21
	s_and_saveexec_b64 s[4:5], s[38:39]
	s_cbranch_execnz .LBB103_68
.LBB103_219:
	s_or_b64 exec, exec, s[4:5]
                                        ; implicit-def: $vgpr46
	s_and_saveexec_b64 s[4:5], s[40:41]
	s_cbranch_execz .LBB103_69
.LBB103_220:
	v_add_co_u32_e32 v46, vcc, 0x2000, v4
	s_nop 1
	v_addc_co_u32_e32 v47, vcc, 0, v5, vcc
	global_load_ushort v46, v[46:47], off offset:512
	s_or_b64 exec, exec, s[4:5]
                                        ; implicit-def: $vgpr48
	s_and_saveexec_b64 s[4:5], s[42:43]
	s_cbranch_execnz .LBB103_70
.LBB103_221:
	s_or_b64 exec, exec, s[4:5]
                                        ; implicit-def: $vgpr49
	s_and_saveexec_b64 s[4:5], s[44:45]
	s_cbranch_execz .LBB103_71
.LBB103_222:
	v_add_co_u32_e32 v50, vcc, 0x2000, v4
	s_nop 1
	v_addc_co_u32_e32 v51, vcc, 0, v5, vcc
	global_load_ushort v49, v[50:51], off offset:1536
	s_or_b64 exec, exec, s[4:5]
                                        ; implicit-def: $vgpr50
	s_and_saveexec_b64 s[4:5], s[46:47]
	s_cbranch_execnz .LBB103_72
.LBB103_223:
	s_or_b64 exec, exec, s[4:5]
                                        ; implicit-def: $vgpr51
	s_and_saveexec_b64 s[4:5], s[48:49]
	s_cbranch_execz .LBB103_73
.LBB103_224:
	v_add_co_u32_e32 v54, vcc, 0x2000, v4
	s_nop 1
	v_addc_co_u32_e32 v55, vcc, 0, v5, vcc
	global_load_ushort v51, v[54:55], off offset:2560
	s_or_b64 exec, exec, s[4:5]
                                        ; implicit-def: $vgpr54
	s_and_saveexec_b64 s[4:5], s[50:51]
	s_cbranch_execz .LBB103_75
	s_branch .LBB103_74
.LBB103_225:
                                        ; implicit-def: $vgpr22
                                        ; implicit-def: $vgpr23
                                        ; implicit-def: $vgpr24
                                        ; implicit-def: $vgpr25
                                        ; implicit-def: $vgpr26
                                        ; implicit-def: $vgpr27
                                        ; implicit-def: $vgpr28
                                        ; implicit-def: $vgpr30
                                        ; implicit-def: $vgpr29
                                        ; implicit-def: $vgpr31
                                        ; implicit-def: $vgpr60
                                        ; implicit-def: $vgpr62
                                        ; implicit-def: $vgpr63
                                        ; implicit-def: $vgpr64
                                        ; implicit-def: $vgpr65
                                        ; implicit-def: $vgpr67
                                        ; implicit-def: $vgpr66
                                        ; implicit-def: $vgpr68
                                        ; implicit-def: $vgpr69
                                        ; implicit-def: $vgpr70
                                        ; implicit-def: $vgpr71
                                        ; implicit-def: $vgpr72
                                        ; implicit-def: $vgpr73
                                        ; implicit-def: $vgpr61
	s_cbranch_execz .LBB103_255
; %bb.226:
	s_cmp_eq_u64 s[66:67], 0
	v_mov_b32_e32 v61, s76
	s_cbranch_scc1 .LBB103_228
; %bb.227:
	v_mov_b32_e32 v22, 0
	global_load_ushort v61, v22, s[66:67]
.LBB103_228:
	s_mov_b32 s52, 0x10000
	v_cmp_lt_f32_e32 vcc, v56, v55
	v_and_b32_e32 v23, 0x10000, v51
	v_cmp_ne_u32_e64 s[48:49], 0, v23
	v_cndmask_b32_e32 v22, v50, v51, vcc
	v_cmp_gt_u32_e32 vcc, s52, v51
	v_cmp_gt_u32_e64 s[4:5], s52, v21
	v_cmp_gt_u32_e64 s[6:7], s52, v20
	v_cndmask_b32_e32 v22, v51, v22, vcc
	v_lshlrev_b32_e32 v23, 16, v22
	v_cmp_lt_f32_e64 s[2:3], v23, v54
	v_cmp_gt_u32_e64 s[8:9], s52, v19
	v_mov_b32_e32 v25, 1
	v_cndmask_b32_e64 v22, v22, v21, s[2:3]
	v_cndmask_b32_e64 v22, v21, v22, s[4:5]
	v_lshlrev_b32_e32 v23, 16, v22
	v_cmp_lt_f32_e64 s[2:3], v23, v53
	v_and_b32_sdwa v27, v18, v25 dst_sel:DWORD dst_unused:UNUSED_PAD src0_sel:WORD_1 src1_sel:DWORD
	v_and_b32_sdwa v28, v20, v25 dst_sel:DWORD dst_unused:UNUSED_PAD src0_sel:WORD_1 src1_sel:DWORD
	v_cndmask_b32_e64 v22, v22, v20, s[2:3]
	v_cndmask_b32_e64 v22, v20, v22, s[6:7]
	v_lshlrev_b32_e32 v23, 16, v22
	v_cmp_lt_f32_e64 s[2:3], v23, v52
	v_cmp_gt_u32_e64 s[10:11], s52, v18
	v_lshlrev_b16_e32 v28, 2, v28
	v_cndmask_b32_e64 v22, v22, v19, s[2:3]
	v_cndmask_b32_e64 v22, v19, v22, s[8:9]
	v_lshlrev_b32_e32 v23, 16, v22
	v_cmp_lt_f32_e64 s[2:3], v23, v49
	v_bfe_u32 v23, v19, 16, 1
	v_lshlrev_b16_e32 v23, 1, v23
	v_or_b32_e32 v23, v27, v23
	v_bfe_u32 v27, v21, 16, 1
	v_cndmask_b32_e64 v22, v22, v18, s[2:3]
	v_lshlrev_b16_e32 v27, 3, v27
	v_cndmask_b32_e64 v22, v18, v22, s[10:11]
	v_or_b32_e32 v27, v27, v28
	v_or_b32_e32 v27, v23, v27
	v_lshlrev_b32_e32 v23, 16, v22
	v_cmp_lt_f32_e64 s[2:3], v23, v48
	v_cmp_gt_u32_e64 s[12:13], s52, v1
	v_and_b32_e32 v23, 0x10000, v1
	v_cndmask_b32_e64 v22, v22, v1, s[2:3]
	v_cndmask_b32_e64 v22, v1, v22, s[12:13]
	v_cmp_ne_u32_e64 s[50:51], 0, v23
	v_lshlrev_b32_e32 v23, 16, v22
	v_cmp_lt_f32_e64 s[2:3], v23, v47
	v_cmp_gt_u32_e64 s[16:17], s52, v9
	v_cmp_gt_u32_e64 s[18:19], s52, v8
	v_cndmask_b32_e64 v22, v22, v9, s[2:3]
	v_cndmask_b32_e64 v22, v9, v22, s[16:17]
	v_lshlrev_b32_e32 v23, 16, v22
	v_cmp_lt_f32_e64 s[2:3], v23, v46
	v_cmp_gt_u32_e64 s[20:21], s52, v7
	v_cmp_gt_u32_e64 s[22:23], s52, v6
	v_cndmask_b32_e64 v22, v22, v8, s[2:3]
	v_cndmask_b32_e64 v22, v8, v22, s[18:19]
	;; [unrolled: 6-line block ×8, first 2 shown]
	v_lshlrev_b32_e32 v23, 16, v22
	v_cmp_lt_f32_e64 s[2:3], v23, v39
	v_or_b32_e32 v28, v17, v9
	v_or_b32_e32 v30, v15, v7
	v_cndmask_b32_e64 v22, v22, v10, s[2:3]
	v_cndmask_b32_e64 v22, v10, v22, s[34:35]
	v_lshlrev_b32_e32 v23, 16, v22
	v_cmp_lt_f32_e64 s[2:3], v23, v38
	v_or_b32_e32 v29, v14, v6
	v_or_b32_e32 v31, v12, v4
	v_cndmask_b32_e64 v22, v22, v11, s[2:3]
	v_cndmask_b32_e64 v22, v11, v22, s[36:37]
	v_lshlrev_b32_e32 v23, 16, v22
	v_cmp_lt_f32_e64 s[2:3], v23, v37
	v_or_b32_e32 v60, v11, v3
	v_bfe_u32 v30, v30, 16, 1
	v_cndmask_b32_e64 v22, v22, v12, s[2:3]
	v_cndmask_b32_e64 v22, v12, v22, s[38:39]
	v_lshlrev_b32_e32 v23, 16, v22
	v_cmp_lt_f32_e64 s[2:3], v23, v36
	v_bfe_u32 v28, v28, 16, 1
	v_bfe_u32 v60, v60, 16, 1
	v_cndmask_b32_e64 v22, v22, v13, s[2:3]
	v_cndmask_b32_e64 v22, v13, v22, s[40:41]
	v_lshlrev_b32_e32 v23, 16, v22
	v_cmp_lt_f32_e64 s[2:3], v23, v35
	v_and_b32_sdwa v31, v31, v25 dst_sel:DWORD dst_unused:UNUSED_PAD src0_sel:WORD_1 src1_sel:DWORD
	v_lshlrev_b16_e32 v30, 1, v30
	v_cndmask_b32_e64 v22, v22, v14, s[2:3]
	v_cndmask_b32_e64 v22, v14, v22, s[42:43]
	v_lshlrev_b32_e32 v23, 16, v22
	v_cmp_lt_f32_e64 s[2:3], v23, v34
	v_and_b32_sdwa v29, v29, v25 dst_sel:DWORD dst_unused:UNUSED_PAD src0_sel:WORD_1 src1_sel:DWORD
	v_lshlrev_b16_e32 v28, 3, v28
	v_cndmask_b32_e64 v22, v22, v15, s[2:3]
	v_cndmask_b32_e64 v22, v15, v22, s[44:45]
	v_lshlrev_b32_e32 v23, 16, v22
	v_cmp_lt_f32_e64 s[2:3], v23, v33
	v_lshlrev_b16_e32 v60, 1, v60
	v_lshlrev_b16_e32 v31, 2, v31
	v_cndmask_b32_e64 v22, v22, v16, s[2:3]
	v_cndmask_b32_e64 v22, v16, v22, s[46:47]
	v_lshlrev_b32_e32 v23, 16, v22
	v_cmp_lt_f32_e64 s[2:3], v23, v32
	v_or_b32_e32 v29, v29, v30
	v_mov_b32_e32 v24, 0x10000
	v_cndmask_b32_e64 v22, v22, v17, s[2:3]
	v_cndmask_b32_e64 v22, v17, v22, s[14:15]
	v_lshlrev_b32_e32 v23, 16, v22
	v_cmp_lt_f32_e64 s[2:3], v23, v59
	v_or_b32_e32 v59, v10, v2
	v_and_b32_sdwa v59, v59, v25 dst_sel:DWORD dst_unused:UNUSED_PAD src0_sel:WORD_1 src1_sel:DWORD
	v_cndmask_b32_e64 v22, v22, v57, s[2:3]
	v_cmp_gt_u32_e64 s[2:3], s52, v57
	v_or_b32_e32 v59, v59, v60
	v_and_b32_e32 v26, 0x10000, v50
	v_cndmask_b32_e64 v23, v57, v22, s[2:3]
	v_and_b32_e32 v22, 0x10000, v57
	v_cmp_ne_u32_e64 s[2:3], 0, v22
	v_or_b32_e32 v22, v16, v8
	v_or_b32_e32 v57, v13, v5
	v_and_b32_sdwa v22, v22, v25 dst_sel:DWORD dst_unused:UNUSED_PAD src0_sel:WORD_1 src1_sel:DWORD
	v_bfe_u32 v57, v57, 16, 1
	v_lshlrev_b16_e32 v22, 2, v22
	v_lshlrev_b16_e32 v57, 3, v57
	v_or_b32_e32 v22, v28, v22
	v_or_b32_e32 v31, v57, v31
	;; [unrolled: 1-line block ×4, first 2 shown]
	v_lshlrev_b16_e32 v22, 4, v22
	v_or_b32_e32 v22, v31, v22
	v_or_b32_e32 v22, v22, v27
	v_mov_b32_e32 v27, 0
	v_cmp_ne_u16_sdwa s[52:53], v22, v27 src0_sel:BYTE_0 src1_sel:DWORD
	s_or_b64 s[2:3], s[2:3], s[52:53]
	s_or_b64 s[2:3], s[2:3], s[50:51]
	;; [unrolled: 1-line block ×3, first 2 shown]
	v_cndmask_b32_e64 v26, v26, v24, s[2:3]
	v_mbcnt_hi_u32_b32 v22, -1, v58
	v_and_b32_e32 v28, 15, v22
	v_or_b32_sdwa v27, v26, v23 dst_sel:DWORD dst_unused:UNUSED_PAD src0_sel:DWORD src1_sel:WORD_0
	v_lshrrev_b32_e32 v24, 16, v26
	v_cmp_ne_u32_e64 s[2:3], 0, v28
	v_mov_b32_dpp v29, v27 row_shr:1 row_mask:0xf bank_mask:0xf
	s_and_saveexec_b64 s[48:49], s[2:3]
	s_cbranch_execz .LBB103_230
; %bb.229:
	v_and_b32_e32 v24, 0x10000, v26
	v_and_b32_sdwa v25, v29, v25 dst_sel:DWORD dst_unused:UNUSED_PAD src0_sel:WORD_1 src1_sel:DWORD
	v_cmp_ne_u32_e64 s[2:3], 0, v24
	v_lshlrev_b32_e32 v27, 16, v29
	s_nop 0
	v_cndmask_b32_e64 v24, v25, 1, s[2:3]
	v_mov_b32_e32 v25, 16
	v_lshlrev_b32_sdwa v25, v25, v23 dst_sel:DWORD dst_unused:UNUSED_PAD src0_sel:DWORD src1_sel:WORD_0
	v_cmp_lt_f32_e64 s[2:3], v27, v25
	s_nop 1
	v_cndmask_b32_e64 v25, v29, v23, s[2:3]
	v_cmp_eq_u32_e64 s[2:3], 0, v26
	s_nop 1
	v_cndmask_b32_e64 v23, v23, v25, s[2:3]
	v_lshlrev_b32_e32 v25, 16, v24
	v_or_b32_sdwa v27, v25, v23 dst_sel:DWORD dst_unused:UNUSED_PAD src0_sel:DWORD src1_sel:WORD_0
.LBB103_230:
	s_or_b64 exec, exec, s[48:49]
	v_lshrrev_b32_e32 v26, 16, v27
	v_mov_b32_dpp v29, v27 row_shr:2 row_mask:0xf bank_mask:0xf
	v_cmp_lt_u32_e64 s[2:3], 1, v28
	v_mov_b32_e32 v25, v27
	s_and_saveexec_b64 s[48:49], s[2:3]
	s_cbranch_execz .LBB103_232
; %bb.231:
	v_and_b32_e32 v23, 0x10000, v27
	v_mov_b32_e32 v24, 1
	v_and_b32_sdwa v24, v29, v24 dst_sel:DWORD dst_unused:UNUSED_PAD src0_sel:WORD_1 src1_sel:DWORD
	v_cmp_ne_u32_e64 s[2:3], 0, v23
	v_lshlrev_b32_e32 v23, 16, v27
	v_lshlrev_b32_e32 v25, 16, v29
	v_cndmask_b32_e64 v24, v24, 1, s[2:3]
	s_mov_b32 s50, 0x10000
	v_cmp_lt_f32_e64 s[2:3], v25, v23
	v_lshlrev_b32_e32 v25, 16, v24
	v_mov_b32_e32 v26, v24
	v_cndmask_b32_e64 v23, v29, v27, s[2:3]
	v_cmp_gt_u32_e64 s[2:3], s50, v27
	s_nop 1
	v_cndmask_b32_e64 v23, v27, v23, s[2:3]
	v_or_b32_sdwa v27, v25, v23 dst_sel:DWORD dst_unused:UNUSED_PAD src0_sel:DWORD src1_sel:WORD_0
	v_mov_b32_e32 v25, v23
.LBB103_232:
	s_or_b64 exec, exec, s[48:49]
	v_mov_b32_dpp v29, v27 row_shr:4 row_mask:0xf bank_mask:0xf
	v_cmp_lt_u32_e64 s[2:3], 3, v28
	s_and_saveexec_b64 s[48:49], s[2:3]
	s_cbranch_execz .LBB103_234
; %bb.233:
	v_and_b32_e32 v23, 1, v26
	v_mov_b32_e32 v24, 1
	v_and_b32_sdwa v24, v29, v24 dst_sel:DWORD dst_unused:UNUSED_PAD src0_sel:WORD_1 src1_sel:DWORD
	v_cmp_eq_u32_e64 s[2:3], 1, v23
	v_lshlrev_b32_e32 v23, 16, v29
	v_lshlrev_b32_e32 v27, 16, v25
	v_cndmask_b32_e64 v24, v24, 1, s[2:3]
	v_cmp_lt_f32_e64 s[2:3], v23, v27
	s_nop 1
	v_cndmask_b32_e64 v23, v29, v25, s[2:3]
	v_cmp_eq_u16_e64 s[2:3], 0, v26
	v_mov_b32_e32 v26, v24
	s_nop 0
	v_cndmask_b32_e64 v23, v25, v23, s[2:3]
	v_lshlrev_b32_e32 v25, 16, v24
	v_or_b32_sdwa v27, v25, v23 dst_sel:DWORD dst_unused:UNUSED_PAD src0_sel:DWORD src1_sel:WORD_0
	v_mov_b32_e32 v25, v23
.LBB103_234:
	s_or_b64 exec, exec, s[48:49]
	v_mov_b32_dpp v29, v27 row_shr:8 row_mask:0xf bank_mask:0xf
	v_cmp_lt_u32_e64 s[2:3], 7, v28
	s_and_saveexec_b64 s[48:49], s[2:3]
	s_cbranch_execz .LBB103_236
; %bb.235:
	v_and_b32_e32 v23, 1, v26
	v_mov_b32_e32 v24, 1
	v_and_b32_sdwa v24, v29, v24 dst_sel:DWORD dst_unused:UNUSED_PAD src0_sel:WORD_1 src1_sel:DWORD
	v_cmp_eq_u32_e64 s[2:3], 1, v23
	v_lshlrev_b32_e32 v23, 16, v29
	v_lshlrev_b32_e32 v27, 16, v25
	v_cndmask_b32_e64 v24, v24, 1, s[2:3]
	v_cmp_lt_f32_e64 s[2:3], v23, v27
	s_nop 1
	v_cndmask_b32_e64 v23, v29, v25, s[2:3]
	v_cmp_eq_u16_e64 s[2:3], 0, v26
	v_mov_b32_e32 v26, v24
	s_nop 0
	v_cndmask_b32_e64 v23, v25, v23, s[2:3]
	v_lshlrev_b32_e32 v25, 16, v24
	v_or_b32_sdwa v27, v25, v23 dst_sel:DWORD dst_unused:UNUSED_PAD src0_sel:DWORD src1_sel:WORD_0
	v_mov_b32_e32 v25, v23
.LBB103_236:
	s_or_b64 exec, exec, s[48:49]
	v_and_b32_e32 v29, 16, v22
	v_mov_b32_dpp v28, v27 row_bcast:15 row_mask:0xf bank_mask:0xf
	v_cmp_ne_u32_e64 s[2:3], 0, v29
	s_and_saveexec_b64 s[48:49], s[2:3]
	s_cbranch_execz .LBB103_238
; %bb.237:
	v_and_b32_e32 v23, 1, v26
	v_mov_b32_e32 v24, 1
	v_and_b32_sdwa v24, v28, v24 dst_sel:DWORD dst_unused:UNUSED_PAD src0_sel:WORD_1 src1_sel:DWORD
	v_cmp_eq_u32_e64 s[2:3], 1, v23
	v_lshlrev_b32_e32 v23, 16, v28
	v_lshlrev_b32_e32 v27, 16, v25
	v_cndmask_b32_e64 v24, v24, 1, s[2:3]
	v_cmp_lt_f32_e64 s[2:3], v23, v27
	s_nop 1
	v_cndmask_b32_e64 v23, v28, v25, s[2:3]
	v_cmp_eq_u16_e64 s[2:3], 0, v26
	v_mov_b32_e32 v26, v24
	s_nop 0
	v_cndmask_b32_e64 v23, v25, v23, s[2:3]
	v_lshlrev_b32_e32 v25, 16, v24
	v_or_b32_sdwa v27, v25, v23 dst_sel:DWORD dst_unused:UNUSED_PAD src0_sel:DWORD src1_sel:WORD_0
	v_mov_b32_e32 v25, v23
.LBB103_238:
	s_or_b64 exec, exec, s[48:49]
	v_mov_b32_dpp v27, v27 row_bcast:31 row_mask:0xf bank_mask:0xf
	v_cmp_lt_u32_e64 s[2:3], 31, v22
	s_and_saveexec_b64 s[48:49], s[2:3]
; %bb.239:
	v_and_b32_e32 v23, 1, v26
	v_mov_b32_e32 v24, 1
	v_and_b32_sdwa v24, v27, v24 dst_sel:DWORD dst_unused:UNUSED_PAD src0_sel:WORD_1 src1_sel:DWORD
	v_cmp_eq_u32_e64 s[2:3], 1, v23
	v_lshlrev_b32_e32 v23, 16, v27
	v_lshlrev_b32_e32 v28, 16, v25
	v_cndmask_b32_e64 v24, v24, 1, s[2:3]
	v_cmp_lt_f32_e64 s[2:3], v23, v28
	s_nop 1
	v_cndmask_b32_e64 v23, v27, v25, s[2:3]
	v_cmp_eq_u16_e64 s[2:3], 0, v26
	s_nop 1
	v_cndmask_b32_e64 v23, v25, v23, s[2:3]
; %bb.240:
	s_or_b64 exec, exec, s[48:49]
	v_or_b32_e32 v26, 63, v0
	v_lshrrev_b32_e32 v25, 6, v0
	v_cmp_eq_u32_e64 s[2:3], v26, v0
	s_and_saveexec_b64 s[48:49], s[2:3]
	s_cbranch_execz .LBB103_242
; %bb.241:
	v_lshlrev_b32_e32 v26, 2, v25
	ds_write_b16 v26, v23
	ds_write_b8 v26, v24 offset:2
.LBB103_242:
	s_or_b64 exec, exec, s[48:49]
	v_cmp_gt_u32_e64 s[2:3], 4, v0
	s_waitcnt lgkmcnt(0)
	s_barrier
	s_and_saveexec_b64 s[48:49], s[2:3]
	s_cbranch_execz .LBB103_248
; %bb.243:
	v_lshlrev_b32_e32 v26, 2, v0
	ds_read_b32 v27, v26
	v_and_b32_e32 v29, 3, v22
	v_cmp_ne_u32_e64 s[2:3], 0, v29
	s_waitcnt lgkmcnt(0)
	v_lshrrev_b32_e32 v28, 16, v27
	v_mov_b32_dpp v31, v27 row_shr:1 row_mask:0xf bank_mask:0xf
	v_mov_b32_e32 v30, v27
	s_and_saveexec_b64 s[50:51], s[2:3]
	s_cbranch_execz .LBB103_245
; %bb.244:
	v_and_b32_e32 v30, 0x10000, v27
	v_mov_b32_e32 v58, 1
	v_and_b32_sdwa v58, v31, v58 dst_sel:DWORD dst_unused:UNUSED_PAD src0_sel:WORD_1 src1_sel:DWORD
	v_cmp_ne_u32_e64 s[2:3], 0, v30
	v_lshlrev_b32_e32 v59, 16, v27
	v_lshlrev_b32_e32 v60, 16, v31
	v_cndmask_b32_e64 v58, v58, 1, s[2:3]
	v_mov_b32_e32 v30, 0
	v_cmp_lt_f32_e64 s[2:3], v60, v59
	v_and_b32_e32 v57, 0xff000000, v27
	s_nop 0
	v_cndmask_b32_e64 v31, v31, v27, s[2:3]
	v_cmp_eq_u16_sdwa s[2:3], v28, v30 src0_sel:BYTE_0 src1_sel:DWORD
	s_nop 1
	v_cndmask_b32_e64 v30, v27, v31, s[2:3]
	v_lshlrev_b32_e32 v27, 16, v58
	v_and_b32_e32 v28, 0xffff, v30
	v_or3_b32 v27, v27, v57, v28
	v_mov_b32_e32 v28, v58
.LBB103_245:
	s_or_b64 exec, exec, s[50:51]
	v_mov_b32_dpp v31, v27 row_shr:2 row_mask:0xf bank_mask:0xf
	v_cmp_lt_u32_e64 s[2:3], 1, v29
	s_and_saveexec_b64 s[50:51], s[2:3]
	s_cbranch_execz .LBB103_247
; %bb.246:
	v_and_b32_e32 v28, 0x10000, v27
	v_mov_b32_e32 v29, 1
	v_and_b32_sdwa v29, v31, v29 dst_sel:DWORD dst_unused:UNUSED_PAD src0_sel:WORD_1 src1_sel:DWORD
	v_cmp_eq_u32_e64 s[2:3], 0, v28
	v_lshlrev_b32_e32 v30, 16, v27
	v_lshlrev_b32_e32 v57, 16, v31
	v_cndmask_b32_e64 v28, 1, v29, s[2:3]
	v_and_b32_e32 v29, 0xff0000, v27
	v_cmp_lt_f32_e64 s[2:3], v57, v30
	s_nop 1
	v_cndmask_b32_e64 v30, v31, v27, s[2:3]
	v_cmp_eq_u32_e64 s[2:3], 0, v29
	s_nop 1
	v_cndmask_b32_e64 v30, v27, v30, s[2:3]
.LBB103_247:
	s_or_b64 exec, exec, s[50:51]
	ds_write_b16 v26, v30
	ds_write_b8 v26, v28 offset:2
.LBB103_248:
	s_or_b64 exec, exec, s[48:49]
	v_cmp_lt_u32_e64 s[2:3], 63, v0
	s_waitcnt lgkmcnt(0)
	s_barrier
	s_waitcnt lgkmcnt(0)
                                        ; implicit-def: $vgpr26
                                        ; implicit-def: $vgpr57
                                        ; implicit-def: $vgpr27
                                        ; implicit-def: $vgpr28
	s_and_saveexec_b64 s[48:49], s[2:3]
	s_xor_b64 s[48:49], exec, s[48:49]
	s_cbranch_execz .LBB103_250
; %bb.249:
	v_lshl_add_u32 v25, v25, 2, -4
	ds_read_u16 v26, v25
	ds_read_u8 v27, v25 offset:2
	v_mov_b32_e32 v28, 16
	s_waitcnt vmcnt(0)
	v_lshlrev_b32_sdwa v57, v28, v61 dst_sel:DWORD dst_unused:UNUSED_PAD src0_sel:DWORD src1_sel:WORD_0
	s_waitcnt lgkmcnt(1)
	v_lshlrev_b32_e32 v25, 16, v26
	v_cmp_lt_f32_e64 s[2:3], v57, v25
	s_nop 1
	v_cndmask_b32_e64 v25, v61, v26, s[2:3]
	s_waitcnt lgkmcnt(0)
	v_cmp_eq_u16_e64 s[2:3], 0, v27
	s_nop 1
	v_cndmask_b32_e64 v26, v26, v25, s[2:3]
	v_lshlrev_b32_e32 v28, 16, v26
.LBB103_250:
	s_andn2_saveexec_b64 s[2:3], s[48:49]
	s_cbranch_execz .LBB103_252
; %bb.251:
	v_mov_b32_e32 v25, 16
	s_waitcnt vmcnt(0)
	v_lshlrev_b32_sdwa v28, v25, v61 dst_sel:DWORD dst_unused:UNUSED_PAD src0_sel:DWORD src1_sel:WORD_0
	v_mov_b32_e32 v27, 0
	v_mov_b32_e32 v57, v28
	;; [unrolled: 1-line block ×3, first 2 shown]
.LBB103_252:
	s_or_b64 exec, exec, s[2:3]
	v_lshlrev_b32_e32 v25, 16, v23
	v_cmp_lt_f32_e64 s[2:3], v28, v25
	s_nop 1
	v_cndmask_b32_e64 v25, v26, v23, s[2:3]
	v_cmp_eq_u16_e64 s[2:3], 0, v24
	v_and_b32_e32 v24, 1, v24
	s_nop 0
	v_cndmask_b32_e64 v23, v23, v25, s[2:3]
	v_and_b32_e32 v25, 0xff, v27
	v_lshlrev_b32_e32 v25, 16, v25
	v_mov_b32_e32 v27, 0x10000
	v_cmp_eq_u32_e64 s[2:3], 1, v24
	s_nop 1
	v_cndmask_b32_e64 v24, v25, v27, s[2:3]
	v_or_b32_sdwa v23, v24, v23 dst_sel:DWORD dst_unused:UNUSED_PAD src0_sel:DWORD src1_sel:WORD_0
	v_add_u32_e32 v24, -1, v22
	v_and_b32_e32 v25, 64, v22
	v_cmp_lt_i32_e64 s[2:3], v24, v25
	s_nop 1
	v_cndmask_b32_e64 v24, v24, v22, s[2:3]
	v_lshlrev_b32_e32 v24, 2, v24
	ds_bpermute_b32 v23, v24, v23
	v_cmp_eq_u32_e64 s[2:3], 0, v22
	v_and_b32_e32 v24, 0xff0000, v50
	s_waitcnt lgkmcnt(0)
	v_cndmask_b32_e64 v22, v23, v26, s[2:3]
	v_cmp_eq_u32_e64 s[2:3], 0, v0
	s_waitcnt vmcnt(0)
	s_nop 0
	v_cndmask_b32_e64 v23, v22, v61, s[2:3]
	v_lshlrev_b32_e32 v25, 16, v23
	v_cmp_gt_f32_e64 s[48:49], v56, v25
	s_nop 1
	v_cndmask_b32_e64 v23, v23, v50, s[48:49]
	v_cmp_eq_u32_e64 s[48:49], 0, v24
	s_nop 1
	v_cndmask_b32_e64 v23, v50, v23, s[48:49]
	v_lshlrev_b32_e32 v24, 16, v23
	v_cmp_gt_f32_e64 s[48:49], v55, v24
	s_nop 1
	v_cndmask_b32_e64 v24, v23, v51, s[48:49]
	v_cndmask_b32_e32 v24, v51, v24, vcc
	v_lshlrev_b32_e32 v25, 16, v24
	v_cmp_gt_f32_e32 vcc, v54, v25
	s_nop 1
	v_cndmask_b32_e32 v25, v24, v21, vcc
	v_cndmask_b32_e64 v25, v21, v25, s[4:5]
	v_lshlrev_b32_e32 v21, 16, v25
	v_cmp_gt_f32_e32 vcc, v53, v21
	s_nop 1
	v_cndmask_b32_e32 v21, v25, v20, vcc
	v_cndmask_b32_e64 v26, v20, v21, s[6:7]
	;; [unrolled: 5-line block ×20, first 2 shown]
	v_lshlrev_b32_e32 v1, 16, v73
	v_cmp_gt_f32_e32 vcc, v32, v1
	s_nop 1
	v_cndmask_b32_e32 v1, v73, v17, vcc
	s_and_saveexec_b64 s[4:5], s[2:3]
	s_cbranch_execz .LBB103_254
; %bb.253:
	v_mov_b32_e32 v4, 0
	ds_read_u16 v2, v4 offset:12
	ds_read_u8 v5, v4 offset:14
	v_mov_b32_e32 v3, 2
	v_mov_b32_e32 v22, v61
	s_waitcnt lgkmcnt(1)
	v_lshlrev_b32_e32 v6, 16, v2
	v_cmp_lt_f32_e32 vcc, v57, v6
	s_nop 1
	v_cndmask_b32_e32 v6, v61, v2, vcc
	s_waitcnt lgkmcnt(0)
	v_cmp_eq_u32_e32 vcc, 0, v5
	s_nop 1
	v_cndmask_b32_e32 v2, v2, v6, vcc
	v_and_b32_e32 v2, 0xffff, v2
	v_lshl_or_b32 v2, v5, 16, v2
	global_store_dwordx2 v4, v[2:3], s[56:57] offset:512 sc1
.LBB103_254:
	s_or_b64 exec, exec, s[4:5]
	v_cndmask_b32_e64 v61, v17, v1, s[14:15]
.LBB103_255:
	s_load_dwordx2 s[0:1], s[0:1], 0x18
	v_mul_u32_u24_e32 v1, 24, v0
	v_lshlrev_b32_e32 v6, 1, v1
	v_lshlrev_b32_e32 v2, 1, v0
	s_waitcnt lgkmcnt(0)
	s_add_u32 s0, s0, s64
	s_addc_u32 s1, s1, s65
	s_and_b64 vcc, exec, s[54:55]
	s_cbranch_vccz .LBB103_303
; %bb.256:
	s_mov_b32 s2, 0x5040100
	v_perm_b32 v11, v30, v28, s2
	v_perm_b32 v10, v27, v26, s2
	;; [unrolled: 1-line block ×4, first 2 shown]
	s_barrier
	ds_write_b128 v6, v[8:11]
	v_perm_b32 v11, v67, v65, s2
	v_perm_b32 v10, v64, v63, s2
	;; [unrolled: 1-line block ×4, first 2 shown]
	ds_write_b128 v6, v[8:11] offset:16
	v_perm_b32 v11, v61, v73, s2
	v_perm_b32 v10, v72, v71, s2
	;; [unrolled: 1-line block ×4, first 2 shown]
	s_movk_i32 s2, 0xffd2
	v_mad_i32_i24 v3, v0, s2, v6
	ds_write_b128 v6, v[8:11] offset:32
	s_waitcnt lgkmcnt(0)
	s_barrier
	ds_read_u16 v38, v3 offset:512
	ds_read_u16 v37, v3 offset:1024
	ds_read_u16 v36, v3 offset:1536
	ds_read_u16 v35, v3 offset:2048
	ds_read_u16 v34, v3 offset:2560
	ds_read_u16 v33, v3 offset:3072
	ds_read_u16 v32, v3 offset:3584
	ds_read_u16 v21, v3 offset:4096
	ds_read_u16 v20, v3 offset:4608
	ds_read_u16 v19, v3 offset:5120
	ds_read_u16 v18, v3 offset:5632
	ds_read_u16 v17, v3 offset:6144
	ds_read_u16 v16, v3 offset:6656
	ds_read_u16 v15, v3 offset:7168
	ds_read_u16 v14, v3 offset:7680
	ds_read_u16 v13, v3 offset:8192
	ds_read_u16 v12, v3 offset:8704
	ds_read_u16 v11, v3 offset:9216
	ds_read_u16 v10, v3 offset:9728
	ds_read_u16 v9, v3 offset:10240
	ds_read_u16 v8, v3 offset:10752
	ds_read_u16 v1, v3 offset:11264
	ds_read_u16 v7, v3 offset:11776
	s_add_i32 s33, s33, s58
	v_mov_b32_e32 v3, 0
	v_lshl_add_u64 v[4:5], s[0:1], 0, v[2:3]
	v_cmp_gt_u32_e32 vcc, s33, v0
	s_and_saveexec_b64 s[2:3], vcc
	s_cbranch_execz .LBB103_258
; %bb.257:
	v_mul_i32_i24_e32 v39, 0xffffffd2, v0
	v_add_u32_e32 v39, v6, v39
	ds_read_u16 v39, v39
	s_waitcnt lgkmcnt(0)
	global_store_short v[4:5], v39, off
.LBB103_258:
	s_or_b64 exec, exec, s[2:3]
	v_or_b32_e32 v39, 0x100, v0
	v_cmp_gt_u32_e32 vcc, s33, v39
	s_and_saveexec_b64 s[2:3], vcc
	s_cbranch_execz .LBB103_260
; %bb.259:
	s_waitcnt lgkmcnt(14)
	global_store_short v[4:5], v38, off offset:512
.LBB103_260:
	s_or_b64 exec, exec, s[2:3]
	s_waitcnt lgkmcnt(14)
	v_or_b32_e32 v38, 0x200, v0
	v_cmp_gt_u32_e32 vcc, s33, v38
	s_and_saveexec_b64 s[2:3], vcc
	s_cbranch_execz .LBB103_262
; %bb.261:
	global_store_short v[4:5], v37, off offset:1024
.LBB103_262:
	s_or_b64 exec, exec, s[2:3]
	v_or_b32_e32 v37, 0x300, v0
	v_cmp_gt_u32_e32 vcc, s33, v37
	s_and_saveexec_b64 s[2:3], vcc
	s_cbranch_execz .LBB103_264
; %bb.263:
	global_store_short v[4:5], v36, off offset:1536
.LBB103_264:
	s_or_b64 exec, exec, s[2:3]
	;; [unrolled: 8-line block ×6, first 2 shown]
	v_or_b32_e32 v32, 0x800, v0
	v_cmp_gt_u32_e32 vcc, s33, v32
	s_and_saveexec_b64 s[2:3], vcc
	s_cbranch_execz .LBB103_274
; %bb.273:
	v_add_co_u32_e32 v32, vcc, 0x1000, v4
	s_nop 1
	v_addc_co_u32_e32 v33, vcc, 0, v5, vcc
	global_store_short v[32:33], v21, off
.LBB103_274:
	s_or_b64 exec, exec, s[2:3]
	v_or_b32_e32 v21, 0x900, v0
	v_cmp_gt_u32_e32 vcc, s33, v21
	s_and_saveexec_b64 s[2:3], vcc
	s_cbranch_execz .LBB103_276
; %bb.275:
	v_add_co_u32_e32 v32, vcc, 0x1000, v4
	s_nop 1
	v_addc_co_u32_e32 v33, vcc, 0, v5, vcc
	global_store_short v[32:33], v20, off offset:512
.LBB103_276:
	s_or_b64 exec, exec, s[2:3]
	v_or_b32_e32 v20, 0xa00, v0
	v_cmp_gt_u32_e32 vcc, s33, v20
	s_and_saveexec_b64 s[2:3], vcc
	s_cbranch_execz .LBB103_278
; %bb.277:
	v_add_co_u32_e32 v20, vcc, 0x1000, v4
	s_nop 1
	v_addc_co_u32_e32 v21, vcc, 0, v5, vcc
	s_waitcnt lgkmcnt(13)
	global_store_short v[20:21], v19, off offset:1024
.LBB103_278:
	s_or_b64 exec, exec, s[2:3]
	s_waitcnt lgkmcnt(13)
	v_or_b32_e32 v19, 0xb00, v0
	v_cmp_gt_u32_e32 vcc, s33, v19
	s_and_saveexec_b64 s[2:3], vcc
	s_cbranch_execz .LBB103_280
; %bb.279:
	v_add_co_u32_e32 v20, vcc, 0x1000, v4
	s_nop 1
	v_addc_co_u32_e32 v21, vcc, 0, v5, vcc
	s_waitcnt lgkmcnt(12)
	global_store_short v[20:21], v18, off offset:1536
.LBB103_280:
	s_or_b64 exec, exec, s[2:3]
	s_waitcnt lgkmcnt(12)
	;; [unrolled: 13-line block ×6, first 2 shown]
	v_or_b32_e32 v14, 0x1000, v0
	v_cmp_gt_u32_e32 vcc, s33, v14
	s_and_saveexec_b64 s[2:3], vcc
	s_cbranch_execz .LBB103_290
; %bb.289:
	v_add_co_u32_e32 v14, vcc, 0x2000, v4
	s_nop 1
	v_addc_co_u32_e32 v15, vcc, 0, v5, vcc
	s_waitcnt lgkmcnt(7)
	global_store_short v[14:15], v13, off
.LBB103_290:
	s_or_b64 exec, exec, s[2:3]
	s_waitcnt lgkmcnt(7)
	v_or_b32_e32 v13, 0x1100, v0
	v_cmp_gt_u32_e32 vcc, s33, v13
	s_and_saveexec_b64 s[2:3], vcc
	s_cbranch_execz .LBB103_292
; %bb.291:
	v_add_co_u32_e32 v14, vcc, 0x2000, v4
	s_nop 1
	v_addc_co_u32_e32 v15, vcc, 0, v5, vcc
	s_waitcnt lgkmcnt(6)
	global_store_short v[14:15], v12, off offset:512
.LBB103_292:
	s_or_b64 exec, exec, s[2:3]
	s_waitcnt lgkmcnt(6)
	v_or_b32_e32 v12, 0x1200, v0
	v_cmp_gt_u32_e32 vcc, s33, v12
	s_and_saveexec_b64 s[2:3], vcc
	s_cbranch_execz .LBB103_294
; %bb.293:
	v_add_co_u32_e32 v12, vcc, 0x2000, v4
	s_nop 1
	v_addc_co_u32_e32 v13, vcc, 0, v5, vcc
	s_waitcnt lgkmcnt(5)
	global_store_short v[12:13], v11, off offset:1024
.LBB103_294:
	;; [unrolled: 13-line block ×6, first 2 shown]
	s_or_b64 exec, exec, s[2:3]
	s_waitcnt lgkmcnt(1)
	v_mov_b32_e32 v1, v3
	v_or_b32_e32 v3, 0x1700, v0
	v_cmp_gt_u32_e64 s[2:3], s33, v3
	s_branch .LBB103_305
.LBB103_303:
	s_mov_b64 s[2:3], 0
                                        ; implicit-def: $vgpr7
	s_cbranch_execz .LBB103_305
; %bb.304:
	s_mov_b32 s4, 0x5040100
	v_perm_b32 v11, v30, v28, s4
	v_perm_b32 v10, v27, v26, s4
	;; [unrolled: 1-line block ×4, first 2 shown]
	s_waitcnt lgkmcnt(0)
	s_barrier
	ds_write_b128 v6, v[8:11]
	v_perm_b32 v11, v67, v65, s4
	v_perm_b32 v10, v64, v63, s4
	;; [unrolled: 1-line block ×4, first 2 shown]
	ds_write_b128 v6, v[8:11] offset:16
	v_perm_b32 v11, v61, v73, s4
	v_perm_b32 v10, v72, v71, s4
	;; [unrolled: 1-line block ×4, first 2 shown]
	s_movk_i32 s4, 0xffd2
	v_mov_b32_e32 v1, 0
	v_mad_i32_i24 v3, v0, s4, v6
	ds_write_b128 v6, v[8:11] offset:32
	s_waitcnt lgkmcnt(0)
	s_barrier
	ds_read_u16 v6, v3
	ds_read_u16 v8, v3 offset:512
	ds_read_u16 v9, v3 offset:1024
	;; [unrolled: 1-line block ×23, first 2 shown]
	v_mov_b32_e32 v3, v1
	v_lshl_add_u64 v[4:5], s[0:1], 0, v[2:3]
	s_movk_i32 s4, 0x1000
	s_waitcnt lgkmcnt(14)
	global_store_short v2, v6, s[0:1]
	global_store_short v2, v8, s[0:1] offset:512
	global_store_short v2, v9, s[0:1] offset:1024
	;; [unrolled: 1-line block ×7, first 2 shown]
	v_add_co_u32_e32 v2, vcc, s4, v4
	s_or_b64 s[2:3], s[2:3], exec
	s_nop 0
	v_addc_co_u32_e32 v3, vcc, 0, v5, vcc
	global_store_short v[2:3], v15, off
	global_store_short v[2:3], v16, off offset:512
	s_waitcnt lgkmcnt(13)
	global_store_short v[2:3], v17, off offset:1024
	s_waitcnt lgkmcnt(12)
	;; [unrolled: 2-line block ×6, first 2 shown]
	global_store_short v[2:3], v22, off offset:3584
	v_add_co_u32_e32 v2, vcc, 0x2000, v4
	s_nop 1
	v_addc_co_u32_e32 v3, vcc, 0, v5, vcc
	s_waitcnt lgkmcnt(7)
	global_store_short v[2:3], v23, off
	s_waitcnt lgkmcnt(6)
	global_store_short v[2:3], v24, off offset:512
	s_waitcnt lgkmcnt(5)
	global_store_short v[2:3], v25, off offset:1024
	;; [unrolled: 2-line block ×6, first 2 shown]
.LBB103_305:
	s_and_saveexec_b64 s[4:5], s[2:3]
	s_cbranch_execz .LBB103_307
; %bb.306:
	v_lshl_add_u64 v[0:1], v[0:1], 1, s[0:1]
	v_add_co_u32_e32 v0, vcc, 0x2000, v0
	s_nop 1
	v_addc_co_u32_e32 v1, vcc, 0, v1, vcc
	s_waitcnt lgkmcnt(0)
	global_store_short v[0:1], v7, off offset:3584
	s_endpgm
.LBB103_307:
	s_endpgm
	.section	.rodata,"a",@progbits
	.p2align	6, 0x0
	.amdhsa_kernel _ZN7rocprim6detail25device_scan_by_key_kernelILNS0_25lookback_scan_determinismE0ELb1ENS0_26wrapped_scan_by_key_configINS_14default_configEi12hip_bfloat16EEPiN6hipcub22TransformInputIteratorIS5_NS8_6CastOpIS5_EEPS5_lEESC_S5_NS8_8EqualityENS8_3MaxENS0_19lookback_scan_stateINS_5tupleIJS5_bEEELb0ELb1EEES5_EEvT2_T3_T4_T5_T6_T7_T8_mmmPKNSH_IJT9_bEEE
		.amdhsa_group_segment_fixed_size 26624
		.amdhsa_private_segment_fixed_size 0
		.amdhsa_kernarg_size 80
		.amdhsa_user_sgpr_count 2
		.amdhsa_user_sgpr_dispatch_ptr 0
		.amdhsa_user_sgpr_queue_ptr 0
		.amdhsa_user_sgpr_kernarg_segment_ptr 1
		.amdhsa_user_sgpr_dispatch_id 0
		.amdhsa_user_sgpr_kernarg_preload_length 0
		.amdhsa_user_sgpr_kernarg_preload_offset 0
		.amdhsa_user_sgpr_private_segment_size 0
		.amdhsa_uses_dynamic_stack 0
		.amdhsa_enable_private_segment 0
		.amdhsa_system_sgpr_workgroup_id_x 1
		.amdhsa_system_sgpr_workgroup_id_y 0
		.amdhsa_system_sgpr_workgroup_id_z 0
		.amdhsa_system_sgpr_workgroup_info 0
		.amdhsa_system_vgpr_workitem_id 0
		.amdhsa_next_free_vgpr 81
		.amdhsa_next_free_sgpr 88
		.amdhsa_accum_offset 84
		.amdhsa_reserve_vcc 1
		.amdhsa_float_round_mode_32 0
		.amdhsa_float_round_mode_16_64 0
		.amdhsa_float_denorm_mode_32 3
		.amdhsa_float_denorm_mode_16_64 3
		.amdhsa_dx10_clamp 1
		.amdhsa_ieee_mode 1
		.amdhsa_fp16_overflow 0
		.amdhsa_tg_split 0
		.amdhsa_exception_fp_ieee_invalid_op 0
		.amdhsa_exception_fp_denorm_src 0
		.amdhsa_exception_fp_ieee_div_zero 0
		.amdhsa_exception_fp_ieee_overflow 0
		.amdhsa_exception_fp_ieee_underflow 0
		.amdhsa_exception_fp_ieee_inexact 0
		.amdhsa_exception_int_div_zero 0
	.end_amdhsa_kernel
	.section	.text._ZN7rocprim6detail25device_scan_by_key_kernelILNS0_25lookback_scan_determinismE0ELb1ENS0_26wrapped_scan_by_key_configINS_14default_configEi12hip_bfloat16EEPiN6hipcub22TransformInputIteratorIS5_NS8_6CastOpIS5_EEPS5_lEESC_S5_NS8_8EqualityENS8_3MaxENS0_19lookback_scan_stateINS_5tupleIJS5_bEEELb0ELb1EEES5_EEvT2_T3_T4_T5_T6_T7_T8_mmmPKNSH_IJT9_bEEE,"axG",@progbits,_ZN7rocprim6detail25device_scan_by_key_kernelILNS0_25lookback_scan_determinismE0ELb1ENS0_26wrapped_scan_by_key_configINS_14default_configEi12hip_bfloat16EEPiN6hipcub22TransformInputIteratorIS5_NS8_6CastOpIS5_EEPS5_lEESC_S5_NS8_8EqualityENS8_3MaxENS0_19lookback_scan_stateINS_5tupleIJS5_bEEELb0ELb1EEES5_EEvT2_T3_T4_T5_T6_T7_T8_mmmPKNSH_IJT9_bEEE,comdat
.Lfunc_end103:
	.size	_ZN7rocprim6detail25device_scan_by_key_kernelILNS0_25lookback_scan_determinismE0ELb1ENS0_26wrapped_scan_by_key_configINS_14default_configEi12hip_bfloat16EEPiN6hipcub22TransformInputIteratorIS5_NS8_6CastOpIS5_EEPS5_lEESC_S5_NS8_8EqualityENS8_3MaxENS0_19lookback_scan_stateINS_5tupleIJS5_bEEELb0ELb1EEES5_EEvT2_T3_T4_T5_T6_T7_T8_mmmPKNSH_IJT9_bEEE, .Lfunc_end103-_ZN7rocprim6detail25device_scan_by_key_kernelILNS0_25lookback_scan_determinismE0ELb1ENS0_26wrapped_scan_by_key_configINS_14default_configEi12hip_bfloat16EEPiN6hipcub22TransformInputIteratorIS5_NS8_6CastOpIS5_EEPS5_lEESC_S5_NS8_8EqualityENS8_3MaxENS0_19lookback_scan_stateINS_5tupleIJS5_bEEELb0ELb1EEES5_EEvT2_T3_T4_T5_T6_T7_T8_mmmPKNSH_IJT9_bEEE
                                        ; -- End function
	.section	.AMDGPU.csdata,"",@progbits
; Kernel info:
; codeLenInByte = 18568
; NumSgprs: 94
; NumVgprs: 81
; NumAgprs: 0
; TotalNumVgprs: 81
; ScratchSize: 0
; MemoryBound: 0
; FloatMode: 240
; IeeeMode: 1
; LDSByteSize: 26624 bytes/workgroup (compile time only)
; SGPRBlocks: 11
; VGPRBlocks: 10
; NumSGPRsForWavesPerEU: 94
; NumVGPRsForWavesPerEU: 81
; AccumOffset: 84
; Occupancy: 2
; WaveLimiterHint : 1
; COMPUTE_PGM_RSRC2:SCRATCH_EN: 0
; COMPUTE_PGM_RSRC2:USER_SGPR: 2
; COMPUTE_PGM_RSRC2:TRAP_HANDLER: 0
; COMPUTE_PGM_RSRC2:TGID_X_EN: 1
; COMPUTE_PGM_RSRC2:TGID_Y_EN: 0
; COMPUTE_PGM_RSRC2:TGID_Z_EN: 0
; COMPUTE_PGM_RSRC2:TIDIG_COMP_CNT: 0
; COMPUTE_PGM_RSRC3_GFX90A:ACCUM_OFFSET: 20
; COMPUTE_PGM_RSRC3_GFX90A:TG_SPLIT: 0
	.section	.text._ZN7rocprim6detail25device_scan_by_key_kernelILNS0_25lookback_scan_determinismE0ELb1ENS0_26wrapped_scan_by_key_configINS_14default_configEiiEEPiN6hipcub22TransformInputIteratorIiNS7_6CastOpIiEES6_lEEPdiNS7_8EqualityENS7_3SumENS0_19lookback_scan_stateINS_5tupleIJibEEELb1ELb1EEEiEEvT2_T3_T4_T5_T6_T7_T8_mmmPKNSG_IJT9_bEEE,"axG",@progbits,_ZN7rocprim6detail25device_scan_by_key_kernelILNS0_25lookback_scan_determinismE0ELb1ENS0_26wrapped_scan_by_key_configINS_14default_configEiiEEPiN6hipcub22TransformInputIteratorIiNS7_6CastOpIiEES6_lEEPdiNS7_8EqualityENS7_3SumENS0_19lookback_scan_stateINS_5tupleIJibEEELb1ELb1EEEiEEvT2_T3_T4_T5_T6_T7_T8_mmmPKNSG_IJT9_bEEE,comdat
	.protected	_ZN7rocprim6detail25device_scan_by_key_kernelILNS0_25lookback_scan_determinismE0ELb1ENS0_26wrapped_scan_by_key_configINS_14default_configEiiEEPiN6hipcub22TransformInputIteratorIiNS7_6CastOpIiEES6_lEEPdiNS7_8EqualityENS7_3SumENS0_19lookback_scan_stateINS_5tupleIJibEEELb1ELb1EEEiEEvT2_T3_T4_T5_T6_T7_T8_mmmPKNSG_IJT9_bEEE ; -- Begin function _ZN7rocprim6detail25device_scan_by_key_kernelILNS0_25lookback_scan_determinismE0ELb1ENS0_26wrapped_scan_by_key_configINS_14default_configEiiEEPiN6hipcub22TransformInputIteratorIiNS7_6CastOpIiEES6_lEEPdiNS7_8EqualityENS7_3SumENS0_19lookback_scan_stateINS_5tupleIJibEEELb1ELb1EEEiEEvT2_T3_T4_T5_T6_T7_T8_mmmPKNSG_IJT9_bEEE
	.globl	_ZN7rocprim6detail25device_scan_by_key_kernelILNS0_25lookback_scan_determinismE0ELb1ENS0_26wrapped_scan_by_key_configINS_14default_configEiiEEPiN6hipcub22TransformInputIteratorIiNS7_6CastOpIiEES6_lEEPdiNS7_8EqualityENS7_3SumENS0_19lookback_scan_stateINS_5tupleIJibEEELb1ELb1EEEiEEvT2_T3_T4_T5_T6_T7_T8_mmmPKNSG_IJT9_bEEE
	.p2align	8
	.type	_ZN7rocprim6detail25device_scan_by_key_kernelILNS0_25lookback_scan_determinismE0ELb1ENS0_26wrapped_scan_by_key_configINS_14default_configEiiEEPiN6hipcub22TransformInputIteratorIiNS7_6CastOpIiEES6_lEEPdiNS7_8EqualityENS7_3SumENS0_19lookback_scan_stateINS_5tupleIJibEEELb1ELb1EEEiEEvT2_T3_T4_T5_T6_T7_T8_mmmPKNSG_IJT9_bEEE,@function
_ZN7rocprim6detail25device_scan_by_key_kernelILNS0_25lookback_scan_determinismE0ELb1ENS0_26wrapped_scan_by_key_configINS_14default_configEiiEEPiN6hipcub22TransformInputIteratorIiNS7_6CastOpIiEES6_lEEPdiNS7_8EqualityENS7_3SumENS0_19lookback_scan_stateINS_5tupleIJibEEELb1ELb1EEEiEEvT2_T3_T4_T5_T6_T7_T8_mmmPKNSG_IJT9_bEEE: ; @_ZN7rocprim6detail25device_scan_by_key_kernelILNS0_25lookback_scan_determinismE0ELb1ENS0_26wrapped_scan_by_key_configINS_14default_configEiiEEPiN6hipcub22TransformInputIteratorIiNS7_6CastOpIiEES6_lEEPdiNS7_8EqualityENS7_3SumENS0_19lookback_scan_stateINS_5tupleIJibEEELb1ELb1EEEiEEvT2_T3_T4_T5_T6_T7_T8_mmmPKNSG_IJT9_bEEE
; %bb.0:
	s_endpgm
	.section	.rodata,"a",@progbits
	.p2align	6, 0x0
	.amdhsa_kernel _ZN7rocprim6detail25device_scan_by_key_kernelILNS0_25lookback_scan_determinismE0ELb1ENS0_26wrapped_scan_by_key_configINS_14default_configEiiEEPiN6hipcub22TransformInputIteratorIiNS7_6CastOpIiEES6_lEEPdiNS7_8EqualityENS7_3SumENS0_19lookback_scan_stateINS_5tupleIJibEEELb1ELb1EEEiEEvT2_T3_T4_T5_T6_T7_T8_mmmPKNSG_IJT9_bEEE
		.amdhsa_group_segment_fixed_size 0
		.amdhsa_private_segment_fixed_size 0
		.amdhsa_kernarg_size 80
		.amdhsa_user_sgpr_count 2
		.amdhsa_user_sgpr_dispatch_ptr 0
		.amdhsa_user_sgpr_queue_ptr 0
		.amdhsa_user_sgpr_kernarg_segment_ptr 1
		.amdhsa_user_sgpr_dispatch_id 0
		.amdhsa_user_sgpr_kernarg_preload_length 0
		.amdhsa_user_sgpr_kernarg_preload_offset 0
		.amdhsa_user_sgpr_private_segment_size 0
		.amdhsa_uses_dynamic_stack 0
		.amdhsa_enable_private_segment 0
		.amdhsa_system_sgpr_workgroup_id_x 1
		.amdhsa_system_sgpr_workgroup_id_y 0
		.amdhsa_system_sgpr_workgroup_id_z 0
		.amdhsa_system_sgpr_workgroup_info 0
		.amdhsa_system_vgpr_workitem_id 0
		.amdhsa_next_free_vgpr 1
		.amdhsa_next_free_sgpr 0
		.amdhsa_accum_offset 4
		.amdhsa_reserve_vcc 0
		.amdhsa_float_round_mode_32 0
		.amdhsa_float_round_mode_16_64 0
		.amdhsa_float_denorm_mode_32 3
		.amdhsa_float_denorm_mode_16_64 3
		.amdhsa_dx10_clamp 1
		.amdhsa_ieee_mode 1
		.amdhsa_fp16_overflow 0
		.amdhsa_tg_split 0
		.amdhsa_exception_fp_ieee_invalid_op 0
		.amdhsa_exception_fp_denorm_src 0
		.amdhsa_exception_fp_ieee_div_zero 0
		.amdhsa_exception_fp_ieee_overflow 0
		.amdhsa_exception_fp_ieee_underflow 0
		.amdhsa_exception_fp_ieee_inexact 0
		.amdhsa_exception_int_div_zero 0
	.end_amdhsa_kernel
	.section	.text._ZN7rocprim6detail25device_scan_by_key_kernelILNS0_25lookback_scan_determinismE0ELb1ENS0_26wrapped_scan_by_key_configINS_14default_configEiiEEPiN6hipcub22TransformInputIteratorIiNS7_6CastOpIiEES6_lEEPdiNS7_8EqualityENS7_3SumENS0_19lookback_scan_stateINS_5tupleIJibEEELb1ELb1EEEiEEvT2_T3_T4_T5_T6_T7_T8_mmmPKNSG_IJT9_bEEE,"axG",@progbits,_ZN7rocprim6detail25device_scan_by_key_kernelILNS0_25lookback_scan_determinismE0ELb1ENS0_26wrapped_scan_by_key_configINS_14default_configEiiEEPiN6hipcub22TransformInputIteratorIiNS7_6CastOpIiEES6_lEEPdiNS7_8EqualityENS7_3SumENS0_19lookback_scan_stateINS_5tupleIJibEEELb1ELb1EEEiEEvT2_T3_T4_T5_T6_T7_T8_mmmPKNSG_IJT9_bEEE,comdat
.Lfunc_end104:
	.size	_ZN7rocprim6detail25device_scan_by_key_kernelILNS0_25lookback_scan_determinismE0ELb1ENS0_26wrapped_scan_by_key_configINS_14default_configEiiEEPiN6hipcub22TransformInputIteratorIiNS7_6CastOpIiEES6_lEEPdiNS7_8EqualityENS7_3SumENS0_19lookback_scan_stateINS_5tupleIJibEEELb1ELb1EEEiEEvT2_T3_T4_T5_T6_T7_T8_mmmPKNSG_IJT9_bEEE, .Lfunc_end104-_ZN7rocprim6detail25device_scan_by_key_kernelILNS0_25lookback_scan_determinismE0ELb1ENS0_26wrapped_scan_by_key_configINS_14default_configEiiEEPiN6hipcub22TransformInputIteratorIiNS7_6CastOpIiEES6_lEEPdiNS7_8EqualityENS7_3SumENS0_19lookback_scan_stateINS_5tupleIJibEEELb1ELb1EEEiEEvT2_T3_T4_T5_T6_T7_T8_mmmPKNSG_IJT9_bEEE
                                        ; -- End function
	.section	.AMDGPU.csdata,"",@progbits
; Kernel info:
; codeLenInByte = 4
; NumSgprs: 6
; NumVgprs: 0
; NumAgprs: 0
; TotalNumVgprs: 0
; ScratchSize: 0
; MemoryBound: 0
; FloatMode: 240
; IeeeMode: 1
; LDSByteSize: 0 bytes/workgroup (compile time only)
; SGPRBlocks: 0
; VGPRBlocks: 0
; NumSGPRsForWavesPerEU: 6
; NumVGPRsForWavesPerEU: 1
; AccumOffset: 4
; Occupancy: 8
; WaveLimiterHint : 0
; COMPUTE_PGM_RSRC2:SCRATCH_EN: 0
; COMPUTE_PGM_RSRC2:USER_SGPR: 2
; COMPUTE_PGM_RSRC2:TRAP_HANDLER: 0
; COMPUTE_PGM_RSRC2:TGID_X_EN: 1
; COMPUTE_PGM_RSRC2:TGID_Y_EN: 0
; COMPUTE_PGM_RSRC2:TGID_Z_EN: 0
; COMPUTE_PGM_RSRC2:TIDIG_COMP_CNT: 0
; COMPUTE_PGM_RSRC3_GFX90A:ACCUM_OFFSET: 0
; COMPUTE_PGM_RSRC3_GFX90A:TG_SPLIT: 0
	.section	.text._ZN7rocprim6detail25device_scan_by_key_kernelILNS0_25lookback_scan_determinismE0ELb1ENS0_26wrapped_scan_by_key_configINS_14default_configEiiEEPiN6hipcub22TransformInputIteratorIiNS7_6CastOpIiEES6_lEEPdiNS7_8EqualityENS7_3SumENS0_19lookback_scan_stateINS_5tupleIJibEEELb0ELb1EEEiEEvT2_T3_T4_T5_T6_T7_T8_mmmPKNSG_IJT9_bEEE,"axG",@progbits,_ZN7rocprim6detail25device_scan_by_key_kernelILNS0_25lookback_scan_determinismE0ELb1ENS0_26wrapped_scan_by_key_configINS_14default_configEiiEEPiN6hipcub22TransformInputIteratorIiNS7_6CastOpIiEES6_lEEPdiNS7_8EqualityENS7_3SumENS0_19lookback_scan_stateINS_5tupleIJibEEELb0ELb1EEEiEEvT2_T3_T4_T5_T6_T7_T8_mmmPKNSG_IJT9_bEEE,comdat
	.protected	_ZN7rocprim6detail25device_scan_by_key_kernelILNS0_25lookback_scan_determinismE0ELb1ENS0_26wrapped_scan_by_key_configINS_14default_configEiiEEPiN6hipcub22TransformInputIteratorIiNS7_6CastOpIiEES6_lEEPdiNS7_8EqualityENS7_3SumENS0_19lookback_scan_stateINS_5tupleIJibEEELb0ELb1EEEiEEvT2_T3_T4_T5_T6_T7_T8_mmmPKNSG_IJT9_bEEE ; -- Begin function _ZN7rocprim6detail25device_scan_by_key_kernelILNS0_25lookback_scan_determinismE0ELb1ENS0_26wrapped_scan_by_key_configINS_14default_configEiiEEPiN6hipcub22TransformInputIteratorIiNS7_6CastOpIiEES6_lEEPdiNS7_8EqualityENS7_3SumENS0_19lookback_scan_stateINS_5tupleIJibEEELb0ELb1EEEiEEvT2_T3_T4_T5_T6_T7_T8_mmmPKNSG_IJT9_bEEE
	.globl	_ZN7rocprim6detail25device_scan_by_key_kernelILNS0_25lookback_scan_determinismE0ELb1ENS0_26wrapped_scan_by_key_configINS_14default_configEiiEEPiN6hipcub22TransformInputIteratorIiNS7_6CastOpIiEES6_lEEPdiNS7_8EqualityENS7_3SumENS0_19lookback_scan_stateINS_5tupleIJibEEELb0ELb1EEEiEEvT2_T3_T4_T5_T6_T7_T8_mmmPKNSG_IJT9_bEEE
	.p2align	8
	.type	_ZN7rocprim6detail25device_scan_by_key_kernelILNS0_25lookback_scan_determinismE0ELb1ENS0_26wrapped_scan_by_key_configINS_14default_configEiiEEPiN6hipcub22TransformInputIteratorIiNS7_6CastOpIiEES6_lEEPdiNS7_8EqualityENS7_3SumENS0_19lookback_scan_stateINS_5tupleIJibEEELb0ELb1EEEiEEvT2_T3_T4_T5_T6_T7_T8_mmmPKNSG_IJT9_bEEE,@function
_ZN7rocprim6detail25device_scan_by_key_kernelILNS0_25lookback_scan_determinismE0ELb1ENS0_26wrapped_scan_by_key_configINS_14default_configEiiEEPiN6hipcub22TransformInputIteratorIiNS7_6CastOpIiEES6_lEEPdiNS7_8EqualityENS7_3SumENS0_19lookback_scan_stateINS_5tupleIJibEEELb0ELb1EEEiEEvT2_T3_T4_T5_T6_T7_T8_mmmPKNSG_IJT9_bEEE: ; @_ZN7rocprim6detail25device_scan_by_key_kernelILNS0_25lookback_scan_determinismE0ELb1ENS0_26wrapped_scan_by_key_configINS_14default_configEiiEEPiN6hipcub22TransformInputIteratorIiNS7_6CastOpIiEES6_lEEPdiNS7_8EqualityENS7_3SumENS0_19lookback_scan_stateINS_5tupleIJibEEELb0ELb1EEEiEEvT2_T3_T4_T5_T6_T7_T8_mmmPKNSG_IJT9_bEEE
; %bb.0:
	s_load_dwordx4 s[4:7], s[0:1], 0x0
	s_load_dword s76, s[0:1], 0x20
	s_load_dwordx8 s[64:71], s[0:1], 0x28
	s_load_dwordx2 s[74:75], s[0:1], 0x48
	s_mul_i32 s72, s2, 0x1700
	s_mov_b32 s73, 0
	s_lshl_b64 s[8:9], s[72:73], 2
	s_waitcnt lgkmcnt(0)
	s_add_u32 s54, s4, s8
	s_addc_u32 s55, s5, s9
	s_add_u32 s52, s6, s8
	s_addc_u32 s53, s7, s9
	s_add_u32 s6, s2, s68
	s_addc_u32 s7, 0, s69
	s_add_u32 s8, s70, -1
	s_addc_u32 s9, s71, -1
	v_mov_b64_e32 v[2:3], s[8:9]
	v_cmp_ge_u64_e64 s[60:61], s[6:7], v[2:3]
	s_mov_b64 s[4:5], -1
	s_and_b64 vcc, exec, s[60:61]
	s_mul_i32 s33, s8, 0xffffe900
	s_cbranch_vccz .LBB105_71
; %bb.1:
	s_load_dword s56, s[54:55], 0x0
	s_add_i32 s3, s33, s66
	v_mov_b32_e32 v3, 0
	v_lshlrev_b32_e32 v2, 2, v0
	v_lshl_add_u64 v[4:5], s[54:55], 0, v[2:3]
	v_cmp_gt_u32_e64 s[4:5], s3, v0
	s_waitcnt lgkmcnt(0)
	v_mov_b32_e32 v1, s56
	s_and_saveexec_b64 s[6:7], s[4:5]
	s_cbranch_execz .LBB105_3
; %bb.2:
	global_load_dword v1, v[4:5], off
.LBB105_3:
	s_or_b64 exec, exec, s[6:7]
	v_or_b32_e32 v3, 0x100, v0
	v_cmp_gt_u32_e64 s[6:7], s3, v3
	v_mov_b32_e32 v3, s56
	s_and_saveexec_b64 s[8:9], s[6:7]
	s_cbranch_execz .LBB105_5
; %bb.4:
	global_load_dword v3, v[4:5], off offset:1024
.LBB105_5:
	s_or_b64 exec, exec, s[8:9]
	v_or_b32_e32 v6, 0x200, v0
	v_cmp_gt_u32_e64 s[8:9], s3, v6
	v_mov_b32_e32 v6, s56
	s_and_saveexec_b64 s[10:11], s[8:9]
	s_cbranch_execz .LBB105_7
; %bb.6:
	global_load_dword v6, v[4:5], off offset:2048
.LBB105_7:
	;; [unrolled: 9-line block ×3, first 2 shown]
	s_or_b64 exec, exec, s[12:13]
	v_or_b32_e32 v8, 0x400, v0
	v_cmp_gt_u32_e64 s[12:13], s3, v8
	v_mov_b32_e32 v8, s56
	s_and_saveexec_b64 s[14:15], s[12:13]
	s_cbranch_execz .LBB105_11
; %bb.10:
	v_add_co_u32_e32 v8, vcc, 0x1000, v4
	s_nop 1
	v_addc_co_u32_e32 v9, vcc, 0, v5, vcc
	global_load_dword v8, v[8:9], off
.LBB105_11:
	s_or_b64 exec, exec, s[14:15]
	v_or_b32_e32 v9, 0x500, v0
	v_cmp_gt_u32_e64 s[14:15], s3, v9
	v_mov_b32_e32 v9, s56
	s_and_saveexec_b64 s[16:17], s[14:15]
	s_cbranch_execz .LBB105_13
; %bb.12:
	v_add_co_u32_e32 v10, vcc, 0x1000, v4
	s_nop 1
	v_addc_co_u32_e32 v11, vcc, 0, v5, vcc
	global_load_dword v9, v[10:11], off offset:1024
.LBB105_13:
	s_or_b64 exec, exec, s[16:17]
	v_or_b32_e32 v10, 0x600, v0
	v_cmp_gt_u32_e64 s[16:17], s3, v10
	v_mov_b32_e32 v10, s56
	s_and_saveexec_b64 s[18:19], s[16:17]
	s_cbranch_execz .LBB105_15
; %bb.14:
	v_add_co_u32_e32 v10, vcc, 0x1000, v4
	s_nop 1
	v_addc_co_u32_e32 v11, vcc, 0, v5, vcc
	global_load_dword v10, v[10:11], off offset:2048
.LBB105_15:
	s_or_b64 exec, exec, s[18:19]
	v_or_b32_e32 v11, 0x700, v0
	v_cmp_gt_u32_e64 s[18:19], s3, v11
	v_mov_b32_e32 v11, s56
	s_and_saveexec_b64 s[20:21], s[18:19]
	s_cbranch_execz .LBB105_17
; %bb.16:
	v_add_co_u32_e32 v12, vcc, 0x1000, v4
	s_nop 1
	v_addc_co_u32_e32 v13, vcc, 0, v5, vcc
	global_load_dword v11, v[12:13], off offset:3072
.LBB105_17:
	s_or_b64 exec, exec, s[20:21]
	v_or_b32_e32 v12, 0x800, v0
	v_cmp_gt_u32_e64 s[20:21], s3, v12
	v_mov_b32_e32 v12, s56
	s_and_saveexec_b64 s[22:23], s[20:21]
	s_cbranch_execz .LBB105_19
; %bb.18:
	v_add_co_u32_e32 v12, vcc, 0x2000, v4
	s_nop 1
	v_addc_co_u32_e32 v13, vcc, 0, v5, vcc
	global_load_dword v12, v[12:13], off
.LBB105_19:
	s_or_b64 exec, exec, s[22:23]
	v_or_b32_e32 v13, 0x900, v0
	v_cmp_gt_u32_e64 s[22:23], s3, v13
	v_mov_b32_e32 v13, s56
	s_and_saveexec_b64 s[24:25], s[22:23]
	s_cbranch_execz .LBB105_21
; %bb.20:
	v_add_co_u32_e32 v14, vcc, 0x2000, v4
	s_nop 1
	v_addc_co_u32_e32 v15, vcc, 0, v5, vcc
	global_load_dword v13, v[14:15], off offset:1024
.LBB105_21:
	s_or_b64 exec, exec, s[24:25]
	v_or_b32_e32 v14, 0xa00, v0
	v_cmp_gt_u32_e64 s[24:25], s3, v14
	v_mov_b32_e32 v14, s56
	s_and_saveexec_b64 s[26:27], s[24:25]
	s_cbranch_execz .LBB105_23
; %bb.22:
	v_add_co_u32_e32 v14, vcc, 0x2000, v4
	s_nop 1
	v_addc_co_u32_e32 v15, vcc, 0, v5, vcc
	global_load_dword v14, v[14:15], off offset:2048
.LBB105_23:
	s_or_b64 exec, exec, s[26:27]
	v_or_b32_e32 v15, 0xb00, v0
	v_cmp_gt_u32_e64 s[26:27], s3, v15
	v_mov_b32_e32 v15, s56
	s_and_saveexec_b64 s[28:29], s[26:27]
	s_cbranch_execz .LBB105_25
; %bb.24:
	v_add_co_u32_e32 v16, vcc, 0x2000, v4
	s_nop 1
	v_addc_co_u32_e32 v17, vcc, 0, v5, vcc
	global_load_dword v15, v[16:17], off offset:3072
.LBB105_25:
	;; [unrolled: 48-line block ×4, first 2 shown]
	s_or_b64 exec, exec, s[46:47]
	v_or_b32_e32 v24, 0x1400, v0
	v_cmp_gt_u32_e64 s[46:47], s3, v24
	v_mov_b32_e32 v24, s56
	s_and_saveexec_b64 s[48:49], s[46:47]
	s_cbranch_execz .LBB105_43
; %bb.42:
	v_add_co_u32_e32 v24, vcc, 0x5000, v4
	s_nop 1
	v_addc_co_u32_e32 v25, vcc, 0, v5, vcc
	global_load_dword v24, v[24:25], off
.LBB105_43:
	s_or_b64 exec, exec, s[48:49]
	v_or_b32_e32 v25, 0x1500, v0
	v_cmp_gt_u32_e64 s[48:49], s3, v25
	v_mov_b32_e32 v25, s56
	s_and_saveexec_b64 s[50:51], s[48:49]
	s_cbranch_execz .LBB105_45
; %bb.44:
	v_add_co_u32_e32 v26, vcc, 0x5000, v4
	s_nop 1
	v_addc_co_u32_e32 v27, vcc, 0, v5, vcc
	global_load_dword v25, v[26:27], off offset:1024
.LBB105_45:
	s_or_b64 exec, exec, s[50:51]
	v_or_b32_e32 v26, 0x1600, v0
	v_cmp_gt_u32_e64 s[50:51], s3, v26
	v_mov_b32_e32 v26, s56
	s_and_saveexec_b64 s[56:57], s[50:51]
	s_cbranch_execz .LBB105_47
; %bb.46:
	v_add_co_u32_e32 v4, vcc, 0x5000, v4
	s_nop 1
	v_addc_co_u32_e32 v5, vcc, 0, v5, vcc
	global_load_dword v26, v[4:5], off offset:2048
.LBB105_47:
	s_or_b64 exec, exec, s[56:57]
	s_movk_i32 s56, 0x58
	v_mad_u32_u24 v70, v0, s56, v2
	s_waitcnt vmcnt(0)
	ds_write2st64_b32 v2, v1, v3 offset1:4
	ds_write2st64_b32 v2, v6, v7 offset0:8 offset1:12
	ds_write2st64_b32 v2, v8, v9 offset0:16 offset1:20
	;; [unrolled: 1-line block ×10, first 2 shown]
	ds_write_b32 v2, v26 offset:22528
	s_waitcnt lgkmcnt(0)
	s_barrier
	ds_read_b32 v72, v70
	ds_read2_b32 v[68:69], v70 offset0:1 offset1:2
	ds_read2_b32 v[66:67], v70 offset0:3 offset1:4
	;; [unrolled: 1-line block ×11, first 2 shown]
	s_load_dword s56, s[54:55], 0x0
	s_movk_i32 s57, 0xffa8
	v_mad_i32_i24 v1, v0, s57, v70
	s_movk_i32 s57, 0xff
	s_waitcnt lgkmcnt(0)
	ds_write_b32 v1, v72 offset:24576
	v_cmp_ne_u32_e32 vcc, s57, v0
	v_mov_b32_e32 v1, s56
	s_waitcnt lgkmcnt(0)
	s_barrier
	s_and_saveexec_b64 s[56:57], vcc
	s_cbranch_execz .LBB105_49
; %bb.48:
	ds_read_b32 v1, v2 offset:24580
.LBB105_49:
	s_or_b64 exec, exec, s[56:57]
	v_mov_b32_e32 v3, 0
	v_lshl_add_u64 v[10:11], s[52:53], 0, v[2:3]
	s_waitcnt lgkmcnt(0)
	s_barrier
	s_waitcnt lgkmcnt(0)
                                        ; implicit-def: $vgpr3
	s_and_saveexec_b64 s[56:57], s[4:5]
	s_cbranch_execz .LBB105_72
; %bb.50:
	global_load_dword v3, v[10:11], off
	s_or_b64 exec, exec, s[56:57]
                                        ; implicit-def: $vgpr12
	s_and_saveexec_b64 s[4:5], s[6:7]
	s_cbranch_execnz .LBB105_73
.LBB105_51:
	s_or_b64 exec, exec, s[4:5]
                                        ; implicit-def: $vgpr13
	s_and_saveexec_b64 s[4:5], s[8:9]
	s_cbranch_execz .LBB105_74
.LBB105_52:
	global_load_dword v13, v[10:11], off offset:2048
	s_or_b64 exec, exec, s[4:5]
                                        ; implicit-def: $vgpr14
	s_and_saveexec_b64 s[4:5], s[10:11]
	s_cbranch_execnz .LBB105_75
.LBB105_53:
	s_or_b64 exec, exec, s[4:5]
                                        ; implicit-def: $vgpr15
	s_and_saveexec_b64 s[4:5], s[12:13]
	s_cbranch_execz .LBB105_76
.LBB105_54:
	v_add_co_u32_e32 v16, vcc, 0x1000, v10
	s_nop 1
	v_addc_co_u32_e32 v17, vcc, 0, v11, vcc
	global_load_dword v15, v[16:17], off
	s_or_b64 exec, exec, s[4:5]
                                        ; implicit-def: $vgpr16
	s_and_saveexec_b64 s[4:5], s[14:15]
	s_cbranch_execnz .LBB105_77
.LBB105_55:
	s_or_b64 exec, exec, s[4:5]
                                        ; implicit-def: $vgpr17
	s_and_saveexec_b64 s[4:5], s[16:17]
	s_cbranch_execz .LBB105_78
.LBB105_56:
	v_add_co_u32_e32 v18, vcc, 0x1000, v10
	s_nop 1
	v_addc_co_u32_e32 v19, vcc, 0, v11, vcc
	global_load_dword v17, v[18:19], off offset:2048
	s_or_b64 exec, exec, s[4:5]
                                        ; implicit-def: $vgpr18
	s_and_saveexec_b64 s[4:5], s[18:19]
	s_cbranch_execnz .LBB105_79
.LBB105_57:
	s_or_b64 exec, exec, s[4:5]
                                        ; implicit-def: $vgpr19
	s_and_saveexec_b64 s[4:5], s[20:21]
	s_cbranch_execz .LBB105_80
.LBB105_58:
	v_add_co_u32_e32 v20, vcc, 0x2000, v10
	s_nop 1
	v_addc_co_u32_e32 v21, vcc, 0, v11, vcc
	global_load_dword v19, v[20:21], off
	s_or_b64 exec, exec, s[4:5]
                                        ; implicit-def: $vgpr20
	s_and_saveexec_b64 s[4:5], s[22:23]
	s_cbranch_execnz .LBB105_81
.LBB105_59:
	s_or_b64 exec, exec, s[4:5]
                                        ; implicit-def: $vgpr21
	s_and_saveexec_b64 s[4:5], s[24:25]
	s_cbranch_execz .LBB105_82
.LBB105_60:
	v_add_co_u32_e32 v22, vcc, 0x2000, v10
	s_nop 1
	v_addc_co_u32_e32 v23, vcc, 0, v11, vcc
	global_load_dword v21, v[22:23], off offset:2048
	s_or_b64 exec, exec, s[4:5]
                                        ; implicit-def: $vgpr22
	s_and_saveexec_b64 s[4:5], s[26:27]
	s_cbranch_execnz .LBB105_83
.LBB105_61:
	s_or_b64 exec, exec, s[4:5]
                                        ; implicit-def: $vgpr23
	s_and_saveexec_b64 s[4:5], s[28:29]
	s_cbranch_execz .LBB105_84
.LBB105_62:
	v_add_co_u32_e32 v24, vcc, 0x3000, v10
	s_nop 1
	v_addc_co_u32_e32 v25, vcc, 0, v11, vcc
	global_load_dword v23, v[24:25], off
	s_or_b64 exec, exec, s[4:5]
                                        ; implicit-def: $vgpr24
	s_and_saveexec_b64 s[4:5], s[30:31]
	s_cbranch_execnz .LBB105_85
.LBB105_63:
	s_or_b64 exec, exec, s[4:5]
                                        ; implicit-def: $vgpr25
	s_and_saveexec_b64 s[4:5], s[34:35]
	s_cbranch_execz .LBB105_86
.LBB105_64:
	v_add_co_u32_e32 v26, vcc, 0x3000, v10
	s_nop 1
	v_addc_co_u32_e32 v27, vcc, 0, v11, vcc
	global_load_dword v25, v[26:27], off offset:2048
	s_or_b64 exec, exec, s[4:5]
                                        ; implicit-def: $vgpr26
	s_and_saveexec_b64 s[4:5], s[36:37]
	s_cbranch_execnz .LBB105_87
.LBB105_65:
	s_or_b64 exec, exec, s[4:5]
                                        ; implicit-def: $vgpr27
	s_and_saveexec_b64 s[4:5], s[38:39]
	s_cbranch_execz .LBB105_88
.LBB105_66:
	v_add_co_u32_e32 v28, vcc, 0x4000, v10
	s_nop 1
	v_addc_co_u32_e32 v29, vcc, 0, v11, vcc
	global_load_dword v27, v[28:29], off
	s_or_b64 exec, exec, s[4:5]
                                        ; implicit-def: $vgpr28
	s_and_saveexec_b64 s[4:5], s[40:41]
	s_cbranch_execnz .LBB105_89
.LBB105_67:
	s_or_b64 exec, exec, s[4:5]
                                        ; implicit-def: $vgpr29
	s_and_saveexec_b64 s[4:5], s[42:43]
	s_cbranch_execz .LBB105_90
.LBB105_68:
	v_add_co_u32_e32 v30, vcc, 0x4000, v10
	s_nop 1
	v_addc_co_u32_e32 v31, vcc, 0, v11, vcc
	global_load_dword v29, v[30:31], off offset:2048
	s_or_b64 exec, exec, s[4:5]
                                        ; implicit-def: $vgpr30
	s_and_saveexec_b64 s[4:5], s[44:45]
	s_cbranch_execnz .LBB105_91
.LBB105_69:
	s_or_b64 exec, exec, s[4:5]
                                        ; implicit-def: $vgpr31
	s_and_saveexec_b64 s[4:5], s[46:47]
	s_cbranch_execz .LBB105_92
.LBB105_70:
	v_add_co_u32_e32 v32, vcc, 0x5000, v10
	s_nop 1
	v_addc_co_u32_e32 v33, vcc, 0, v11, vcc
	global_load_dword v31, v[32:33], off
	s_or_b64 exec, exec, s[4:5]
                                        ; implicit-def: $vgpr32
	s_and_saveexec_b64 s[4:5], s[48:49]
	s_cbranch_execz .LBB105_94
	s_branch .LBB105_93
.LBB105_71:
	s_mov_b64 s[10:11], 0
                                        ; implicit-def: $sgpr8_sgpr9
                                        ; implicit-def: $vgpr2
                                        ; implicit-def: $vgpr10_vgpr11
                                        ; implicit-def: $vgpr12_vgpr13
                                        ; implicit-def: $vgpr14_vgpr15
                                        ; implicit-def: $vgpr16_vgpr17
                                        ; implicit-def: $vgpr18_vgpr19
                                        ; implicit-def: $vgpr20_vgpr21
                                        ; implicit-def: $vgpr22_vgpr23
                                        ; implicit-def: $vgpr24_vgpr25
                                        ; implicit-def: $vgpr26_vgpr27
                                        ; implicit-def: $vgpr28_vgpr29
                                        ; implicit-def: $vgpr30_vgpr31
                                        ; implicit-def: $vgpr32_vgpr33
                                        ; implicit-def: $vgpr34_vgpr35
                                        ; implicit-def: $vgpr36_vgpr37
                                        ; implicit-def: $vgpr38_vgpr39
                                        ; implicit-def: $vgpr40_vgpr41
                                        ; implicit-def: $vgpr42_vgpr43
                                        ; implicit-def: $vgpr44_vgpr45
                                        ; implicit-def: $vgpr46_vgpr47
                                        ; implicit-def: $vgpr48_vgpr49
                                        ; implicit-def: $vgpr50_vgpr51
                                        ; implicit-def: $vgpr52_vgpr53
                                        ; implicit-def: $sgpr6_sgpr7
	s_and_b64 vcc, exec, s[4:5]
	s_cbranch_vccz .LBB105_148
	s_branch .LBB105_143
.LBB105_72:
	s_or_b64 exec, exec, s[56:57]
                                        ; implicit-def: $vgpr12
	s_and_saveexec_b64 s[4:5], s[6:7]
	s_cbranch_execz .LBB105_51
.LBB105_73:
	global_load_dword v12, v[10:11], off offset:1024
	s_or_b64 exec, exec, s[4:5]
                                        ; implicit-def: $vgpr13
	s_and_saveexec_b64 s[4:5], s[8:9]
	s_cbranch_execnz .LBB105_52
.LBB105_74:
	s_or_b64 exec, exec, s[4:5]
                                        ; implicit-def: $vgpr14
	s_and_saveexec_b64 s[4:5], s[10:11]
	s_cbranch_execz .LBB105_53
.LBB105_75:
	global_load_dword v14, v[10:11], off offset:3072
	s_or_b64 exec, exec, s[4:5]
                                        ; implicit-def: $vgpr15
	s_and_saveexec_b64 s[4:5], s[12:13]
	s_cbranch_execnz .LBB105_54
.LBB105_76:
	s_or_b64 exec, exec, s[4:5]
                                        ; implicit-def: $vgpr16
	s_and_saveexec_b64 s[4:5], s[14:15]
	s_cbranch_execz .LBB105_55
.LBB105_77:
	v_add_co_u32_e32 v16, vcc, 0x1000, v10
	s_nop 1
	v_addc_co_u32_e32 v17, vcc, 0, v11, vcc
	global_load_dword v16, v[16:17], off offset:1024
	s_or_b64 exec, exec, s[4:5]
                                        ; implicit-def: $vgpr17
	s_and_saveexec_b64 s[4:5], s[16:17]
	s_cbranch_execnz .LBB105_56
.LBB105_78:
	s_or_b64 exec, exec, s[4:5]
                                        ; implicit-def: $vgpr18
	s_and_saveexec_b64 s[4:5], s[18:19]
	s_cbranch_execz .LBB105_57
.LBB105_79:
	v_add_co_u32_e32 v18, vcc, 0x1000, v10
	s_nop 1
	v_addc_co_u32_e32 v19, vcc, 0, v11, vcc
	global_load_dword v18, v[18:19], off offset:3072
	s_or_b64 exec, exec, s[4:5]
                                        ; implicit-def: $vgpr19
	s_and_saveexec_b64 s[4:5], s[20:21]
	s_cbranch_execnz .LBB105_58
.LBB105_80:
	s_or_b64 exec, exec, s[4:5]
                                        ; implicit-def: $vgpr20
	s_and_saveexec_b64 s[4:5], s[22:23]
	s_cbranch_execz .LBB105_59
.LBB105_81:
	v_add_co_u32_e32 v20, vcc, 0x2000, v10
	s_nop 1
	v_addc_co_u32_e32 v21, vcc, 0, v11, vcc
	global_load_dword v20, v[20:21], off offset:1024
	s_or_b64 exec, exec, s[4:5]
                                        ; implicit-def: $vgpr21
	s_and_saveexec_b64 s[4:5], s[24:25]
	s_cbranch_execnz .LBB105_60
.LBB105_82:
	s_or_b64 exec, exec, s[4:5]
                                        ; implicit-def: $vgpr22
	s_and_saveexec_b64 s[4:5], s[26:27]
	s_cbranch_execz .LBB105_61
.LBB105_83:
	v_add_co_u32_e32 v22, vcc, 0x2000, v10
	s_nop 1
	v_addc_co_u32_e32 v23, vcc, 0, v11, vcc
	global_load_dword v22, v[22:23], off offset:3072
	s_or_b64 exec, exec, s[4:5]
                                        ; implicit-def: $vgpr23
	s_and_saveexec_b64 s[4:5], s[28:29]
	s_cbranch_execnz .LBB105_62
.LBB105_84:
	s_or_b64 exec, exec, s[4:5]
                                        ; implicit-def: $vgpr24
	s_and_saveexec_b64 s[4:5], s[30:31]
	s_cbranch_execz .LBB105_63
.LBB105_85:
	v_add_co_u32_e32 v24, vcc, 0x3000, v10
	s_nop 1
	v_addc_co_u32_e32 v25, vcc, 0, v11, vcc
	global_load_dword v24, v[24:25], off offset:1024
	s_or_b64 exec, exec, s[4:5]
                                        ; implicit-def: $vgpr25
	s_and_saveexec_b64 s[4:5], s[34:35]
	s_cbranch_execnz .LBB105_64
.LBB105_86:
	s_or_b64 exec, exec, s[4:5]
                                        ; implicit-def: $vgpr26
	s_and_saveexec_b64 s[4:5], s[36:37]
	s_cbranch_execz .LBB105_65
.LBB105_87:
	v_add_co_u32_e32 v26, vcc, 0x3000, v10
	s_nop 1
	v_addc_co_u32_e32 v27, vcc, 0, v11, vcc
	global_load_dword v26, v[26:27], off offset:3072
	s_or_b64 exec, exec, s[4:5]
                                        ; implicit-def: $vgpr27
	s_and_saveexec_b64 s[4:5], s[38:39]
	s_cbranch_execnz .LBB105_66
.LBB105_88:
	s_or_b64 exec, exec, s[4:5]
                                        ; implicit-def: $vgpr28
	s_and_saveexec_b64 s[4:5], s[40:41]
	s_cbranch_execz .LBB105_67
.LBB105_89:
	v_add_co_u32_e32 v28, vcc, 0x4000, v10
	s_nop 1
	v_addc_co_u32_e32 v29, vcc, 0, v11, vcc
	global_load_dword v28, v[28:29], off offset:1024
	s_or_b64 exec, exec, s[4:5]
                                        ; implicit-def: $vgpr29
	s_and_saveexec_b64 s[4:5], s[42:43]
	s_cbranch_execnz .LBB105_68
.LBB105_90:
	s_or_b64 exec, exec, s[4:5]
                                        ; implicit-def: $vgpr30
	s_and_saveexec_b64 s[4:5], s[44:45]
	s_cbranch_execz .LBB105_69
.LBB105_91:
	v_add_co_u32_e32 v30, vcc, 0x4000, v10
	s_nop 1
	v_addc_co_u32_e32 v31, vcc, 0, v11, vcc
	global_load_dword v30, v[30:31], off offset:3072
	s_or_b64 exec, exec, s[4:5]
                                        ; implicit-def: $vgpr31
	s_and_saveexec_b64 s[4:5], s[46:47]
	s_cbranch_execnz .LBB105_70
.LBB105_92:
	s_or_b64 exec, exec, s[4:5]
                                        ; implicit-def: $vgpr32
	s_and_saveexec_b64 s[4:5], s[48:49]
	s_cbranch_execz .LBB105_94
.LBB105_93:
	v_add_co_u32_e32 v32, vcc, 0x5000, v10
	s_nop 1
	v_addc_co_u32_e32 v33, vcc, 0, v11, vcc
	global_load_dword v32, v[32:33], off offset:1024
.LBB105_94:
	s_or_b64 exec, exec, s[4:5]
	v_mul_u32_u24_e32 v71, 23, v0
                                        ; implicit-def: $vgpr33
	s_and_saveexec_b64 s[4:5], s[50:51]
	s_cbranch_execz .LBB105_96
; %bb.95:
	v_add_co_u32_e32 v10, vcc, 0x5000, v10
	s_nop 1
	v_addc_co_u32_e32 v11, vcc, 0, v11, vcc
	global_load_dword v33, v[10:11], off offset:2048
.LBB105_96:
	s_or_b64 exec, exec, s[4:5]
	v_mov_b64_e32 v[10:11], 0
	s_waitcnt vmcnt(0)
	ds_write2st64_b32 v2, v3, v12 offset1:4
	ds_write2st64_b32 v2, v13, v14 offset0:8 offset1:12
	ds_write2st64_b32 v2, v15, v16 offset0:16 offset1:20
	;; [unrolled: 1-line block ×10, first 2 shown]
	ds_write_b32 v2, v33 offset:22528
	v_cmp_gt_u32_e32 vcc, s3, v71
	s_mov_b64 s[10:11], 0
	s_mov_b64 s[4:5], 0
	v_mov_b64_e32 v[12:13], v[10:11]
	v_mov_b64_e32 v[14:15], v[10:11]
	;; [unrolled: 1-line block ×21, first 2 shown]
	s_waitcnt lgkmcnt(0)
	s_barrier
	s_waitcnt lgkmcnt(0)
                                        ; implicit-def: $sgpr8_sgpr9
                                        ; implicit-def: $vgpr2
	s_and_saveexec_b64 s[6:7], vcc
	s_cbranch_execz .LBB105_142
; %bb.97:
	ds_read_b32 v2, v70
	v_mov_b32_e32 v10, s76
	v_cmp_eq_u32_e32 vcc, v72, v68
	v_add_u32_e32 v3, 1, v71
	v_mov_b64_e32 v[12:13], 0
	s_waitcnt lgkmcnt(0)
	v_cndmask_b32_e32 v10, v10, v2, vcc
	v_cmp_ne_u32_e32 vcc, v72, v68
	s_mov_b64 s[12:13], 0
	v_mov_b64_e32 v[14:15], v[12:13]
	v_cndmask_b32_e64 v11, 0, 1, vcc
	v_cmp_gt_u32_e32 vcc, s3, v3
	v_mov_b64_e32 v[16:17], v[12:13]
	v_mov_b64_e32 v[18:19], v[12:13]
	;; [unrolled: 1-line block ×19, first 2 shown]
                                        ; implicit-def: $sgpr14_sgpr15
                                        ; implicit-def: $vgpr2
	s_and_saveexec_b64 s[8:9], vcc
	s_cbranch_execz .LBB105_141
; %bb.98:
	ds_read2_b32 v[2:3], v70 offset0:1 offset1:2
	v_mov_b32_e32 v12, s76
	v_cmp_eq_u32_e32 vcc, v68, v69
	v_add_u32_e32 v14, 2, v71
	s_mov_b64 s[14:15], 0
	s_waitcnt lgkmcnt(0)
	v_cndmask_b32_e32 v12, v12, v2, vcc
	v_cmp_ne_u32_e32 vcc, v68, v69
                                        ; implicit-def: $sgpr16_sgpr17
                                        ; implicit-def: $vgpr2
	s_nop 1
	v_cndmask_b32_e64 v13, 0, 1, vcc
	v_cmp_gt_u32_e32 vcc, s3, v14
	v_mov_b64_e32 v[14:15], 0
	v_mov_b64_e32 v[16:17], v[14:15]
	;; [unrolled: 1-line block ×20, first 2 shown]
	s_and_saveexec_b64 s[10:11], vcc
	s_cbranch_execz .LBB105_140
; %bb.99:
	v_mov_b32_e32 v14, s76
	v_cmp_eq_u32_e32 vcc, v69, v66
	v_add_u32_e32 v2, 3, v71
	v_mov_b64_e32 v[16:17], 0
	v_cndmask_b32_e32 v14, v14, v3, vcc
	v_cmp_ne_u32_e32 vcc, v69, v66
	s_mov_b64 s[16:17], 0
	v_mov_b64_e32 v[18:19], v[16:17]
	v_cndmask_b32_e64 v15, 0, 1, vcc
	v_cmp_gt_u32_e32 vcc, s3, v2
	v_mov_b64_e32 v[20:21], v[16:17]
	v_mov_b64_e32 v[22:23], v[16:17]
	;; [unrolled: 1-line block ×17, first 2 shown]
                                        ; implicit-def: $sgpr18_sgpr19
                                        ; implicit-def: $vgpr2
	s_and_saveexec_b64 s[12:13], vcc
	s_cbranch_execz .LBB105_139
; %bb.100:
	ds_read2_b32 v[2:3], v70 offset0:3 offset1:4
	v_mov_b32_e32 v16, s76
	v_cmp_eq_u32_e32 vcc, v66, v67
	v_add_u32_e32 v18, 4, v71
	s_mov_b64 s[18:19], 0
	s_waitcnt lgkmcnt(0)
	v_cndmask_b32_e32 v16, v16, v2, vcc
	v_cmp_ne_u32_e32 vcc, v66, v67
                                        ; implicit-def: $sgpr20_sgpr21
                                        ; implicit-def: $vgpr2
	s_nop 1
	v_cndmask_b32_e64 v17, 0, 1, vcc
	v_cmp_gt_u32_e32 vcc, s3, v18
	v_mov_b64_e32 v[18:19], 0
	v_mov_b64_e32 v[20:21], v[18:19]
	v_mov_b64_e32 v[22:23], v[18:19]
	v_mov_b64_e32 v[24:25], v[18:19]
	v_mov_b64_e32 v[26:27], v[18:19]
	v_mov_b64_e32 v[28:29], v[18:19]
	v_mov_b64_e32 v[30:31], v[18:19]
	v_mov_b64_e32 v[32:33], v[18:19]
	v_mov_b64_e32 v[34:35], v[18:19]
	v_mov_b64_e32 v[36:37], v[18:19]
	v_mov_b64_e32 v[38:39], v[18:19]
	v_mov_b64_e32 v[40:41], v[18:19]
	v_mov_b64_e32 v[42:43], v[18:19]
	v_mov_b64_e32 v[44:45], v[18:19]
	v_mov_b64_e32 v[46:47], v[18:19]
	v_mov_b64_e32 v[48:49], v[18:19]
	v_mov_b64_e32 v[50:51], v[18:19]
	v_mov_b64_e32 v[52:53], v[18:19]
	s_and_saveexec_b64 s[14:15], vcc
	s_cbranch_execz .LBB105_138
; %bb.101:
	v_mov_b32_e32 v18, s76
	v_cmp_eq_u32_e32 vcc, v67, v64
	v_add_u32_e32 v2, 5, v71
	v_mov_b64_e32 v[20:21], 0
	v_cndmask_b32_e32 v18, v18, v3, vcc
	v_cmp_ne_u32_e32 vcc, v67, v64
	s_mov_b64 s[20:21], 0
	v_mov_b64_e32 v[22:23], v[20:21]
	v_cndmask_b32_e64 v19, 0, 1, vcc
	v_cmp_gt_u32_e32 vcc, s3, v2
	v_mov_b64_e32 v[24:25], v[20:21]
	v_mov_b64_e32 v[26:27], v[20:21]
	;; [unrolled: 1-line block ×15, first 2 shown]
                                        ; implicit-def: $sgpr22_sgpr23
                                        ; implicit-def: $vgpr2
	s_and_saveexec_b64 s[16:17], vcc
	s_cbranch_execz .LBB105_137
; %bb.102:
	ds_read2_b32 v[2:3], v70 offset0:5 offset1:6
	v_mov_b32_e32 v20, s76
	v_cmp_eq_u32_e32 vcc, v64, v65
	v_add_u32_e32 v22, 6, v71
	s_mov_b64 s[22:23], 0
	s_waitcnt lgkmcnt(0)
	v_cndmask_b32_e32 v20, v20, v2, vcc
	v_cmp_ne_u32_e32 vcc, v64, v65
                                        ; implicit-def: $sgpr24_sgpr25
                                        ; implicit-def: $vgpr2
	s_nop 1
	v_cndmask_b32_e64 v21, 0, 1, vcc
	v_cmp_gt_u32_e32 vcc, s3, v22
	v_mov_b64_e32 v[22:23], 0
	v_mov_b64_e32 v[24:25], v[22:23]
	;; [unrolled: 1-line block ×16, first 2 shown]
	s_and_saveexec_b64 s[18:19], vcc
	s_cbranch_execz .LBB105_136
; %bb.103:
	v_mov_b32_e32 v22, s76
	v_cmp_eq_u32_e32 vcc, v65, v62
	v_add_u32_e32 v2, 7, v71
	v_mov_b64_e32 v[24:25], 0
	v_cndmask_b32_e32 v22, v22, v3, vcc
	v_cmp_ne_u32_e32 vcc, v65, v62
	s_mov_b64 s[24:25], 0
	v_mov_b64_e32 v[26:27], v[24:25]
	v_cndmask_b32_e64 v23, 0, 1, vcc
	v_cmp_gt_u32_e32 vcc, s3, v2
	v_mov_b64_e32 v[28:29], v[24:25]
	v_mov_b64_e32 v[30:31], v[24:25]
	;; [unrolled: 1-line block ×13, first 2 shown]
                                        ; implicit-def: $sgpr26_sgpr27
                                        ; implicit-def: $vgpr2
	s_and_saveexec_b64 s[20:21], vcc
	s_cbranch_execz .LBB105_135
; %bb.104:
	ds_read2_b32 v[2:3], v70 offset0:7 offset1:8
	v_mov_b32_e32 v24, s76
	v_cmp_eq_u32_e32 vcc, v62, v63
	v_add_u32_e32 v26, 8, v71
	s_mov_b64 s[26:27], 0
	s_waitcnt lgkmcnt(0)
	v_cndmask_b32_e32 v24, v24, v2, vcc
	v_cmp_ne_u32_e32 vcc, v62, v63
                                        ; implicit-def: $sgpr28_sgpr29
                                        ; implicit-def: $vgpr2
	s_nop 1
	v_cndmask_b32_e64 v25, 0, 1, vcc
	v_cmp_gt_u32_e32 vcc, s3, v26
	v_mov_b64_e32 v[26:27], 0
	v_mov_b64_e32 v[28:29], v[26:27]
	;; [unrolled: 1-line block ×14, first 2 shown]
	s_and_saveexec_b64 s[22:23], vcc
	s_cbranch_execz .LBB105_134
; %bb.105:
	v_mov_b32_e32 v26, s76
	v_cmp_eq_u32_e32 vcc, v63, v60
	v_add_u32_e32 v2, 9, v71
	v_mov_b64_e32 v[28:29], 0
	v_cndmask_b32_e32 v26, v26, v3, vcc
	v_cmp_ne_u32_e32 vcc, v63, v60
	s_mov_b64 s[28:29], 0
	v_mov_b64_e32 v[30:31], v[28:29]
	v_cndmask_b32_e64 v27, 0, 1, vcc
	v_cmp_gt_u32_e32 vcc, s3, v2
	v_mov_b64_e32 v[32:33], v[28:29]
	v_mov_b64_e32 v[34:35], v[28:29]
	;; [unrolled: 1-line block ×11, first 2 shown]
                                        ; implicit-def: $sgpr30_sgpr31
                                        ; implicit-def: $vgpr2
	s_and_saveexec_b64 s[24:25], vcc
	s_cbranch_execz .LBB105_133
; %bb.106:
	ds_read2_b32 v[2:3], v70 offset0:9 offset1:10
	v_mov_b32_e32 v28, s76
	v_cmp_eq_u32_e32 vcc, v60, v61
	v_add_u32_e32 v30, 10, v71
	s_mov_b64 s[30:31], 0
	s_waitcnt lgkmcnt(0)
	v_cndmask_b32_e32 v28, v28, v2, vcc
	v_cmp_ne_u32_e32 vcc, v60, v61
                                        ; implicit-def: $sgpr34_sgpr35
                                        ; implicit-def: $vgpr2
	s_nop 1
	v_cndmask_b32_e64 v29, 0, 1, vcc
	v_cmp_gt_u32_e32 vcc, s3, v30
	v_mov_b64_e32 v[30:31], 0
	v_mov_b64_e32 v[32:33], v[30:31]
	v_mov_b64_e32 v[34:35], v[30:31]
	v_mov_b64_e32 v[36:37], v[30:31]
	v_mov_b64_e32 v[38:39], v[30:31]
	v_mov_b64_e32 v[40:41], v[30:31]
	v_mov_b64_e32 v[42:43], v[30:31]
	v_mov_b64_e32 v[44:45], v[30:31]
	v_mov_b64_e32 v[46:47], v[30:31]
	v_mov_b64_e32 v[48:49], v[30:31]
	v_mov_b64_e32 v[50:51], v[30:31]
	v_mov_b64_e32 v[52:53], v[30:31]
	s_and_saveexec_b64 s[26:27], vcc
	s_cbranch_execz .LBB105_132
; %bb.107:
	v_mov_b32_e32 v30, s76
	v_cmp_eq_u32_e32 vcc, v61, v58
	v_add_u32_e32 v2, 11, v71
	v_mov_b64_e32 v[32:33], 0
	v_cndmask_b32_e32 v30, v30, v3, vcc
	v_cmp_ne_u32_e32 vcc, v61, v58
	s_mov_b64 s[34:35], 0
	v_mov_b64_e32 v[34:35], v[32:33]
	v_cndmask_b32_e64 v31, 0, 1, vcc
	v_cmp_gt_u32_e32 vcc, s3, v2
	v_mov_b64_e32 v[36:37], v[32:33]
	v_mov_b64_e32 v[38:39], v[32:33]
	;; [unrolled: 1-line block ×9, first 2 shown]
                                        ; implicit-def: $sgpr36_sgpr37
                                        ; implicit-def: $vgpr2
	s_and_saveexec_b64 s[28:29], vcc
	s_cbranch_execz .LBB105_131
; %bb.108:
	ds_read2_b32 v[2:3], v70 offset0:11 offset1:12
	v_mov_b32_e32 v32, s76
	v_cmp_eq_u32_e32 vcc, v58, v59
	v_add_u32_e32 v34, 12, v71
	s_mov_b64 s[36:37], 0
	s_waitcnt lgkmcnt(0)
	v_cndmask_b32_e32 v32, v32, v2, vcc
	v_cmp_ne_u32_e32 vcc, v58, v59
                                        ; implicit-def: $sgpr38_sgpr39
                                        ; implicit-def: $vgpr2
	s_nop 1
	v_cndmask_b32_e64 v33, 0, 1, vcc
	v_cmp_gt_u32_e32 vcc, s3, v34
	v_mov_b64_e32 v[34:35], 0
	v_mov_b64_e32 v[36:37], v[34:35]
	;; [unrolled: 1-line block ×10, first 2 shown]
	s_and_saveexec_b64 s[30:31], vcc
	s_cbranch_execz .LBB105_130
; %bb.109:
	v_mov_b32_e32 v34, s76
	v_cmp_eq_u32_e32 vcc, v59, v56
	v_add_u32_e32 v2, 13, v71
	v_mov_b64_e32 v[36:37], 0
	v_cndmask_b32_e32 v34, v34, v3, vcc
	v_cmp_ne_u32_e32 vcc, v59, v56
	s_mov_b64 s[38:39], 0
	v_mov_b64_e32 v[38:39], v[36:37]
	v_cndmask_b32_e64 v35, 0, 1, vcc
	v_cmp_gt_u32_e32 vcc, s3, v2
	v_mov_b64_e32 v[40:41], v[36:37]
	v_mov_b64_e32 v[42:43], v[36:37]
	;; [unrolled: 1-line block ×7, first 2 shown]
                                        ; implicit-def: $sgpr40_sgpr41
                                        ; implicit-def: $vgpr2
	s_and_saveexec_b64 s[34:35], vcc
	s_cbranch_execz .LBB105_129
; %bb.110:
	ds_read2_b32 v[2:3], v70 offset0:13 offset1:14
	v_mov_b32_e32 v36, s76
	v_cmp_eq_u32_e32 vcc, v56, v57
	v_add_u32_e32 v38, 14, v71
	s_mov_b64 s[40:41], 0
	s_waitcnt lgkmcnt(0)
	v_cndmask_b32_e32 v36, v36, v2, vcc
	v_cmp_ne_u32_e32 vcc, v56, v57
                                        ; implicit-def: $sgpr42_sgpr43
                                        ; implicit-def: $vgpr2
	s_nop 1
	v_cndmask_b32_e64 v37, 0, 1, vcc
	v_cmp_gt_u32_e32 vcc, s3, v38
	v_mov_b64_e32 v[38:39], 0
	v_mov_b64_e32 v[40:41], v[38:39]
	;; [unrolled: 1-line block ×8, first 2 shown]
	s_and_saveexec_b64 s[36:37], vcc
	s_cbranch_execz .LBB105_128
; %bb.111:
	v_mov_b32_e32 v38, s76
	v_cmp_eq_u32_e32 vcc, v57, v54
	v_add_u32_e32 v2, 15, v71
	v_mov_b64_e32 v[40:41], 0
	v_cndmask_b32_e32 v38, v38, v3, vcc
	v_cmp_ne_u32_e32 vcc, v57, v54
	s_mov_b64 s[42:43], 0
	v_mov_b64_e32 v[42:43], v[40:41]
	v_cndmask_b32_e64 v39, 0, 1, vcc
	v_cmp_gt_u32_e32 vcc, s3, v2
	v_mov_b64_e32 v[44:45], v[40:41]
	v_mov_b64_e32 v[46:47], v[40:41]
	;; [unrolled: 1-line block ×5, first 2 shown]
                                        ; implicit-def: $sgpr44_sgpr45
                                        ; implicit-def: $vgpr2
	s_and_saveexec_b64 s[38:39], vcc
	s_cbranch_execz .LBB105_127
; %bb.112:
	ds_read2_b32 v[2:3], v70 offset0:15 offset1:16
	v_mov_b32_e32 v40, s76
	v_cmp_eq_u32_e32 vcc, v54, v55
	v_add_u32_e32 v42, 16, v71
	s_mov_b64 s[44:45], 0
	s_waitcnt lgkmcnt(0)
	v_cndmask_b32_e32 v40, v40, v2, vcc
	v_cmp_ne_u32_e32 vcc, v54, v55
                                        ; implicit-def: $sgpr46_sgpr47
                                        ; implicit-def: $vgpr2
	s_nop 1
	v_cndmask_b32_e64 v41, 0, 1, vcc
	v_cmp_gt_u32_e32 vcc, s3, v42
	v_mov_b64_e32 v[42:43], 0
	v_mov_b64_e32 v[44:45], v[42:43]
	v_mov_b64_e32 v[46:47], v[42:43]
	v_mov_b64_e32 v[48:49], v[42:43]
	v_mov_b64_e32 v[50:51], v[42:43]
	v_mov_b64_e32 v[52:53], v[42:43]
	s_and_saveexec_b64 s[40:41], vcc
	s_cbranch_execz .LBB105_126
; %bb.113:
	v_mov_b32_e32 v42, s76
	v_cmp_eq_u32_e32 vcc, v55, v8
	v_add_u32_e32 v2, 17, v71
	v_mov_b64_e32 v[44:45], 0
	v_cndmask_b32_e32 v42, v42, v3, vcc
	v_cmp_ne_u32_e32 vcc, v55, v8
	s_mov_b64 s[46:47], 0
	v_mov_b64_e32 v[46:47], v[44:45]
	v_cndmask_b32_e64 v43, 0, 1, vcc
	v_cmp_gt_u32_e32 vcc, s3, v2
	v_mov_b64_e32 v[48:49], v[44:45]
	v_mov_b64_e32 v[50:51], v[44:45]
	;; [unrolled: 1-line block ×3, first 2 shown]
                                        ; implicit-def: $sgpr48_sgpr49
                                        ; implicit-def: $vgpr2
	s_and_saveexec_b64 s[42:43], vcc
	s_cbranch_execz .LBB105_125
; %bb.114:
	ds_read2_b32 v[2:3], v70 offset0:17 offset1:18
	v_mov_b32_e32 v44, s76
	v_cmp_eq_u32_e32 vcc, v8, v9
	v_add_u32_e32 v46, 18, v71
	s_mov_b64 s[48:49], 0
	s_waitcnt lgkmcnt(0)
	v_cndmask_b32_e32 v44, v44, v2, vcc
	v_cmp_ne_u32_e32 vcc, v8, v9
                                        ; implicit-def: $sgpr50_sgpr51
                                        ; implicit-def: $vgpr2
	s_nop 1
	v_cndmask_b32_e64 v45, 0, 1, vcc
	v_cmp_gt_u32_e32 vcc, s3, v46
	v_mov_b64_e32 v[46:47], 0
	v_mov_b64_e32 v[48:49], v[46:47]
	;; [unrolled: 1-line block ×4, first 2 shown]
	s_and_saveexec_b64 s[44:45], vcc
	s_cbranch_execz .LBB105_124
; %bb.115:
	v_mov_b32_e32 v8, s76
	v_cmp_eq_u32_e32 vcc, v9, v6
	v_add_u32_e32 v2, 19, v71
	v_mov_b64_e32 v[48:49], 0
	v_cndmask_b32_e32 v46, v8, v3, vcc
	v_cmp_ne_u32_e32 vcc, v9, v6
	s_mov_b64 s[50:51], 0
	v_mov_b64_e32 v[50:51], v[48:49]
	v_cndmask_b32_e64 v47, 0, 1, vcc
	v_cmp_gt_u32_e32 vcc, s3, v2
	v_mov_b64_e32 v[52:53], v[48:49]
                                        ; implicit-def: $sgpr56_sgpr57
                                        ; implicit-def: $vgpr2
	s_and_saveexec_b64 s[46:47], vcc
	s_cbranch_execz .LBB105_123
; %bb.116:
	ds_read2_b32 v[2:3], v70 offset0:19 offset1:20
	v_mov_b32_e32 v9, s76
	v_cmp_eq_u32_e32 vcc, v6, v7
	v_add_u32_e32 v8, 20, v71
	v_mov_b64_e32 v[50:51], 0
	s_waitcnt lgkmcnt(0)
	v_cndmask_b32_e32 v48, v9, v2, vcc
	v_cmp_ne_u32_e32 vcc, v6, v7
	s_mov_b64 s[56:57], 0
	v_mov_b64_e32 v[52:53], v[50:51]
	v_cndmask_b32_e64 v49, 0, 1, vcc
	v_cmp_gt_u32_e32 vcc, s3, v8
                                        ; implicit-def: $sgpr58_sgpr59
                                        ; implicit-def: $vgpr2
	s_and_saveexec_b64 s[48:49], vcc
	s_cbranch_execz .LBB105_122
; %bb.117:
	v_mov_b32_e32 v6, s76
	v_cmp_eq_u32_e32 vcc, v7, v4
	v_add_u32_e32 v2, 21, v71
	v_mov_b64_e32 v[52:53], 0
	v_cndmask_b32_e32 v50, v6, v3, vcc
	v_cmp_ne_u32_e32 vcc, v7, v4
                                        ; implicit-def: $sgpr58_sgpr59
	s_nop 1
	v_cndmask_b32_e64 v51, 0, 1, vcc
	v_cmp_gt_u32_e32 vcc, s3, v2
                                        ; implicit-def: $vgpr2
	s_and_saveexec_b64 s[50:51], vcc
	s_cbranch_execz .LBB105_121
; %bb.118:
	ds_read2_b32 v[2:3], v70 offset0:21 offset1:22
	v_mov_b32_e32 v7, s76
	v_cmp_eq_u32_e32 vcc, v4, v5
	v_add_u32_e32 v6, 22, v71
                                        ; implicit-def: $sgpr58_sgpr59
	s_waitcnt lgkmcnt(0)
	v_cndmask_b32_e32 v52, v7, v2, vcc
	v_cmp_ne_u32_e32 vcc, v4, v5
                                        ; implicit-def: $vgpr2
	s_nop 1
	v_cndmask_b32_e64 v53, 0, 1, vcc
	v_cmp_gt_u32_e32 vcc, s3, v6
	s_and_saveexec_b64 s[62:63], vcc
	s_xor_b64 s[62:63], exec, s[62:63]
; %bb.119:
	v_mov_b32_e32 v2, s76
	v_cmp_ne_u32_e32 vcc, v5, v1
	s_mov_b64 s[56:57], exec
	s_and_b64 s[58:59], vcc, exec
	v_cndmask_b32_e32 v2, v3, v2, vcc
; %bb.120:
	s_or_b64 exec, exec, s[62:63]
	s_and_b64 s[58:59], s[58:59], exec
	s_and_b64 s[56:57], s[56:57], exec
.LBB105_121:
	s_or_b64 exec, exec, s[50:51]
	s_and_b64 s[58:59], s[58:59], exec
	s_and_b64 s[50:51], s[56:57], exec
.LBB105_122:
	s_or_b64 exec, exec, s[48:49]
	s_and_b64 s[56:57], s[58:59], exec
	s_and_b64 s[48:49], s[50:51], exec
.LBB105_123:
	s_or_b64 exec, exec, s[46:47]
	s_and_b64 s[50:51], s[56:57], exec
	s_and_b64 s[46:47], s[48:49], exec
.LBB105_124:
	s_or_b64 exec, exec, s[44:45]
	s_and_b64 s[48:49], s[50:51], exec
	s_and_b64 s[44:45], s[46:47], exec
.LBB105_125:
	s_or_b64 exec, exec, s[42:43]
	s_and_b64 s[46:47], s[48:49], exec
	s_and_b64 s[42:43], s[44:45], exec
.LBB105_126:
	s_or_b64 exec, exec, s[40:41]
	s_and_b64 s[44:45], s[46:47], exec
	s_and_b64 s[40:41], s[42:43], exec
.LBB105_127:
	s_or_b64 exec, exec, s[38:39]
	s_and_b64 s[42:43], s[44:45], exec
	s_and_b64 s[38:39], s[40:41], exec
.LBB105_128:
	s_or_b64 exec, exec, s[36:37]
	s_and_b64 s[40:41], s[42:43], exec
	s_and_b64 s[36:37], s[38:39], exec
.LBB105_129:
	s_or_b64 exec, exec, s[34:35]
	s_and_b64 s[38:39], s[40:41], exec
	s_and_b64 s[34:35], s[36:37], exec
.LBB105_130:
	s_or_b64 exec, exec, s[30:31]
	s_and_b64 s[36:37], s[38:39], exec
	s_and_b64 s[30:31], s[34:35], exec
.LBB105_131:
	s_or_b64 exec, exec, s[28:29]
	s_and_b64 s[34:35], s[36:37], exec
	s_and_b64 s[28:29], s[30:31], exec
.LBB105_132:
	s_or_b64 exec, exec, s[26:27]
	s_and_b64 s[30:31], s[34:35], exec
	s_and_b64 s[26:27], s[28:29], exec
.LBB105_133:
	s_or_b64 exec, exec, s[24:25]
	s_and_b64 s[28:29], s[30:31], exec
	s_and_b64 s[24:25], s[26:27], exec
.LBB105_134:
	s_or_b64 exec, exec, s[22:23]
	s_and_b64 s[26:27], s[28:29], exec
	s_and_b64 s[22:23], s[24:25], exec
.LBB105_135:
	s_or_b64 exec, exec, s[20:21]
	s_and_b64 s[24:25], s[26:27], exec
	s_and_b64 s[20:21], s[22:23], exec
.LBB105_136:
	s_or_b64 exec, exec, s[18:19]
	s_and_b64 s[22:23], s[24:25], exec
	s_and_b64 s[18:19], s[20:21], exec
.LBB105_137:
	s_or_b64 exec, exec, s[16:17]
	s_and_b64 s[20:21], s[22:23], exec
	s_and_b64 s[16:17], s[18:19], exec
.LBB105_138:
	s_or_b64 exec, exec, s[14:15]
	s_and_b64 s[18:19], s[20:21], exec
	s_and_b64 s[14:15], s[16:17], exec
.LBB105_139:
	s_or_b64 exec, exec, s[12:13]
	s_and_b64 s[16:17], s[18:19], exec
	s_and_b64 s[12:13], s[14:15], exec
.LBB105_140:
	s_or_b64 exec, exec, s[10:11]
	s_and_b64 s[14:15], s[16:17], exec
	s_and_b64 s[10:11], s[12:13], exec
.LBB105_141:
	s_or_b64 exec, exec, s[8:9]
	s_and_b64 s[8:9], s[14:15], exec
	s_and_b64 s[10:11], s[10:11], exec
.LBB105_142:
	s_or_b64 exec, exec, s[6:7]
	s_mov_b64 s[6:7], 0
	s_and_b64 vcc, exec, s[4:5]
	s_cbranch_vccz .LBB105_148
.LBB105_143:
	v_mov_b32_e32 v11, 0
	v_lshlrev_b32_e32 v10, 2, v0
	v_lshl_add_u64 v[2:3], s[54:55], 0, v[10:11]
	v_add_co_u32_e32 v4, vcc, 0x1000, v2
	global_load_dword v1, v10, s[54:55]
	global_load_dword v8, v10, s[54:55] offset:1024
	global_load_dword v9, v10, s[54:55] offset:2048
	;; [unrolled: 1-line block ×3, first 2 shown]
	v_addc_co_u32_e32 v5, vcc, 0, v3, vcc
	v_add_co_u32_e32 v6, vcc, 0x2000, v2
	s_movk_i32 s6, 0x58
	s_nop 0
	v_addc_co_u32_e32 v7, vcc, 0, v3, vcc
	global_load_dword v14, v[4:5], off
	global_load_dword v15, v[4:5], off offset:1024
	global_load_dword v16, v[4:5], off offset:2048
	;; [unrolled: 1-line block ×3, first 2 shown]
	global_load_dword v18, v[6:7], off
	global_load_dword v19, v[6:7], off offset:1024
	global_load_dword v20, v[6:7], off offset:2048
	;; [unrolled: 1-line block ×3, first 2 shown]
	v_add_co_u32_e32 v4, vcc, 0x3000, v2
	v_mad_u32_u24 v12, v0, s6, v10
	s_nop 0
	v_addc_co_u32_e32 v5, vcc, 0, v3, vcc
	v_add_co_u32_e32 v6, vcc, 0x4000, v2
	s_movk_i32 s7, 0xffa8
	s_nop 0
	v_addc_co_u32_e32 v7, vcc, 0, v3, vcc
	v_add_co_u32_e32 v2, vcc, 0x5000, v2
	global_load_dword v22, v[4:5], off
	global_load_dword v23, v[4:5], off offset:1024
	global_load_dword v24, v[4:5], off offset:2048
	;; [unrolled: 1-line block ×3, first 2 shown]
	global_load_dword v26, v[6:7], off
	global_load_dword v27, v[6:7], off offset:1024
	global_load_dword v28, v[6:7], off offset:2048
	;; [unrolled: 1-line block ×3, first 2 shown]
	v_addc_co_u32_e32 v3, vcc, 0, v3, vcc
	global_load_dword v4, v[2:3], off
	global_load_dword v5, v[2:3], off offset:1024
	global_load_dword v6, v[2:3], off offset:2048
	s_movk_i32 s11, 0xff
	s_movk_i32 s10, 0x1000
	s_mov_b32 s4, 0
	s_movk_i32 s9, 0x2000
	s_movk_i32 s8, 0x3000
	;; [unrolled: 1-line block ×4, first 2 shown]
	v_mad_i32_i24 v32, v0, s7, v12
	v_cmp_ne_u32_e32 vcc, s11, v0
	s_waitcnt vmcnt(21)
	ds_write2st64_b32 v10, v1, v8 offset1:4
	s_waitcnt vmcnt(19)
	ds_write2st64_b32 v10, v9, v13 offset0:8 offset1:12
	s_waitcnt vmcnt(17)
	ds_write2st64_b32 v10, v14, v15 offset0:16 offset1:20
	;; [unrolled: 2-line block ×10, first 2 shown]
	s_waitcnt vmcnt(0)
	ds_write_b32 v10, v6 offset:22528
	s_waitcnt lgkmcnt(0)
	s_barrier
	ds_read_b32 v13, v12
	ds_read2_b32 v[14:15], v12 offset0:1 offset1:2
	ds_read2_b32 v[18:19], v12 offset0:3 offset1:4
	;; [unrolled: 1-line block ×11, first 2 shown]
	s_load_dword s6, s[54:55], 0x5c00
	s_waitcnt lgkmcnt(0)
	ds_write_b32 v32, v13 offset:24576
	s_waitcnt lgkmcnt(0)
	s_barrier
	v_mov_b32_e32 v1, s6
	s_and_saveexec_b64 s[6:7], vcc
	s_cbranch_execz .LBB105_145
; %bb.144:
	ds_read_b32 v1, v10 offset:24580
.LBB105_145:
	s_or_b64 exec, exec, s[6:7]
	v_lshl_add_u64 v[16:17], s[52:53], 0, v[10:11]
	v_add_co_u32_e32 v20, vcc, s10, v16
	s_waitcnt lgkmcnt(0)
	s_nop 0
	v_addc_co_u32_e32 v21, vcc, 0, v17, vcc
	v_add_co_u32_e32 v24, vcc, s9, v16
	s_barrier
	s_nop 0
	v_addc_co_u32_e32 v25, vcc, 0, v17, vcc
	v_add_co_u32_e32 v28, vcc, s8, v16
	s_nop 1
	v_addc_co_u32_e32 v29, vcc, 0, v17, vcc
	v_add_co_u32_e32 v32, vcc, s5, v16
	global_load_dword v11, v10, s[52:53]
	global_load_dword v36, v10, s[52:53] offset:1024
	global_load_dword v37, v10, s[52:53] offset:2048
	;; [unrolled: 1-line block ×3, first 2 shown]
	global_load_dword v41, v[24:25], off offset:-4096
	global_load_dword v42, v[24:25], off
	global_load_dword v43, v[24:25], off offset:1024
	v_addc_co_u32_e32 v33, vcc, 0, v17, vcc
	v_add_co_u32_e32 v16, vcc, s3, v16
	global_load_dword v44, v[20:21], off offset:1024
	global_load_dword v45, v[20:21], off offset:2048
	;; [unrolled: 1-line block ×8, first 2 shown]
	global_load_dword v52, v[32:33], off offset:-4096
	global_load_dword v53, v[32:33], off
	global_load_dword v54, v[32:33], off offset:1024
	global_load_dword v55, v[32:33], off offset:2048
	global_load_dword v56, v[32:33], off offset:3072
	v_addc_co_u32_e32 v17, vcc, 0, v17, vcc
	global_load_dword v20, v[16:17], off
	global_load_dword v21, v[16:17], off offset:1024
	global_load_dword v24, v[16:17], off offset:2048
	s_mov_b32 s5, 1
	v_cmp_eq_u32_e32 vcc, v13, v14
	v_mov_b32_e32 v13, s76
	s_waitcnt vmcnt(21)
	ds_write2st64_b32 v10, v11, v36 offset1:4
	s_waitcnt vmcnt(19)
	ds_write2st64_b32 v10, v37, v40 offset0:8 offset1:12
	s_waitcnt vmcnt(13)
	ds_write2st64_b32 v10, v45, v46 offset0:24 offset1:28
	ds_write2st64_b32 v10, v41, v44 offset0:16 offset1:20
	;; [unrolled: 1-line block ×3, first 2 shown]
	s_waitcnt vmcnt(8)
	ds_write2st64_b32 v10, v50, v51 offset0:40 offset1:44
	ds_write2st64_b32 v10, v48, v49 offset0:56 offset1:60
	s_waitcnt vmcnt(7)
	ds_write2st64_b32 v10, v52, v47 offset0:48 offset1:52
	s_waitcnt vmcnt(5)
	;; [unrolled: 2-line block ×5, first 2 shown]
	ds_write_b32 v10, v24 offset:22528
	s_waitcnt lgkmcnt(0)
	s_barrier
	ds_read2_b32 v[16:17], v12 offset0:1 offset1:2
	ds_read2_b32 v[20:21], v12 offset0:3 offset1:4
	;; [unrolled: 1-line block ×11, first 2 shown]
	v_mov_b64_e32 v[10:11], s[4:5]
	s_and_saveexec_b64 s[4:5], vcc
	s_cbranch_execz .LBB105_147
; %bb.146:
	ds_read_b32 v13, v12
	v_mov_b64_e32 v[10:11], 0
.LBB105_147:
	s_or_b64 exec, exec, s[4:5]
	v_mov_b32_e32 v56, s76
	v_cmp_eq_u32_e32 vcc, v14, v15
	s_waitcnt lgkmcnt(0)
	v_or_b32_e32 v10, v10, v13
	v_cmp_ne_u32_e64 s[8:9], v3, v1
	v_cndmask_b32_e32 v12, v56, v16, vcc
	v_cmp_ne_u32_e32 vcc, v14, v15
	s_mov_b64 s[10:11], -1
                                        ; implicit-def: $sgpr6_sgpr7
	s_nop 0
	v_cndmask_b32_e64 v13, 0, 1, vcc
	v_cmp_eq_u32_e32 vcc, v15, v18
	s_nop 1
	v_cndmask_b32_e32 v14, v56, v17, vcc
	v_cmp_ne_u32_e32 vcc, v15, v18
	s_nop 1
	v_cndmask_b32_e64 v15, 0, 1, vcc
	v_cmp_eq_u32_e32 vcc, v18, v19
	s_nop 1
	v_cndmask_b32_e32 v16, v56, v20, vcc
	v_cmp_ne_u32_e32 vcc, v18, v19
	;; [unrolled: 6-line block ×20, first 2 shown]
	v_cndmask_b32_e64 v2, v55, v56, s[8:9]
	s_nop 0
	v_cndmask_b32_e64 v53, 0, 1, vcc
.LBB105_148:
	v_mov_b64_e32 v[54:55], s[6:7]
	s_and_saveexec_b64 s[4:5], s[10:11]
; %bb.149:
	v_cndmask_b32_e64 v3, 0, 1, s[8:9]
	v_mov_b64_e32 v[54:55], v[2:3]
; %bb.150:
	s_or_b64 exec, exec, s[4:5]
	s_mov_b32 s48, 0
	s_cmp_lg_u32 s2, 0
	v_or_b32_e32 v70, v55, v53
	v_lshrrev_b32_e32 v1, 5, v0
	v_cmp_gt_u32_e32 vcc, 64, v0
	s_barrier
	s_cbranch_scc0 .LBB105_185
; %bb.151:
	s_mov_b32 s49, 1
	v_cmp_gt_u64_e64 s[4:5], s[48:49], v[12:13]
	v_cmp_gt_u64_e64 s[6:7], s[48:49], v[14:15]
	v_cmp_gt_u64_e64 s[8:9], s[48:49], v[16:17]
	v_cndmask_b32_e64 v2, 0, v10, s[4:5]
	v_add_u32_e32 v2, v2, v12
	v_cndmask_b32_e64 v2, 0, v2, s[6:7]
	v_add_u32_e32 v2, v2, v14
	v_cndmask_b32_e64 v2, 0, v2, s[8:9]
	v_add_u32_e32 v2, v2, v16
	v_cmp_gt_u64_e64 s[10:11], s[48:49], v[18:19]
	v_cmp_gt_u64_e64 s[12:13], s[48:49], v[20:21]
	v_cmp_gt_u64_e64 s[14:15], s[48:49], v[22:23]
	v_cndmask_b32_e64 v2, 0, v2, s[10:11]
	v_add_u32_e32 v2, v2, v18
	v_cndmask_b32_e64 v2, 0, v2, s[12:13]
	v_add_u32_e32 v2, v2, v20
	v_cndmask_b32_e64 v2, 0, v2, s[14:15]
	v_add_u32_e32 v2, v2, v22
	;; [unrolled: 9-line block ×7, first 2 shown]
	v_cmp_gt_u64_e64 s[48:49], s[48:49], v[54:55]
	s_nop 1
	v_cndmask_b32_e64 v2, 0, v2, s[48:49]
	v_add_u32_e32 v60, v2, v54
	v_or3_b32 v2, v70, v51, v49
	v_or3_b32 v2, v2, v47, v45
	;; [unrolled: 1-line block ×10, first 2 shown]
	v_and_b32_e32 v2, 1, v2
	v_cmp_eq_u32_e64 s[48:49], 1, v2
	v_add_lshl_u32 v2, v1, v0, 3
	s_nop 0
	v_cndmask_b32_e64 v61, v11, 1, s[48:49]
	ds_write_b32 v2, v60
	ds_write_b8 v2, v61 offset:4
	s_waitcnt lgkmcnt(0)
	s_barrier
	s_and_saveexec_b64 s[68:69], vcc
	s_cbranch_execz .LBB105_163
; %bb.152:
	v_lshlrev_b32_e32 v2, 2, v0
	v_lshrrev_b32_e32 v3, 3, v0
	v_add_lshl_u32 v6, v3, v2, 3
	ds_read2_b32 v[2:3], v6 offset0:2 offset1:4
	ds_read_b64 v[4:5], v6
	ds_read_u8 v9, v6 offset:12
	ds_read_u8 v56, v6 offset:20
	ds_read_b32 v7, v6 offset:24
	ds_read_u8 v57, v6 offset:28
	s_waitcnt lgkmcnt(4)
	v_and_b32_e32 v8, 1, v5
	s_waitcnt lgkmcnt(3)
	v_cmp_eq_u16_e64 s[48:49], 0, v9
	v_and_b32_e32 v9, 1, v9
	s_waitcnt lgkmcnt(2)
	v_cmp_eq_u16_e64 s[50:51], 0, v56
	v_cndmask_b32_e64 v58, 0, v4, s[48:49]
	v_add_u32_e32 v58, v58, v2
	v_cmp_eq_u32_e64 s[54:55], 1, v9
	v_cndmask_b32_e64 v9, 0, v58, s[50:51]
	v_add_u32_e32 v9, v9, v3
	s_waitcnt lgkmcnt(0)
	v_cmp_eq_u16_e64 s[52:53], 0, v57
	v_and_b32_e32 v56, 1, v56
	v_cmp_eq_u32_e64 s[56:57], 1, v56
	v_cndmask_b32_e64 v9, 0, v9, s[52:53]
	v_add_u32_e32 v56, v9, v7
	v_and_b32_e32 v9, 1, v57
	v_cmp_eq_u32_e64 s[58:59], 1, v9
	s_or_b64 s[62:63], s[58:59], s[56:57]
	s_or_b64 s[62:63], s[62:63], s[54:55]
	v_mbcnt_lo_u32_b32 v57, -1, 0
	v_cndmask_b32_e64 v58, v8, 1, s[62:63]
	v_and_b32_e32 v9, 0xffffff00, v5
	v_mbcnt_hi_u32_b32 v57, -1, v57
	v_and_b32_e32 v63, 15, v57
	v_or_b32_sdwa v59, v9, v58 dst_sel:DWORD dst_unused:UNUSED_PAD src0_sel:DWORD src1_sel:WORD_0
	v_mov_b32_dpp v62, v56 row_shr:1 row_mask:0xf bank_mask:0xf
	v_cmp_ne_u32_e64 s[62:63], 0, v63
	v_mov_b32_dpp v64, v59 row_shr:1 row_mask:0xf bank_mask:0xf
	s_and_saveexec_b64 s[70:71], s[62:63]
; %bb.153:
	v_and_b32_e32 v59, 1, v58
	v_and_b32_e32 v64, 1, v64
	v_cmp_eq_u32_e64 s[62:63], 1, v59
	s_nop 1
	v_cndmask_b32_e64 v64, v64, 1, s[62:63]
	v_cmp_eq_u16_e64 s[62:63], 0, v58
	v_or_b32_sdwa v59, v9, v64 dst_sel:DWORD dst_unused:UNUSED_PAD src0_sel:DWORD src1_sel:WORD_0
	s_nop 0
	v_cndmask_b32_e64 v58, 0, v62, s[62:63]
	v_add_u32_e32 v56, v58, v56
	v_mov_b32_e32 v58, v64
; %bb.154:
	s_or_b64 exec, exec, s[70:71]
	v_mov_b32_dpp v64, v56 row_shr:2 row_mask:0xf bank_mask:0xf
	v_mov_b32_dpp v65, v59 row_shr:2 row_mask:0xf bank_mask:0xf
	v_cmp_lt_u32_e64 s[62:63], 1, v63
	v_mov_b32_e32 v62, v59
	s_and_saveexec_b64 s[70:71], s[62:63]
; %bb.155:
	v_and_b32_e32 v58, 1, v59
	v_and_b32_e32 v62, 1, v65
	v_cmp_eq_u32_e64 s[62:63], 1, v58
	s_nop 1
	v_cndmask_b32_e64 v58, v62, 1, s[62:63]
	v_mov_b32_e32 v62, 0
	v_cmp_eq_u16_sdwa s[62:63], v59, v62 src0_sel:BYTE_0 src1_sel:DWORD
	v_mov_b32_e32 v62, v58
	s_nop 0
	v_cndmask_b32_e64 v59, 0, v64, s[62:63]
	v_add_u32_e32 v56, v59, v56
	v_or_b32_sdwa v59, v9, v58 dst_sel:DWORD dst_unused:UNUSED_PAD src0_sel:DWORD src1_sel:WORD_0
; %bb.156:
	s_or_b64 exec, exec, s[70:71]
	v_mov_b32_dpp v64, v56 row_shr:4 row_mask:0xf bank_mask:0xf
	v_mov_b32_dpp v65, v59 row_shr:4 row_mask:0xf bank_mask:0xf
	v_cmp_lt_u32_e64 s[62:63], 3, v63
	s_and_saveexec_b64 s[70:71], s[62:63]
; %bb.157:
	v_and_b32_e32 v58, 1, v62
	v_and_b32_e32 v59, 1, v65
	v_cmp_eq_u32_e64 s[62:63], 1, v58
	s_nop 1
	v_cndmask_b32_e64 v58, v59, 1, s[62:63]
	v_mov_b32_e32 v59, 0
	v_cmp_eq_u16_sdwa s[62:63], v62, v59 src0_sel:BYTE_0 src1_sel:DWORD
	v_mov_b32_e32 v62, v58
	s_nop 0
	v_cndmask_b32_e64 v59, 0, v64, s[62:63]
	v_add_u32_e32 v56, v59, v56
	v_or_b32_sdwa v59, v9, v58 dst_sel:DWORD dst_unused:UNUSED_PAD src0_sel:DWORD src1_sel:WORD_0
; %bb.158:
	s_or_b64 exec, exec, s[70:71]
	v_mov_b32_dpp v64, v56 row_shr:8 row_mask:0xf bank_mask:0xf
	v_mov_b32_dpp v65, v59 row_shr:8 row_mask:0xf bank_mask:0xf
	v_cmp_lt_u32_e64 s[62:63], 7, v63
	s_and_saveexec_b64 s[70:71], s[62:63]
; %bb.159:
	v_and_b32_e32 v58, 1, v62
	v_and_b32_e32 v59, 1, v65
	v_cmp_eq_u32_e64 s[62:63], 1, v58
	s_nop 1
	v_cndmask_b32_e64 v58, v59, 1, s[62:63]
	v_mov_b32_e32 v59, 0
	v_cmp_eq_u16_sdwa s[62:63], v62, v59 src0_sel:BYTE_0 src1_sel:DWORD
	v_mov_b32_e32 v62, v58
	s_nop 0
	v_cndmask_b32_e64 v59, 0, v64, s[62:63]
	v_add_u32_e32 v56, v59, v56
	v_or_b32_sdwa v59, v9, v58 dst_sel:DWORD dst_unused:UNUSED_PAD src0_sel:DWORD src1_sel:WORD_0
; %bb.160:
	s_or_b64 exec, exec, s[70:71]
	v_and_b32_e32 v65, 16, v57
	v_mov_b32_dpp v63, v56 row_bcast:15 row_mask:0xf bank_mask:0xf
	v_mov_b32_dpp v64, v59 row_bcast:15 row_mask:0xf bank_mask:0xf
	v_cmp_ne_u32_e64 s[62:63], 0, v65
	s_and_saveexec_b64 s[70:71], s[62:63]
; %bb.161:
	v_and_b32_e32 v58, 1, v62
	v_and_b32_e32 v59, 1, v64
	v_cmp_eq_u32_e64 s[62:63], 1, v58
	s_nop 1
	v_cndmask_b32_e64 v58, v59, 1, s[62:63]
	v_mov_b32_e32 v59, 0
	v_cmp_eq_u16_sdwa s[62:63], v62, v59 src0_sel:BYTE_0 src1_sel:DWORD
	v_mov_b32_e32 v62, v58
	s_nop 0
	v_cndmask_b32_e64 v59, 0, v63, s[62:63]
	v_add_u32_e32 v56, v59, v56
	v_or_b32_sdwa v59, v9, v58 dst_sel:DWORD dst_unused:UNUSED_PAD src0_sel:DWORD src1_sel:WORD_0
; %bb.162:
	s_or_b64 exec, exec, s[70:71]
	s_nop 0
	v_mov_b32_dpp v59, v59 row_bcast:31 row_mask:0xf bank_mask:0xf
	v_and_b32_e32 v64, 1, v62
	v_and_b32_e32 v59, 1, v59
	v_cmp_eq_u32_e64 s[62:63], 1, v64
	v_mov_b32_e32 v64, 0
	v_cmp_eq_u16_sdwa s[70:71], v62, v64 src0_sel:BYTE_0 src1_sel:DWORD
	v_cndmask_b32_e64 v59, v59, 1, s[62:63]
	v_cmp_lt_u32_e64 s[62:63], 31, v57
	v_mov_b32_dpp v63, v56 row_bcast:31 row_mask:0xf bank_mask:0xf
	v_and_b32_e32 v62, 64, v57
	v_cndmask_b32_e64 v58, v58, v59, s[62:63]
	s_and_b64 s[62:63], s[62:63], s[70:71]
	v_cndmask_b32_e64 v59, 0, v63, s[62:63]
	v_add_u32_e32 v56, v59, v56
	v_add_u32_e32 v59, -1, v57
	v_cmp_lt_i32_e64 s[62:63], v59, v62
	v_or_b32_sdwa v9, v9, v58 dst_sel:DWORD dst_unused:UNUSED_PAD src0_sel:DWORD src1_sel:WORD_0
	s_nop 0
	v_cndmask_b32_e64 v57, v59, v57, s[62:63]
	v_lshlrev_b32_e32 v57, 2, v57
	ds_bpermute_b32 v56, v57, v56
	ds_bpermute_b32 v9, v57, v9
	v_cmp_eq_u16_sdwa s[62:63], v5, v64 src0_sel:BYTE_0 src1_sel:DWORD
	s_waitcnt lgkmcnt(1)
	s_nop 0
	v_cndmask_b32_e64 v5, 0, v56, s[62:63]
	v_add_u32_e32 v4, v5, v4
	s_waitcnt lgkmcnt(0)
	v_and_b32_e32 v5, 1, v9
	v_cmp_eq_u32_e64 s[62:63], 1, v8
	s_nop 1
	v_cndmask_b32_e64 v5, v5, 1, s[62:63]
	v_cmp_eq_u32_e64 s[62:63], 0, v0
	s_nop 1
	v_cndmask_b32_e64 v4, v4, v60, s[62:63]
	v_cndmask_b32_e64 v8, 0, v4, s[48:49]
	;; [unrolled: 1-line block ×3, first 2 shown]
	v_add_u32_e32 v2, v8, v2
	ds_write_b8 v6, v5 offset:4
	v_cndmask_b32_e64 v5, v5, 1, s[54:55]
	ds_write2_b32 v6, v4, v2 offset1:2
	ds_write_b8 v6, v5 offset:12
	v_cndmask_b32_e64 v2, 0, v2, s[50:51]
	v_add_u32_e32 v2, v2, v3
	v_cndmask_b32_e64 v4, 0, v2, s[52:53]
	v_cndmask_b32_e64 v3, v5, 1, s[56:57]
	v_add_u32_e32 v4, v4, v7
	ds_write_b8 v6, v3 offset:20
	v_cndmask_b32_e64 v3, v3, 1, s[58:59]
	ds_write2_b32 v6, v2, v4 offset0:4 offset1:6
	ds_write_b8 v6, v3 offset:28
.LBB105_163:
	s_or_b64 exec, exec, s[68:69]
	v_cmp_eq_u32_e64 s[48:49], 0, v0
	v_cmp_ne_u32_e64 s[50:51], 0, v0
	s_waitcnt lgkmcnt(0)
	s_barrier
	s_and_saveexec_b64 s[52:53], s[50:51]
	s_cbranch_execz .LBB105_165
; %bb.164:
	v_add_u32_e32 v2, -1, v0
	v_lshrrev_b32_e32 v3, 5, v2
	v_add_lshl_u32 v2, v3, v2, 3
	ds_read_b32 v60, v2
	ds_read_u8 v61, v2 offset:4
.LBB105_165:
	s_or_b64 exec, exec, s[52:53]
	s_and_saveexec_b64 s[54:55], vcc
	s_cbranch_execz .LBB105_184
; %bb.166:
	v_mov_b32_e32 v5, 0
	ds_read_b64 v[2:3], v5 offset:2096
	v_mbcnt_lo_u32_b32 v4, -1, 0
	v_mbcnt_hi_u32_b32 v72, -1, v4
	s_mov_b32 s57, 0
	v_cmp_eq_u32_e64 s[50:51], 0, v72
	s_waitcnt lgkmcnt(0)
	v_readfirstlane_b32 s3, v3
	s_and_saveexec_b64 s[52:53], s[50:51]
	s_cbranch_execz .LBB105_168
; %bb.167:
	s_add_i32 s56, s2, 64
	s_lshl_b64 s[58:59], s[56:57], 4
	s_add_u32 s58, s64, s58
	s_addc_u32 s59, s65, s59
	s_and_b32 s63, s3, 0xff000000
	s_mov_b32 s62, s57
	s_and_b32 s69, s3, 0xff0000
	s_mov_b32 s68, s57
	s_or_b64 s[62:63], s[68:69], s[62:63]
	s_and_b32 s69, s3, 0xff00
	s_or_b64 s[62:63], s[62:63], s[68:69]
	s_and_b32 s69, s3, 0xff
	s_or_b64 s[56:57], s[62:63], s[68:69]
	v_mov_b32_e32 v3, s57
	v_mov_b32_e32 v4, 1
	v_mov_b64_e32 v[6:7], s[58:59]
	;;#ASMSTART
	global_store_dwordx4 v[6:7], v[2:5] off sc1	
s_waitcnt vmcnt(0)
	;;#ASMEND
.LBB105_168:
	s_or_b64 exec, exec, s[52:53]
	v_xad_u32 v56, v72, -1, s2
	v_add_u32_e32 v4, 64, v56
	v_lshl_add_u64 v[58:59], v[4:5], 4, s[64:65]
	;;#ASMSTART
	global_load_dwordx4 v[6:9], v[58:59] off sc1	
s_waitcnt vmcnt(0)
	;;#ASMEND
	s_nop 0
	v_cmp_eq_u16_sdwa s[56:57], v8, v5 src0_sel:BYTE_0 src1_sel:DWORD
	s_and_saveexec_b64 s[52:53], s[56:57]
	s_cbranch_execz .LBB105_172
; %bb.169:
	s_mov_b64 s[56:57], 0
	v_mov_b32_e32 v3, 0
.LBB105_170:                            ; =>This Inner Loop Header: Depth=1
	;;#ASMSTART
	global_load_dwordx4 v[6:9], v[58:59] off sc1	
s_waitcnt vmcnt(0)
	;;#ASMEND
	s_nop 0
	v_cmp_ne_u16_sdwa s[58:59], v8, v3 src0_sel:BYTE_0 src1_sel:DWORD
	s_or_b64 s[56:57], s[58:59], s[56:57]
	s_andn2_b64 exec, exec, s[56:57]
	s_cbranch_execnz .LBB105_170
; %bb.171:
	s_or_b64 exec, exec, s[56:57]
.LBB105_172:
	s_or_b64 exec, exec, s[52:53]
	v_mov_b32_e32 v3, 2
	v_cmp_eq_u16_sdwa s[52:53], v8, v3 src0_sel:BYTE_0 src1_sel:DWORD
	v_lshlrev_b64 v[4:5], v72, -1
	v_and_b32_e32 v74, 63, v72
	v_and_b32_e32 v9, s53, v5
	v_or_b32_e32 v9, 0x80000000, v9
	v_and_b32_e32 v57, s52, v4
	v_ffbl_b32_e32 v9, v9
	v_add_u32_e32 v9, 32, v9
	v_ffbl_b32_e32 v57, v57
	v_cmp_ne_u32_e32 vcc, 63, v74
	v_min_u32_e32 v9, v57, v9
	v_and_b32_e32 v59, 0xff, v7
	v_addc_co_u32_e32 v57, vcc, 0, v72, vcc
	v_lshlrev_b32_e32 v62, 2, v57
	ds_bpermute_b32 v57, v62, v59
	ds_bpermute_b32 v64, v62, v6
	s_mov_b32 s56, 0
	v_and_b32_e32 v7, 1, v7
	v_mov_b32_e32 v58, v6
	s_mov_b32 s57, 1
	s_waitcnt lgkmcnt(1)
	v_and_b32_e32 v57, 1, v57
	v_cmp_eq_u32_e32 vcc, 1, v7
	v_add_u32_e32 v63, 1, v72
	v_add_u32_e32 v65, 2, v72
	v_cndmask_b32_e64 v7, v57, 1, vcc
	v_cmp_gt_u64_e32 vcc, s[56:57], v[58:59]
	v_and_b32_e32 v57, 0xffff, v7
	v_add_u32_e32 v67, 4, v72
	s_waitcnt lgkmcnt(0)
	v_cndmask_b32_e32 v58, 0, v64, vcc
	v_cmp_gt_u32_e32 vcc, v63, v9
	v_add_u32_e32 v69, 8, v72
	v_add_u32_e32 v73, 16, v72
	v_cndmask_b32_e32 v7, v7, v59, vcc
	v_cndmask_b32_e64 v58, v58, 0, vcc
	v_cndmask_b32_e32 v57, v57, v59, vcc
	v_cmp_gt_u32_e32 vcc, 62, v74
	v_add_u32_e32 v6, v58, v6
	v_and_b32_e32 v66, 1, v7
	v_cndmask_b32_e64 v59, 0, 1, vcc
	v_lshlrev_b32_e32 v59, 1, v59
	v_add_lshl_u32 v64, v59, v72, 2
	ds_bpermute_b32 v59, v64, v57
	ds_bpermute_b32 v58, v64, v6
	v_cmp_eq_u32_e32 vcc, 1, v66
	v_cmp_gt_u32_e64 s[52:53], 32, v74
	s_waitcnt lgkmcnt(1)
	v_and_b32_e32 v59, 1, v59
	v_cndmask_b32_e64 v59, v59, 1, vcc
	v_cmp_eq_u16_e32 vcc, 0, v7
	v_and_b32_e32 v66, 0xffff, v59
	s_waitcnt lgkmcnt(0)
	v_cndmask_b32_e32 v58, 0, v58, vcc
	v_cmp_gt_u32_e32 vcc, v65, v9
	s_nop 1
	v_cndmask_b32_e32 v7, v59, v7, vcc
	v_cndmask_b32_e64 v58, v58, 0, vcc
	v_cndmask_b32_e32 v57, v66, v57, vcc
	v_cmp_gt_u32_e32 vcc, 60, v74
	v_add_u32_e32 v6, v58, v6
	v_and_b32_e32 v68, 1, v7
	v_cndmask_b32_e64 v59, 0, 1, vcc
	v_lshlrev_b32_e32 v59, 2, v59
	v_add_lshl_u32 v66, v59, v72, 2
	ds_bpermute_b32 v59, v66, v57
	ds_bpermute_b32 v58, v66, v6
	v_cmp_eq_u32_e32 vcc, 1, v68
	s_waitcnt lgkmcnt(1)
	v_and_b32_e32 v59, 1, v59
	v_cndmask_b32_e64 v59, v59, 1, vcc
	v_cmp_eq_u16_e32 vcc, 0, v7
	v_and_b32_e32 v68, 0xffff, v59
	s_waitcnt lgkmcnt(0)
	v_cndmask_b32_e32 v58, 0, v58, vcc
	v_cmp_gt_u32_e32 vcc, v67, v9
	s_nop 1
	v_cndmask_b32_e32 v7, v59, v7, vcc
	v_cndmask_b32_e64 v58, v58, 0, vcc
	v_cndmask_b32_e32 v57, v68, v57, vcc
	v_cmp_gt_u32_e32 vcc, 56, v74
	v_add_u32_e32 v6, v58, v6
	v_and_b32_e32 v71, 1, v7
	v_cndmask_b32_e64 v59, 0, 1, vcc
	v_lshlrev_b32_e32 v59, 3, v59
	v_add_lshl_u32 v68, v59, v72, 2
	ds_bpermute_b32 v59, v68, v57
	ds_bpermute_b32 v58, v68, v6
	v_cmp_eq_u32_e32 vcc, 1, v71
	;; [unrolled: 21-line block ×3, first 2 shown]
	s_waitcnt lgkmcnt(1)
	v_and_b32_e32 v57, 1, v57
	v_cndmask_b32_e64 v75, v57, 1, vcc
	v_mov_b32_e32 v57, 0
	v_cmp_eq_u16_sdwa vcc, v7, v57 src0_sel:BYTE_0 src1_sel:DWORD
	v_and_b32_e32 v76, 0xffff, v75
	s_waitcnt lgkmcnt(0)
	v_cndmask_b32_e32 v58, 0, v58, vcc
	v_cmp_gt_u32_e32 vcc, v73, v9
	s_nop 1
	v_cndmask_b32_e64 v58, v58, 0, vcc
	v_add_u32_e32 v6, v58, v6
	v_cndmask_b32_e64 v58, 0, 1, s[52:53]
	v_lshlrev_b32_e32 v58, 5, v58
	v_cndmask_b32_e32 v7, v75, v7, vcc
	v_add_lshl_u32 v75, v58, v72, 2
	v_cndmask_b32_e32 v59, v76, v59, vcc
	ds_bpermute_b32 v58, v75, v6
	ds_bpermute_b32 v59, v75, v59
	v_add_u32_e32 v76, 32, v72
	v_cmp_eq_u16_sdwa vcc, v7, v57 src0_sel:BYTE_0 src1_sel:DWORD
	v_and_b32_e32 v72, 1, v7
	s_waitcnt lgkmcnt(0)
	v_and_b32_e32 v59, 1, v59
	v_cndmask_b32_e32 v58, 0, v58, vcc
	v_cmp_eq_u32_e32 vcc, 1, v72
	s_nop 1
	v_cndmask_b32_e64 v59, v59, 1, vcc
	v_cmp_gt_u32_e32 vcc, v76, v9
	s_nop 1
	v_cndmask_b32_e64 v9, v58, 0, vcc
	v_cndmask_b32_e32 v7, v59, v7, vcc
	v_add_u32_e32 v6, v9, v6
	s_branch .LBB105_174
.LBB105_173:                            ;   in Loop: Header=BB105_174 Depth=1
	s_or_b64 exec, exec, s[52:53]
	v_cmp_eq_u16_sdwa s[52:53], v8, v3 src0_sel:BYTE_0 src1_sel:DWORD
	v_and_b32_e32 v59, 0xff, v7
	ds_bpermute_b32 v78, v62, v59
	v_and_b32_e32 v9, s53, v5
	v_or_b32_e32 v9, 0x80000000, v9
	v_and_b32_e32 v77, s52, v4
	v_ffbl_b32_e32 v9, v9
	v_add_u32_e32 v9, 32, v9
	v_ffbl_b32_e32 v77, v77
	v_min_u32_e32 v9, v77, v9
	ds_bpermute_b32 v77, v62, v6
	v_and_b32_e32 v7, 1, v7
	v_mov_b32_e32 v58, v6
	s_waitcnt lgkmcnt(1)
	v_and_b32_e32 v78, 1, v78
	v_cmp_eq_u32_e32 vcc, 1, v7
	v_subrev_u32_e32 v56, 64, v56
	s_nop 0
	v_cndmask_b32_e64 v7, v78, 1, vcc
	v_cmp_gt_u64_e32 vcc, s[56:57], v[58:59]
	v_and_b32_e32 v78, 0xffff, v7
	s_waitcnt lgkmcnt(0)
	v_cndmask_b32_e32 v58, 0, v77, vcc
	v_cmp_gt_u32_e32 vcc, v63, v9
	s_nop 1
	v_cndmask_b32_e32 v7, v7, v59, vcc
	v_cndmask_b32_e32 v59, v78, v59, vcc
	ds_bpermute_b32 v77, v64, v59
	v_cndmask_b32_e64 v58, v58, 0, vcc
	v_add_u32_e32 v6, v58, v6
	ds_bpermute_b32 v58, v64, v6
	v_and_b32_e32 v78, 1, v7
	s_waitcnt lgkmcnt(1)
	v_and_b32_e32 v77, 1, v77
	v_cmp_eq_u32_e32 vcc, 1, v78
	s_nop 1
	v_cndmask_b32_e64 v77, v77, 1, vcc
	v_cmp_eq_u16_e32 vcc, 0, v7
	v_and_b32_e32 v78, 0xffff, v77
	s_waitcnt lgkmcnt(0)
	v_cndmask_b32_e32 v58, 0, v58, vcc
	v_cmp_gt_u32_e32 vcc, v65, v9
	s_nop 1
	v_cndmask_b32_e32 v59, v78, v59, vcc
	v_cndmask_b32_e32 v7, v77, v7, vcc
	ds_bpermute_b32 v77, v66, v59
	v_cndmask_b32_e64 v58, v58, 0, vcc
	v_add_u32_e32 v6, v58, v6
	ds_bpermute_b32 v58, v66, v6
	v_and_b32_e32 v78, 1, v7
	s_waitcnt lgkmcnt(1)
	v_and_b32_e32 v77, 1, v77
	v_cmp_eq_u32_e32 vcc, 1, v78
	s_nop 1
	v_cndmask_b32_e64 v77, v77, 1, vcc
	v_cmp_eq_u16_e32 vcc, 0, v7
	;; [unrolled: 18-line block ×3, first 2 shown]
	v_and_b32_e32 v78, 0xffff, v77
	s_waitcnt lgkmcnt(0)
	v_cndmask_b32_e32 v58, 0, v58, vcc
	v_cmp_gt_u32_e32 vcc, v69, v9
	s_nop 1
	v_cndmask_b32_e32 v59, v78, v59, vcc
	v_cndmask_b32_e32 v7, v77, v7, vcc
	ds_bpermute_b32 v77, v71, v59
	v_cndmask_b32_e64 v58, v58, 0, vcc
	v_add_u32_e32 v6, v58, v6
	ds_bpermute_b32 v58, v71, v6
	v_and_b32_e32 v78, 1, v7
	s_waitcnt lgkmcnt(1)
	v_and_b32_e32 v77, 1, v77
	v_cmp_eq_u32_e32 vcc, 1, v78
	s_nop 1
	v_cndmask_b32_e64 v77, v77, 1, vcc
	v_cmp_eq_u16_sdwa vcc, v7, v57 src0_sel:BYTE_0 src1_sel:DWORD
	s_waitcnt lgkmcnt(0)
	s_nop 0
	v_cndmask_b32_e32 v58, 0, v58, vcc
	v_cmp_gt_u32_e32 vcc, v73, v9
	s_nop 1
	v_cndmask_b32_e64 v58, v58, 0, vcc
	v_cndmask_b32_e32 v7, v77, v7, vcc
	v_add_u32_e32 v6, v58, v6
	v_and_b32_e32 v77, 0xffff, v77
	ds_bpermute_b32 v58, v75, v6
	v_cndmask_b32_e32 v59, v77, v59, vcc
	ds_bpermute_b32 v59, v75, v59
	v_cmp_eq_u16_sdwa vcc, v7, v57 src0_sel:BYTE_0 src1_sel:DWORD
	v_and_b32_e32 v77, 1, v7
	s_waitcnt lgkmcnt(1)
	v_cndmask_b32_e32 v58, 0, v58, vcc
	v_cmp_eq_u32_e32 vcc, 1, v77
	s_waitcnt lgkmcnt(0)
	s_nop 0
	v_cndmask_b32_e64 v59, v59, 1, vcc
	v_cmp_gt_u32_e32 vcc, v76, v9
	s_nop 1
	v_cndmask_b32_e64 v9, v58, 0, vcc
	v_cndmask_b32_e32 v7, v59, v7, vcc
	v_add_u32_e32 v6, v9, v6
	v_cmp_eq_u16_sdwa vcc, v72, v57 src0_sel:BYTE_0 src1_sel:DWORD
	v_and_b32_e32 v9, 1, v72
	v_and_b32_e32 v7, 1, v7
	v_cndmask_b32_e32 v6, 0, v6, vcc
	v_cmp_eq_u32_e32 vcc, 1, v9
	v_add_u32_e32 v6, v6, v74
	s_nop 0
	v_cndmask_b32_e64 v7, v7, 1, vcc
.LBB105_174:                            ; =>This Loop Header: Depth=1
                                        ;     Child Loop BB105_177 Depth 2
	v_cmp_ne_u16_sdwa s[52:53], v8, v3 src0_sel:BYTE_0 src1_sel:DWORD
	v_mov_b32_e32 v72, v7
	v_mov_b32_e32 v74, v6
	v_cndmask_b32_e64 v7, 0, 1, s[52:53]
	;;#ASMSTART
	;;#ASMEND
	s_nop 0
	v_cmp_ne_u32_e32 vcc, 0, v7
	s_cmp_lg_u64 vcc, exec
	s_cbranch_scc1 .LBB105_179
; %bb.175:                              ;   in Loop: Header=BB105_174 Depth=1
	v_lshl_add_u64 v[58:59], v[56:57], 4, s[64:65]
	;;#ASMSTART
	global_load_dwordx4 v[6:9], v[58:59] off sc1	
s_waitcnt vmcnt(0)
	;;#ASMEND
	s_nop 0
	v_cmp_eq_u16_sdwa s[58:59], v8, v57 src0_sel:BYTE_0 src1_sel:DWORD
	s_and_saveexec_b64 s[52:53], s[58:59]
	s_cbranch_execz .LBB105_173
; %bb.176:                              ;   in Loop: Header=BB105_174 Depth=1
	s_mov_b64 s[58:59], 0
.LBB105_177:                            ;   Parent Loop BB105_174 Depth=1
                                        ; =>  This Inner Loop Header: Depth=2
	;;#ASMSTART
	global_load_dwordx4 v[6:9], v[58:59] off sc1	
s_waitcnt vmcnt(0)
	;;#ASMEND
	s_nop 0
	v_cmp_ne_u16_sdwa s[62:63], v8, v57 src0_sel:BYTE_0 src1_sel:DWORD
	s_or_b64 s[58:59], s[62:63], s[58:59]
	s_andn2_b64 exec, exec, s[58:59]
	s_cbranch_execnz .LBB105_177
; %bb.178:                              ;   in Loop: Header=BB105_174 Depth=1
	s_or_b64 exec, exec, s[58:59]
	s_branch .LBB105_173
.LBB105_179:                            ;   in Loop: Header=BB105_174 Depth=1
                                        ; implicit-def: $vgpr7
                                        ; implicit-def: $vgpr6
                                        ; implicit-def: $vgpr8
	s_cbranch_execz .LBB105_174
; %bb.180:
	s_and_saveexec_b64 s[52:53], s[50:51]
	s_cbranch_execz .LBB105_182
; %bb.181:
	s_and_b32 s50, s3, 0xff
	s_cmp_eq_u32 s50, 0
	s_cselect_b64 vcc, -1, 0
	s_bitcmp1_b32 s3, 0
	s_mov_b32 s51, 0
	s_cselect_b64 s[56:57], -1, 0
	s_add_i32 s50, s2, 64
	s_lshl_b64 s[2:3], s[50:51], 4
	v_cndmask_b32_e32 v3, 0, v74, vcc
	s_add_u32 s2, s64, s2
	v_add_u32_e32 v2, v3, v2
	v_and_b32_e32 v3, 1, v72
	s_addc_u32 s3, s65, s3
	v_mov_b32_e32 v5, 0
	v_cndmask_b32_e64 v3, v3, 1, s[56:57]
	v_mov_b32_e32 v4, 2
	v_mov_b64_e32 v[6:7], s[2:3]
	;;#ASMSTART
	global_store_dwordx4 v[6:7], v[2:5] off sc1	
s_waitcnt vmcnt(0)
	;;#ASMEND
.LBB105_182:
	s_or_b64 exec, exec, s[52:53]
	s_and_b64 exec, exec, s[48:49]
	s_cbranch_execz .LBB105_184
; %bb.183:
	v_mov_b32_e32 v2, 0
	ds_write_b32 v2, v74
	ds_write_b8 v2, v72 offset:4
.LBB105_184:
	s_or_b64 exec, exec, s[54:55]
	v_mov_b32_e32 v4, 0
	s_waitcnt lgkmcnt(0)
	s_barrier
	ds_read_b32 v2, v4
	v_cmp_eq_u16_sdwa vcc, v61, v4 src0_sel:BYTE_0 src1_sel:DWORD
	v_and_b32_e32 v5, 0xff, v11
	s_waitcnt lgkmcnt(0)
	v_cndmask_b32_e32 v3, 0, v2, vcc
	v_add_u32_e32 v3, v3, v60
	v_cndmask_b32_e64 v2, v3, v2, s[48:49]
	v_cmp_eq_u64_e32 vcc, 0, v[4:5]
	s_nop 1
	v_cndmask_b32_e32 v3, 0, v2, vcc
	v_add_u32_e32 v3, v3, v10
	v_cndmask_b32_e64 v4, 0, v3, s[4:5]
	v_add_u32_e32 v4, v4, v12
	v_cndmask_b32_e64 v5, 0, v4, s[6:7]
	;; [unrolled: 2-line block ×21, first 2 shown]
	v_add_u32_e32 v71, v71, v52
	s_branch .LBB105_205
.LBB105_185:
                                        ; implicit-def: $vgpr71
                                        ; implicit-def: $vgpr68_vgpr69
                                        ; implicit-def: $vgpr66_vgpr67
                                        ; implicit-def: $vgpr64_vgpr65
                                        ; implicit-def: $vgpr62_vgpr63
                                        ; implicit-def: $vgpr60_vgpr61
                                        ; implicit-def: $vgpr58_vgpr59
                                        ; implicit-def: $vgpr56_vgpr57
                                        ; implicit-def: $vgpr8_vgpr9
                                        ; implicit-def: $vgpr6_vgpr7
                                        ; implicit-def: $vgpr4_vgpr5
                                        ; implicit-def: $vgpr2_vgpr3
	s_cbranch_execz .LBB105_205
; %bb.186:
	s_cmp_eq_u64 s[74:75], 0
	s_cbranch_scc1 .LBB105_188
; %bb.187:
	s_load_dword s76, s[74:75], 0x0
.LBB105_188:
	s_mov_b32 s2, 0
	s_mov_b32 s3, 1
	v_cmp_gt_u64_e32 vcc, s[2:3], v[12:13]
	v_cmp_gt_u64_e64 s[4:5], s[2:3], v[14:15]
	v_cmp_gt_u64_e64 s[6:7], s[2:3], v[16:17]
	v_cndmask_b32_e32 v2, 0, v10, vcc
	v_add_u32_e32 v2, v2, v12
	v_cndmask_b32_e64 v2, 0, v2, s[4:5]
	v_add_u32_e32 v2, v2, v14
	v_cndmask_b32_e64 v2, 0, v2, s[6:7]
	v_add_u32_e32 v2, v2, v16
	v_cmp_gt_u64_e64 s[8:9], s[2:3], v[18:19]
	v_cmp_gt_u64_e64 s[10:11], s[2:3], v[20:21]
	v_cmp_gt_u64_e64 s[12:13], s[2:3], v[22:23]
	v_cndmask_b32_e64 v2, 0, v2, s[8:9]
	v_add_u32_e32 v2, v2, v18
	v_cndmask_b32_e64 v2, 0, v2, s[10:11]
	v_add_u32_e32 v2, v2, v20
	v_cndmask_b32_e64 v2, 0, v2, s[12:13]
	v_add_u32_e32 v2, v2, v22
	v_cmp_gt_u64_e64 s[14:15], s[2:3], v[24:25]
	v_cmp_gt_u64_e64 s[16:17], s[2:3], v[26:27]
	v_cmp_gt_u64_e64 s[18:19], s[2:3], v[28:29]
	v_cndmask_b32_e64 v2, 0, v2, s[14:15]
	;; [unrolled: 9-line block ×6, first 2 shown]
	v_add_u32_e32 v2, v2, v48
	v_cndmask_b32_e64 v2, 0, v2, s[42:43]
	v_add_u32_e32 v2, v2, v50
	v_cndmask_b32_e64 v2, 0, v2, s[44:45]
	v_add_u32_e32 v2, v2, v52
	v_cmp_gt_u64_e64 s[2:3], s[2:3], v[54:55]
	v_add_lshl_u32 v1, v1, v0, 3
	s_nop 0
	v_cndmask_b32_e64 v2, 0, v2, s[2:3]
	v_add_u32_e32 v6, v2, v54
	v_or3_b32 v2, v70, v51, v49
	v_or3_b32 v2, v2, v47, v45
	;; [unrolled: 1-line block ×10, first 2 shown]
	v_and_b32_e32 v2, 1, v2
	v_cmp_eq_u32_e64 s[2:3], 1, v2
	s_nop 1
	v_cndmask_b32_e64 v7, v11, 1, s[2:3]
	v_cmp_gt_u32_e64 s[2:3], 64, v0
	ds_write_b32 v1, v6
	ds_write_b8 v1, v7 offset:4
	s_waitcnt lgkmcnt(0)
	s_barrier
	s_and_saveexec_b64 s[58:59], s[2:3]
	s_cbranch_execz .LBB105_200
; %bb.189:
	v_lshlrev_b32_e32 v1, 2, v0
	v_lshrrev_b32_e32 v2, 3, v0
	v_add_lshl_u32 v1, v2, v1, 3
	ds_read2_b32 v[2:3], v1 offset0:2 offset1:4
	ds_read_b64 v[4:5], v1
	ds_read_u8 v13, v1 offset:12
	ds_read_u8 v15, v1 offset:20
	ds_read_b32 v8, v1 offset:24
	ds_read_u8 v17, v1 offset:28
	s_waitcnt lgkmcnt(4)
	v_and_b32_e32 v9, 1, v5
	s_waitcnt lgkmcnt(3)
	v_cmp_eq_u16_e64 s[46:47], 0, v13
	v_and_b32_e32 v13, 1, v13
	s_waitcnt lgkmcnt(2)
	v_cmp_eq_u16_e64 s[48:49], 0, v15
	v_cndmask_b32_e64 v19, 0, v4, s[46:47]
	v_add_u32_e32 v19, v19, v2
	v_cmp_eq_u32_e64 s[52:53], 1, v13
	v_cndmask_b32_e64 v13, 0, v19, s[48:49]
	v_add_u32_e32 v13, v13, v3
	s_waitcnt lgkmcnt(0)
	v_cmp_eq_u16_e64 s[50:51], 0, v17
	v_and_b32_e32 v15, 1, v15
	v_cmp_eq_u32_e64 s[54:55], 1, v15
	v_cndmask_b32_e64 v13, 0, v13, s[50:51]
	v_add_u32_e32 v15, v13, v8
	v_and_b32_e32 v13, 1, v17
	v_cmp_eq_u32_e64 s[56:57], 1, v13
	s_or_b64 s[2:3], s[56:57], s[54:55]
	s_or_b64 s[2:3], s[2:3], s[52:53]
	v_mbcnt_lo_u32_b32 v17, -1, 0
	v_cndmask_b32_e64 v19, v9, 1, s[2:3]
	v_and_b32_e32 v13, 0xffffff00, v5
	v_mbcnt_hi_u32_b32 v17, -1, v17
	v_and_b32_e32 v25, 15, v17
	v_or_b32_sdwa v21, v13, v19 dst_sel:DWORD dst_unused:UNUSED_PAD src0_sel:DWORD src1_sel:WORD_0
	v_mov_b32_dpp v23, v15 row_shr:1 row_mask:0xf bank_mask:0xf
	v_cmp_ne_u32_e64 s[2:3], 0, v25
	v_mov_b32_dpp v27, v21 row_shr:1 row_mask:0xf bank_mask:0xf
	s_and_saveexec_b64 s[62:63], s[2:3]
; %bb.190:
	v_and_b32_e32 v21, 1, v19
	v_and_b32_e32 v27, 1, v27
	v_cmp_eq_u32_e64 s[2:3], 1, v21
	s_nop 1
	v_cndmask_b32_e64 v27, v27, 1, s[2:3]
	v_cmp_eq_u16_e64 s[2:3], 0, v19
	v_or_b32_sdwa v21, v13, v27 dst_sel:DWORD dst_unused:UNUSED_PAD src0_sel:DWORD src1_sel:WORD_0
	s_nop 0
	v_cndmask_b32_e64 v19, 0, v23, s[2:3]
	v_add_u32_e32 v15, v19, v15
	v_mov_b32_e32 v19, v27
; %bb.191:
	s_or_b64 exec, exec, s[62:63]
	v_mov_b32_dpp v27, v15 row_shr:2 row_mask:0xf bank_mask:0xf
	v_mov_b32_dpp v29, v21 row_shr:2 row_mask:0xf bank_mask:0xf
	v_cmp_lt_u32_e64 s[2:3], 1, v25
	v_mov_b32_e32 v23, v21
	s_and_saveexec_b64 s[62:63], s[2:3]
; %bb.192:
	v_and_b32_e32 v19, 1, v21
	v_and_b32_e32 v23, 1, v29
	v_cmp_eq_u32_e64 s[2:3], 1, v19
	s_nop 1
	v_cndmask_b32_e64 v19, v23, 1, s[2:3]
	v_mov_b32_e32 v23, 0
	v_cmp_eq_u16_sdwa s[2:3], v21, v23 src0_sel:BYTE_0 src1_sel:DWORD
	v_mov_b32_e32 v23, v19
	s_nop 0
	v_cndmask_b32_e64 v21, 0, v27, s[2:3]
	v_add_u32_e32 v15, v21, v15
	v_or_b32_sdwa v21, v13, v19 dst_sel:DWORD dst_unused:UNUSED_PAD src0_sel:DWORD src1_sel:WORD_0
; %bb.193:
	s_or_b64 exec, exec, s[62:63]
	v_mov_b32_dpp v27, v15 row_shr:4 row_mask:0xf bank_mask:0xf
	v_mov_b32_dpp v29, v21 row_shr:4 row_mask:0xf bank_mask:0xf
	v_cmp_lt_u32_e64 s[2:3], 3, v25
	s_and_saveexec_b64 s[62:63], s[2:3]
; %bb.194:
	v_and_b32_e32 v19, 1, v23
	v_and_b32_e32 v21, 1, v29
	v_cmp_eq_u32_e64 s[2:3], 1, v19
	s_nop 1
	v_cndmask_b32_e64 v19, v21, 1, s[2:3]
	v_mov_b32_e32 v21, 0
	v_cmp_eq_u16_sdwa s[2:3], v23, v21 src0_sel:BYTE_0 src1_sel:DWORD
	v_mov_b32_e32 v23, v19
	s_nop 0
	v_cndmask_b32_e64 v21, 0, v27, s[2:3]
	v_add_u32_e32 v15, v21, v15
	v_or_b32_sdwa v21, v13, v19 dst_sel:DWORD dst_unused:UNUSED_PAD src0_sel:DWORD src1_sel:WORD_0
; %bb.195:
	s_or_b64 exec, exec, s[62:63]
	v_mov_b32_dpp v27, v15 row_shr:8 row_mask:0xf bank_mask:0xf
	v_mov_b32_dpp v29, v21 row_shr:8 row_mask:0xf bank_mask:0xf
	v_cmp_lt_u32_e64 s[2:3], 7, v25
	s_and_saveexec_b64 s[62:63], s[2:3]
; %bb.196:
	v_and_b32_e32 v19, 1, v23
	v_and_b32_e32 v21, 1, v29
	v_cmp_eq_u32_e64 s[2:3], 1, v19
	s_nop 1
	v_cndmask_b32_e64 v19, v21, 1, s[2:3]
	v_mov_b32_e32 v21, 0
	v_cmp_eq_u16_sdwa s[2:3], v23, v21 src0_sel:BYTE_0 src1_sel:DWORD
	v_mov_b32_e32 v23, v19
	s_nop 0
	v_cndmask_b32_e64 v21, 0, v27, s[2:3]
	v_add_u32_e32 v15, v21, v15
	v_or_b32_sdwa v21, v13, v19 dst_sel:DWORD dst_unused:UNUSED_PAD src0_sel:DWORD src1_sel:WORD_0
; %bb.197:
	s_or_b64 exec, exec, s[62:63]
	v_and_b32_e32 v29, 16, v17
	v_mov_b32_dpp v25, v15 row_bcast:15 row_mask:0xf bank_mask:0xf
	v_mov_b32_dpp v27, v21 row_bcast:15 row_mask:0xf bank_mask:0xf
	v_cmp_ne_u32_e64 s[2:3], 0, v29
	s_and_saveexec_b64 s[62:63], s[2:3]
; %bb.198:
	v_and_b32_e32 v19, 1, v23
	v_and_b32_e32 v21, 1, v27
	v_cmp_eq_u32_e64 s[2:3], 1, v19
	s_nop 1
	v_cndmask_b32_e64 v19, v21, 1, s[2:3]
	v_mov_b32_e32 v21, 0
	v_cmp_eq_u16_sdwa s[2:3], v23, v21 src0_sel:BYTE_0 src1_sel:DWORD
	v_mov_b32_e32 v23, v19
	s_nop 0
	v_cndmask_b32_e64 v21, 0, v25, s[2:3]
	v_add_u32_e32 v15, v21, v15
	v_or_b32_sdwa v21, v13, v19 dst_sel:DWORD dst_unused:UNUSED_PAD src0_sel:DWORD src1_sel:WORD_0
; %bb.199:
	s_or_b64 exec, exec, s[62:63]
	s_nop 0
	v_mov_b32_dpp v21, v21 row_bcast:31 row_mask:0xf bank_mask:0xf
	v_and_b32_e32 v27, 1, v23
	v_and_b32_e32 v21, 1, v21
	v_cmp_eq_u32_e64 s[2:3], 1, v27
	v_mov_b32_e32 v27, 0
	v_cmp_eq_u16_sdwa s[62:63], v23, v27 src0_sel:BYTE_0 src1_sel:DWORD
	v_cndmask_b32_e64 v21, v21, 1, s[2:3]
	v_cmp_lt_u32_e64 s[2:3], 31, v17
	v_mov_b32_dpp v25, v15 row_bcast:31 row_mask:0xf bank_mask:0xf
	v_and_b32_e32 v23, 64, v17
	v_cndmask_b32_e64 v19, v19, v21, s[2:3]
	s_and_b64 s[2:3], s[2:3], s[62:63]
	v_cndmask_b32_e64 v21, 0, v25, s[2:3]
	v_add_u32_e32 v15, v21, v15
	v_add_u32_e32 v21, -1, v17
	v_cmp_lt_i32_e64 s[2:3], v21, v23
	v_or_b32_sdwa v13, v13, v19 dst_sel:DWORD dst_unused:UNUSED_PAD src0_sel:DWORD src1_sel:WORD_0
	s_nop 0
	v_cndmask_b32_e64 v17, v21, v17, s[2:3]
	v_lshlrev_b32_e32 v17, 2, v17
	ds_bpermute_b32 v15, v17, v15
	ds_bpermute_b32 v13, v17, v13
	v_cmp_eq_u16_sdwa s[2:3], v5, v27 src0_sel:BYTE_0 src1_sel:DWORD
	s_waitcnt lgkmcnt(1)
	s_nop 0
	v_cndmask_b32_e64 v5, 0, v15, s[2:3]
	v_add_u32_e32 v4, v5, v4
	s_waitcnt lgkmcnt(0)
	v_and_b32_e32 v5, 1, v13
	v_cmp_eq_u32_e64 s[2:3], 1, v9
	s_nop 1
	v_cndmask_b32_e64 v5, v5, 1, s[2:3]
	v_cmp_eq_u32_e64 s[2:3], 0, v0
	s_nop 1
	v_cndmask_b32_e64 v4, v4, v6, s[2:3]
	v_cndmask_b32_e64 v6, 0, v4, s[46:47]
	;; [unrolled: 1-line block ×3, first 2 shown]
	v_add_u32_e32 v2, v6, v2
	ds_write_b8 v1, v5 offset:4
	v_cndmask_b32_e64 v5, v5, 1, s[52:53]
	ds_write2_b32 v1, v4, v2 offset1:2
	ds_write_b8 v1, v5 offset:12
	v_cndmask_b32_e64 v2, 0, v2, s[48:49]
	v_add_u32_e32 v2, v2, v3
	v_cndmask_b32_e64 v4, 0, v2, s[50:51]
	v_cndmask_b32_e64 v3, v5, 1, s[54:55]
	v_add_u32_e32 v4, v4, v8
	ds_write_b8 v1, v3 offset:20
	v_cndmask_b32_e64 v3, v3, 1, s[56:57]
	ds_write2_b32 v1, v2, v4 offset0:4 offset1:6
	ds_write_b8 v1, v3 offset:28
.LBB105_200:
	s_or_b64 exec, exec, s[58:59]
	v_cmp_eq_u32_e64 s[46:47], 0, v0
	v_cmp_ne_u32_e64 s[2:3], 0, v0
	v_mov_b32_e32 v2, s76
	s_waitcnt lgkmcnt(0)
	s_barrier
	s_and_saveexec_b64 s[48:49], s[2:3]
	s_cbranch_execz .LBB105_202
; %bb.201:
	v_add_u32_e32 v1, -1, v0
	v_lshrrev_b32_e32 v2, 5, v1
	v_add_lshl_u32 v1, v2, v1, 3
	ds_read_u8 v2, v1 offset:4
	ds_read_b32 v1, v1
	v_mov_b32_e32 v3, s76
	s_waitcnt lgkmcnt(1)
	v_cmp_eq_u16_e64 s[2:3], 0, v2
	s_nop 1
	v_cndmask_b32_e64 v2, 0, v3, s[2:3]
	s_waitcnt lgkmcnt(0)
	v_add_u32_e32 v2, v2, v1
.LBB105_202:
	s_or_b64 exec, exec, s[48:49]
	v_and_b32_e32 v55, 0xff, v11
	v_mov_b32_e32 v54, 0
	v_cmp_eq_u64_e64 s[2:3], 0, v[54:55]
	s_nop 1
	v_cndmask_b32_e64 v1, 0, v2, s[2:3]
	v_add_u32_e32 v3, v1, v10
	v_cndmask_b32_e32 v1, 0, v3, vcc
	v_add_u32_e32 v4, v1, v12
	v_cndmask_b32_e64 v1, 0, v4, s[4:5]
	v_add_u32_e32 v5, v1, v14
	v_cndmask_b32_e64 v1, 0, v5, s[6:7]
	;; [unrolled: 2-line block ×20, first 2 shown]
	s_and_saveexec_b64 s[2:3], s[46:47]
	s_cbranch_execz .LBB105_204
; %bb.203:
	ds_read_u8 v10, v54 offset:2100
	ds_read_b32 v12, v54 offset:2096
	v_mov_b32_e32 v13, v54
	s_waitcnt lgkmcnt(1)
	v_cmp_eq_u16_e32 vcc, 0, v10
	s_and_b64 s[4:5], vcc, exec
	s_cselect_b32 s5, s76, 0
	s_add_u32 s4, s64, 0x400
	v_and_b32_e32 v11, 0xffff, v10
	s_waitcnt lgkmcnt(0)
	v_add_u32_e32 v10, s5, v12
	s_addc_u32 s5, s65, 0
	v_mov_b32_e32 v12, 2
	v_mov_b64_e32 v[14:15], s[4:5]
	;;#ASMSTART
	global_store_dwordx4 v[14:15], v[10:13] off sc1	
s_waitcnt vmcnt(0)
	;;#ASMEND
.LBB105_204:
	s_or_b64 exec, exec, s[2:3]
	v_add_u32_e32 v71, v1, v52
.LBB105_205:
	s_load_dwordx2 s[0:1], s[0:1], 0x18
	s_lshl_b64 s[2:3], s[72:73], 3
	v_lshlrev_b32_e32 v12, 3, v0
	s_waitcnt lgkmcnt(0)
	s_add_u32 s0, s0, s2
	s_addc_u32 s1, s1, s3
	s_and_b64 vcc, exec, s[60:61]
	s_cbranch_vccz .LBB105_251
; %bb.206:
	s_movk_i32 s2, 0x5c
	v_mul_i32_i24_e32 v36, 0xffffffa8, v0
	v_mul_u32_u24_e32 v1, 0x5c, v0
	v_mad_u32_u24 v10, v0, s2, v36
	s_barrier
	ds_write2_b32 v1, v2, v3 offset1:1
	ds_write2_b32 v1, v4, v5 offset0:2 offset1:3
	ds_write2_b32 v1, v6, v7 offset0:4 offset1:5
	;; [unrolled: 1-line block ×10, first 2 shown]
	ds_write_b32 v1, v71 offset:88
	s_waitcnt lgkmcnt(0)
	s_barrier
	ds_read2st64_b32 v[34:35], v10 offset0:4 offset1:8
	ds_read2st64_b32 v[32:33], v10 offset0:12 offset1:16
	;; [unrolled: 1-line block ×11, first 2 shown]
	s_add_i32 s33, s33, s66
	v_mov_b32_e32 v13, 0
	v_lshl_add_u64 v[14:15], s[0:1], 0, v[12:13]
	v_cmp_gt_u32_e32 vcc, s33, v0
	s_and_saveexec_b64 s[2:3], vcc
	s_cbranch_execz .LBB105_208
; %bb.207:
	v_add_u32_e32 v1, v1, v36
	ds_read_b32 v1, v1
	s_waitcnt lgkmcnt(0)
	v_cvt_f64_i32_e32 v[36:37], v1
	global_store_dwordx2 v[14:15], v[36:37], off
.LBB105_208:
	s_or_b64 exec, exec, s[2:3]
	v_or_b32_e32 v1, 0x100, v0
	v_cmp_gt_u32_e32 vcc, s33, v1
	s_and_saveexec_b64 s[2:3], vcc
	s_cbranch_execz .LBB105_210
; %bb.209:
	s_waitcnt lgkmcnt(10)
	v_cvt_f64_i32_e32 v[36:37], v34
	global_store_dwordx2 v[14:15], v[36:37], off offset:2048
.LBB105_210:
	s_or_b64 exec, exec, s[2:3]
	v_or_b32_e32 v1, 0x200, v0
	v_cmp_gt_u32_e32 vcc, s33, v1
	s_and_saveexec_b64 s[2:3], vcc
	s_cbranch_execz .LBB105_212
; %bb.211:
	v_add_co_u32_e32 v36, vcc, 0x1000, v14
	s_waitcnt lgkmcnt(10)
	v_cvt_f64_i32_e32 v[34:35], v35
	v_addc_co_u32_e32 v37, vcc, 0, v15, vcc
	global_store_dwordx2 v[36:37], v[34:35], off
.LBB105_212:
	s_or_b64 exec, exec, s[2:3]
	v_or_b32_e32 v1, 0x300, v0
	v_cmp_gt_u32_e32 vcc, s33, v1
	s_and_saveexec_b64 s[2:3], vcc
	s_cbranch_execz .LBB105_214
; %bb.213:
	v_add_co_u32_e32 v36, vcc, 0x1000, v14
	s_waitcnt lgkmcnt(9)
	v_cvt_f64_i32_e32 v[34:35], v32
	v_addc_co_u32_e32 v37, vcc, 0, v15, vcc
	global_store_dwordx2 v[36:37], v[34:35], off offset:2048
.LBB105_214:
	s_or_b64 exec, exec, s[2:3]
	v_or_b32_e32 v1, 0x400, v0
	v_cmp_gt_u32_e32 vcc, s33, v1
	s_and_saveexec_b64 s[2:3], vcc
	s_cbranch_execz .LBB105_216
; %bb.215:
	s_waitcnt lgkmcnt(10)
	v_add_co_u32_e32 v34, vcc, 0x2000, v14
	s_waitcnt lgkmcnt(9)
	v_cvt_f64_i32_e32 v[32:33], v33
	v_addc_co_u32_e32 v35, vcc, 0, v15, vcc
	global_store_dwordx2 v[34:35], v[32:33], off
.LBB105_216:
	s_or_b64 exec, exec, s[2:3]
	v_or_b32_e32 v1, 0x500, v0
	v_cmp_gt_u32_e32 vcc, s33, v1
	s_and_saveexec_b64 s[2:3], vcc
	s_cbranch_execz .LBB105_218
; %bb.217:
	s_waitcnt lgkmcnt(10)
	v_add_co_u32_e32 v34, vcc, 0x2000, v14
	s_waitcnt lgkmcnt(8)
	v_cvt_f64_i32_e32 v[32:33], v30
	v_addc_co_u32_e32 v35, vcc, 0, v15, vcc
	global_store_dwordx2 v[34:35], v[32:33], off offset:2048
.LBB105_218:
	s_or_b64 exec, exec, s[2:3]
	v_or_b32_e32 v1, 0x600, v0
	v_cmp_gt_u32_e32 vcc, s33, v1
	s_and_saveexec_b64 s[2:3], vcc
	s_cbranch_execz .LBB105_220
; %bb.219:
	s_waitcnt lgkmcnt(9)
	v_add_co_u32_e32 v32, vcc, 0x3000, v14
	s_waitcnt lgkmcnt(8)
	v_cvt_f64_i32_e32 v[30:31], v31
	v_addc_co_u32_e32 v33, vcc, 0, v15, vcc
	global_store_dwordx2 v[32:33], v[30:31], off
.LBB105_220:
	s_or_b64 exec, exec, s[2:3]
	v_or_b32_e32 v1, 0x700, v0
	v_cmp_gt_u32_e32 vcc, s33, v1
	s_and_saveexec_b64 s[2:3], vcc
	s_cbranch_execz .LBB105_222
; %bb.221:
	s_waitcnt lgkmcnt(9)
	v_add_co_u32_e32 v32, vcc, 0x3000, v14
	s_waitcnt lgkmcnt(7)
	v_cvt_f64_i32_e32 v[30:31], v28
	v_addc_co_u32_e32 v33, vcc, 0, v15, vcc
	global_store_dwordx2 v[32:33], v[30:31], off offset:2048
.LBB105_222:
	s_or_b64 exec, exec, s[2:3]
	v_or_b32_e32 v1, 0x800, v0
	v_cmp_gt_u32_e32 vcc, s33, v1
	s_and_saveexec_b64 s[2:3], vcc
	s_cbranch_execz .LBB105_224
; %bb.223:
	s_waitcnt lgkmcnt(8)
	v_add_co_u32_e32 v30, vcc, 0x4000, v14
	s_waitcnt lgkmcnt(7)
	v_cvt_f64_i32_e32 v[28:29], v29
	v_addc_co_u32_e32 v31, vcc, 0, v15, vcc
	global_store_dwordx2 v[30:31], v[28:29], off
.LBB105_224:
	s_or_b64 exec, exec, s[2:3]
	v_or_b32_e32 v1, 0x900, v0
	v_cmp_gt_u32_e32 vcc, s33, v1
	s_and_saveexec_b64 s[2:3], vcc
	s_cbranch_execz .LBB105_226
; %bb.225:
	s_waitcnt lgkmcnt(8)
	v_add_co_u32_e32 v30, vcc, 0x4000, v14
	s_waitcnt lgkmcnt(6)
	v_cvt_f64_i32_e32 v[28:29], v26
	v_addc_co_u32_e32 v31, vcc, 0, v15, vcc
	global_store_dwordx2 v[30:31], v[28:29], off offset:2048
.LBB105_226:
	s_or_b64 exec, exec, s[2:3]
	v_or_b32_e32 v1, 0xa00, v0
	v_cmp_gt_u32_e32 vcc, s33, v1
	s_and_saveexec_b64 s[2:3], vcc
	s_cbranch_execz .LBB105_228
; %bb.227:
	s_waitcnt lgkmcnt(7)
	v_add_co_u32_e32 v28, vcc, 0x5000, v14
	s_waitcnt lgkmcnt(6)
	v_cvt_f64_i32_e32 v[26:27], v27
	v_addc_co_u32_e32 v29, vcc, 0, v15, vcc
	global_store_dwordx2 v[28:29], v[26:27], off
.LBB105_228:
	s_or_b64 exec, exec, s[2:3]
	v_or_b32_e32 v1, 0xb00, v0
	v_cmp_gt_u32_e32 vcc, s33, v1
	s_and_saveexec_b64 s[2:3], vcc
	s_cbranch_execz .LBB105_230
; %bb.229:
	s_waitcnt lgkmcnt(7)
	v_add_co_u32_e32 v28, vcc, 0x5000, v14
	s_waitcnt lgkmcnt(5)
	v_cvt_f64_i32_e32 v[26:27], v24
	v_addc_co_u32_e32 v29, vcc, 0, v15, vcc
	global_store_dwordx2 v[28:29], v[26:27], off offset:2048
.LBB105_230:
	s_or_b64 exec, exec, s[2:3]
	v_or_b32_e32 v1, 0xc00, v0
	v_cmp_gt_u32_e32 vcc, s33, v1
	s_and_saveexec_b64 s[2:3], vcc
	s_cbranch_execz .LBB105_232
; %bb.231:
	s_waitcnt lgkmcnt(6)
	v_add_co_u32_e32 v26, vcc, 0x6000, v14
	s_waitcnt lgkmcnt(5)
	v_cvt_f64_i32_e32 v[24:25], v25
	v_addc_co_u32_e32 v27, vcc, 0, v15, vcc
	global_store_dwordx2 v[26:27], v[24:25], off
.LBB105_232:
	s_or_b64 exec, exec, s[2:3]
	v_or_b32_e32 v1, 0xd00, v0
	v_cmp_gt_u32_e32 vcc, s33, v1
	s_and_saveexec_b64 s[2:3], vcc
	s_cbranch_execz .LBB105_234
; %bb.233:
	s_waitcnt lgkmcnt(6)
	v_add_co_u32_e32 v26, vcc, 0x6000, v14
	s_waitcnt lgkmcnt(4)
	v_cvt_f64_i32_e32 v[24:25], v22
	v_addc_co_u32_e32 v27, vcc, 0, v15, vcc
	global_store_dwordx2 v[26:27], v[24:25], off offset:2048
.LBB105_234:
	s_or_b64 exec, exec, s[2:3]
	v_or_b32_e32 v1, 0xe00, v0
	v_cmp_gt_u32_e32 vcc, s33, v1
	s_and_saveexec_b64 s[2:3], vcc
	s_cbranch_execz .LBB105_236
; %bb.235:
	s_waitcnt lgkmcnt(5)
	v_add_co_u32_e32 v24, vcc, 0x7000, v14
	s_waitcnt lgkmcnt(4)
	v_cvt_f64_i32_e32 v[22:23], v23
	v_addc_co_u32_e32 v25, vcc, 0, v15, vcc
	global_store_dwordx2 v[24:25], v[22:23], off
.LBB105_236:
	s_or_b64 exec, exec, s[2:3]
	v_or_b32_e32 v1, 0xf00, v0
	v_cmp_gt_u32_e32 vcc, s33, v1
	s_and_saveexec_b64 s[2:3], vcc
	s_cbranch_execz .LBB105_238
; %bb.237:
	s_waitcnt lgkmcnt(5)
	v_add_co_u32_e32 v24, vcc, 0x7000, v14
	s_waitcnt lgkmcnt(3)
	v_cvt_f64_i32_e32 v[22:23], v20
	v_addc_co_u32_e32 v25, vcc, 0, v15, vcc
	global_store_dwordx2 v[24:25], v[22:23], off offset:2048
.LBB105_238:
	s_or_b64 exec, exec, s[2:3]
	v_or_b32_e32 v1, 0x1000, v0
	v_cmp_gt_u32_e32 vcc, s33, v1
	s_and_saveexec_b64 s[2:3], vcc
	s_cbranch_execz .LBB105_240
; %bb.239:
	s_waitcnt lgkmcnt(4)
	v_add_co_u32_e32 v22, vcc, 0x8000, v14
	s_waitcnt lgkmcnt(3)
	v_cvt_f64_i32_e32 v[20:21], v21
	v_addc_co_u32_e32 v23, vcc, 0, v15, vcc
	global_store_dwordx2 v[22:23], v[20:21], off
.LBB105_240:
	s_or_b64 exec, exec, s[2:3]
	v_or_b32_e32 v1, 0x1100, v0
	v_cmp_gt_u32_e32 vcc, s33, v1
	s_and_saveexec_b64 s[2:3], vcc
	s_cbranch_execz .LBB105_242
; %bb.241:
	s_waitcnt lgkmcnt(4)
	v_add_co_u32_e32 v22, vcc, 0x8000, v14
	s_waitcnt lgkmcnt(2)
	v_cvt_f64_i32_e32 v[20:21], v18
	v_addc_co_u32_e32 v23, vcc, 0, v15, vcc
	global_store_dwordx2 v[22:23], v[20:21], off offset:2048
.LBB105_242:
	s_or_b64 exec, exec, s[2:3]
	v_or_b32_e32 v1, 0x1200, v0
	v_cmp_gt_u32_e32 vcc, s33, v1
	s_and_saveexec_b64 s[2:3], vcc
	s_cbranch_execz .LBB105_244
; %bb.243:
	s_waitcnt lgkmcnt(3)
	v_add_co_u32_e32 v20, vcc, 0x9000, v14
	s_waitcnt lgkmcnt(2)
	v_cvt_f64_i32_e32 v[18:19], v19
	v_addc_co_u32_e32 v21, vcc, 0, v15, vcc
	global_store_dwordx2 v[20:21], v[18:19], off
.LBB105_244:
	s_or_b64 exec, exec, s[2:3]
	v_or_b32_e32 v1, 0x1300, v0
	v_cmp_gt_u32_e32 vcc, s33, v1
	s_and_saveexec_b64 s[2:3], vcc
	s_cbranch_execz .LBB105_246
; %bb.245:
	s_waitcnt lgkmcnt(3)
	v_add_co_u32_e32 v20, vcc, 0x9000, v14
	s_waitcnt lgkmcnt(1)
	v_cvt_f64_i32_e32 v[18:19], v16
	v_addc_co_u32_e32 v21, vcc, 0, v15, vcc
	global_store_dwordx2 v[20:21], v[18:19], off offset:2048
.LBB105_246:
	s_or_b64 exec, exec, s[2:3]
	v_or_b32_e32 v1, 0x1400, v0
	v_cmp_gt_u32_e32 vcc, s33, v1
	s_and_saveexec_b64 s[2:3], vcc
	s_cbranch_execz .LBB105_248
; %bb.247:
	s_waitcnt lgkmcnt(2)
	v_add_co_u32_e32 v18, vcc, 0xa000, v14
	s_waitcnt lgkmcnt(1)
	v_cvt_f64_i32_e32 v[16:17], v17
	v_addc_co_u32_e32 v19, vcc, 0, v15, vcc
	global_store_dwordx2 v[18:19], v[16:17], off
.LBB105_248:
	s_or_b64 exec, exec, s[2:3]
	v_or_b32_e32 v1, 0x1500, v0
	v_cmp_gt_u32_e32 vcc, s33, v1
	s_and_saveexec_b64 s[2:3], vcc
	s_cbranch_execz .LBB105_250
; %bb.249:
	v_add_co_u32_e32 v14, vcc, 0xa000, v14
	s_waitcnt lgkmcnt(0)
	v_cvt_f64_i32_e32 v[16:17], v10
	v_addc_co_u32_e32 v15, vcc, 0, v15, vcc
	global_store_dwordx2 v[14:15], v[16:17], off offset:2048
.LBB105_250:
	s_or_b64 exec, exec, s[2:3]
	s_waitcnt lgkmcnt(0)
	v_or_b32_e32 v10, 0x1600, v0
	v_mov_b32_e32 v1, v13
	v_cmp_gt_u32_e64 s[2:3], s33, v10
	s_branch .LBB105_253
.LBB105_251:
	s_mov_b64 s[2:3], 0
                                        ; implicit-def: $vgpr11
	s_cbranch_execz .LBB105_253
; %bb.252:
	v_mul_u32_u24_e32 v1, 0x5c, v0
	s_barrier
	s_movk_i32 s4, 0x5c
	ds_write2_b32 v1, v2, v3 offset1:1
	ds_write2_b32 v1, v4, v5 offset0:2 offset1:3
	ds_write2_b32 v1, v6, v7 offset0:4 offset1:5
	;; [unrolled: 1-line block ×10, first 2 shown]
	ds_write_b32 v1, v71 offset:88
	v_mul_i32_i24_e32 v2, 0xffffffa8, v0
	v_mov_b32_e32 v1, 0
	v_mad_u32_u24 v10, v0, s4, v2
	s_waitcnt lgkmcnt(0)
	s_barrier
	ds_read2st64_b32 v[2:3], v10 offset1:4
	ds_read2st64_b32 v[4:5], v10 offset0:8 offset1:12
	ds_read2st64_b32 v[6:7], v10 offset0:16 offset1:20
	;; [unrolled: 1-line block ×10, first 2 shown]
	ds_read_b32 v11, v10 offset:22528
	v_mov_b32_e32 v13, v1
	v_lshl_add_u64 v[28:29], s[0:1], 0, v[12:13]
	s_waitcnt lgkmcnt(11)
	v_cvt_f64_i32_e32 v[30:31], v2
	v_cvt_f64_i32_e32 v[2:3], v3
	s_movk_i32 s4, 0x1000
	global_store_dwordx2 v12, v[30:31], s[0:1]
	global_store_dwordx2 v12, v[2:3], s[0:1] offset:2048
	v_add_co_u32_e32 v12, vcc, s4, v28
	s_movk_i32 s4, 0x2000
	s_nop 0
	v_addc_co_u32_e32 v13, vcc, 0, v29, vcc
	v_add_co_u32_e32 v30, vcc, s4, v28
	s_waitcnt lgkmcnt(10)
	v_cvt_f64_i32_e32 v[2:3], v4
	v_addc_co_u32_e32 v31, vcc, 0, v29, vcc
	s_movk_i32 s4, 0x3000
	global_store_dwordx2 v[30:31], v[2:3], off offset:-4096
	v_cvt_f64_i32_e32 v[2:3], v5
	v_add_co_u32_e32 v4, vcc, s4, v28
	global_store_dwordx2 v[12:13], v[2:3], off offset:2048
	s_waitcnt lgkmcnt(9)
	v_cvt_f64_i32_e32 v[2:3], v6
	v_addc_co_u32_e32 v5, vcc, 0, v29, vcc
	s_movk_i32 s4, 0x4000
	global_store_dwordx2 v[30:31], v[2:3], off
	v_cvt_f64_i32_e32 v[2:3], v7
	v_add_co_u32_e32 v6, vcc, s4, v28
	global_store_dwordx2 v[30:31], v[2:3], off offset:2048
	s_waitcnt lgkmcnt(8)
	v_cvt_f64_i32_e32 v[2:3], v8
	v_addc_co_u32_e32 v7, vcc, 0, v29, vcc
	global_store_dwordx2 v[6:7], v[2:3], off offset:-4096
	v_cvt_f64_i32_e32 v[2:3], v9
	s_movk_i32 s4, 0x5000
	global_store_dwordx2 v[4:5], v[2:3], off offset:2048
	s_waitcnt lgkmcnt(7)
	v_cvt_f64_i32_e32 v[2:3], v14
	v_add_co_u32_e32 v4, vcc, s4, v28
	global_store_dwordx2 v[6:7], v[2:3], off
	v_cvt_f64_i32_e32 v[2:3], v15
	v_addc_co_u32_e32 v5, vcc, 0, v29, vcc
	s_movk_i32 s4, 0x6000
	global_store_dwordx2 v[6:7], v[2:3], off offset:2048
	v_add_co_u32_e32 v6, vcc, s4, v28
	s_waitcnt lgkmcnt(6)
	v_cvt_f64_i32_e32 v[2:3], v16
	v_addc_co_u32_e32 v7, vcc, 0, v29, vcc
	global_store_dwordx2 v[6:7], v[2:3], off offset:-4096
	v_cvt_f64_i32_e32 v[2:3], v17
	s_movk_i32 s4, 0x7000
	global_store_dwordx2 v[4:5], v[2:3], off offset:2048
	s_waitcnt lgkmcnt(5)
	v_cvt_f64_i32_e32 v[2:3], v18
	v_add_co_u32_e32 v4, vcc, s4, v28
	global_store_dwordx2 v[6:7], v[2:3], off
	v_cvt_f64_i32_e32 v[2:3], v19
	v_addc_co_u32_e32 v5, vcc, 0, v29, vcc
	s_mov_b32 s4, 0x8000
	global_store_dwordx2 v[6:7], v[2:3], off offset:2048
	v_add_co_u32_e32 v6, vcc, s4, v28
	s_waitcnt lgkmcnt(4)
	v_cvt_f64_i32_e32 v[2:3], v20
	v_addc_co_u32_e32 v7, vcc, 0, v29, vcc
	global_store_dwordx2 v[6:7], v[2:3], off offset:-4096
	v_cvt_f64_i32_e32 v[2:3], v21
	global_store_dwordx2 v[4:5], v[2:3], off offset:2048
	s_waitcnt lgkmcnt(3)
	v_cvt_f64_i32_e32 v[2:3], v22
	global_store_dwordx2 v[6:7], v[2:3], off
	v_cvt_f64_i32_e32 v[2:3], v23
	v_add_co_u32_e32 v4, vcc, 0x9000, v28
	global_store_dwordx2 v[6:7], v[2:3], off offset:2048
	s_waitcnt lgkmcnt(2)
	v_cvt_f64_i32_e32 v[2:3], v24
	v_addc_co_u32_e32 v5, vcc, 0, v29, vcc
	global_store_dwordx2 v[4:5], v[2:3], off
	v_cvt_f64_i32_e32 v[2:3], v25
	global_store_dwordx2 v[4:5], v[2:3], off offset:2048
	v_add_co_u32_e32 v4, vcc, 0xa000, v28
	s_waitcnt lgkmcnt(1)
	v_cvt_f64_i32_e32 v[2:3], v26
	v_addc_co_u32_e32 v5, vcc, 0, v29, vcc
	global_store_dwordx2 v[4:5], v[2:3], off
	v_cvt_f64_i32_e32 v[2:3], v27
	s_or_b64 s[2:3], s[2:3], exec
	global_store_dwordx2 v[4:5], v[2:3], off offset:2048
.LBB105_253:
	s_and_saveexec_b64 s[4:5], s[2:3]
	s_cbranch_execz .LBB105_255
; %bb.254:
	v_lshl_add_u64 v[0:1], v[0:1], 3, s[0:1]
	v_add_co_u32_e32 v0, vcc, 0xb000, v0
	s_waitcnt lgkmcnt(0)
	v_cvt_f64_i32_e32 v[2:3], v11
	v_addc_co_u32_e32 v1, vcc, 0, v1, vcc
	global_store_dwordx2 v[0:1], v[2:3], off
	s_endpgm
.LBB105_255:
	s_endpgm
	.section	.rodata,"a",@progbits
	.p2align	6, 0x0
	.amdhsa_kernel _ZN7rocprim6detail25device_scan_by_key_kernelILNS0_25lookback_scan_determinismE0ELb1ENS0_26wrapped_scan_by_key_configINS_14default_configEiiEEPiN6hipcub22TransformInputIteratorIiNS7_6CastOpIiEES6_lEEPdiNS7_8EqualityENS7_3SumENS0_19lookback_scan_stateINS_5tupleIJibEEELb0ELb1EEEiEEvT2_T3_T4_T5_T6_T7_T8_mmmPKNSG_IJT9_bEEE
		.amdhsa_group_segment_fixed_size 25600
		.amdhsa_private_segment_fixed_size 0
		.amdhsa_kernarg_size 80
		.amdhsa_user_sgpr_count 2
		.amdhsa_user_sgpr_dispatch_ptr 0
		.amdhsa_user_sgpr_queue_ptr 0
		.amdhsa_user_sgpr_kernarg_segment_ptr 1
		.amdhsa_user_sgpr_dispatch_id 0
		.amdhsa_user_sgpr_kernarg_preload_length 0
		.amdhsa_user_sgpr_kernarg_preload_offset 0
		.amdhsa_user_sgpr_private_segment_size 0
		.amdhsa_uses_dynamic_stack 0
		.amdhsa_enable_private_segment 0
		.amdhsa_system_sgpr_workgroup_id_x 1
		.amdhsa_system_sgpr_workgroup_id_y 0
		.amdhsa_system_sgpr_workgroup_id_z 0
		.amdhsa_system_sgpr_workgroup_info 0
		.amdhsa_system_vgpr_workitem_id 0
		.amdhsa_next_free_vgpr 79
		.amdhsa_next_free_sgpr 77
		.amdhsa_accum_offset 80
		.amdhsa_reserve_vcc 1
		.amdhsa_float_round_mode_32 0
		.amdhsa_float_round_mode_16_64 0
		.amdhsa_float_denorm_mode_32 3
		.amdhsa_float_denorm_mode_16_64 3
		.amdhsa_dx10_clamp 1
		.amdhsa_ieee_mode 1
		.amdhsa_fp16_overflow 0
		.amdhsa_tg_split 0
		.amdhsa_exception_fp_ieee_invalid_op 0
		.amdhsa_exception_fp_denorm_src 0
		.amdhsa_exception_fp_ieee_div_zero 0
		.amdhsa_exception_fp_ieee_overflow 0
		.amdhsa_exception_fp_ieee_underflow 0
		.amdhsa_exception_fp_ieee_inexact 0
		.amdhsa_exception_int_div_zero 0
	.end_amdhsa_kernel
	.section	.text._ZN7rocprim6detail25device_scan_by_key_kernelILNS0_25lookback_scan_determinismE0ELb1ENS0_26wrapped_scan_by_key_configINS_14default_configEiiEEPiN6hipcub22TransformInputIteratorIiNS7_6CastOpIiEES6_lEEPdiNS7_8EqualityENS7_3SumENS0_19lookback_scan_stateINS_5tupleIJibEEELb0ELb1EEEiEEvT2_T3_T4_T5_T6_T7_T8_mmmPKNSG_IJT9_bEEE,"axG",@progbits,_ZN7rocprim6detail25device_scan_by_key_kernelILNS0_25lookback_scan_determinismE0ELb1ENS0_26wrapped_scan_by_key_configINS_14default_configEiiEEPiN6hipcub22TransformInputIteratorIiNS7_6CastOpIiEES6_lEEPdiNS7_8EqualityENS7_3SumENS0_19lookback_scan_stateINS_5tupleIJibEEELb0ELb1EEEiEEvT2_T3_T4_T5_T6_T7_T8_mmmPKNSG_IJT9_bEEE,comdat
.Lfunc_end105:
	.size	_ZN7rocprim6detail25device_scan_by_key_kernelILNS0_25lookback_scan_determinismE0ELb1ENS0_26wrapped_scan_by_key_configINS_14default_configEiiEEPiN6hipcub22TransformInputIteratorIiNS7_6CastOpIiEES6_lEEPdiNS7_8EqualityENS7_3SumENS0_19lookback_scan_stateINS_5tupleIJibEEELb0ELb1EEEiEEvT2_T3_T4_T5_T6_T7_T8_mmmPKNSG_IJT9_bEEE, .Lfunc_end105-_ZN7rocprim6detail25device_scan_by_key_kernelILNS0_25lookback_scan_determinismE0ELb1ENS0_26wrapped_scan_by_key_configINS_14default_configEiiEEPiN6hipcub22TransformInputIteratorIiNS7_6CastOpIiEES6_lEEPdiNS7_8EqualityENS7_3SumENS0_19lookback_scan_stateINS_5tupleIJibEEELb0ELb1EEEiEEvT2_T3_T4_T5_T6_T7_T8_mmmPKNSG_IJT9_bEEE
                                        ; -- End function
	.section	.AMDGPU.csdata,"",@progbits
; Kernel info:
; codeLenInByte = 15580
; NumSgprs: 83
; NumVgprs: 79
; NumAgprs: 0
; TotalNumVgprs: 79
; ScratchSize: 0
; MemoryBound: 0
; FloatMode: 240
; IeeeMode: 1
; LDSByteSize: 25600 bytes/workgroup (compile time only)
; SGPRBlocks: 10
; VGPRBlocks: 9
; NumSGPRsForWavesPerEU: 83
; NumVGPRsForWavesPerEU: 79
; AccumOffset: 80
; Occupancy: 2
; WaveLimiterHint : 1
; COMPUTE_PGM_RSRC2:SCRATCH_EN: 0
; COMPUTE_PGM_RSRC2:USER_SGPR: 2
; COMPUTE_PGM_RSRC2:TRAP_HANDLER: 0
; COMPUTE_PGM_RSRC2:TGID_X_EN: 1
; COMPUTE_PGM_RSRC2:TGID_Y_EN: 0
; COMPUTE_PGM_RSRC2:TGID_Z_EN: 0
; COMPUTE_PGM_RSRC2:TIDIG_COMP_CNT: 0
; COMPUTE_PGM_RSRC3_GFX90A:ACCUM_OFFSET: 19
; COMPUTE_PGM_RSRC3_GFX90A:TG_SPLIT: 0
	.section	.text._ZN7rocprim6detail25device_scan_by_key_kernelILNS0_25lookback_scan_determinismE0ELb1ENS0_26wrapped_scan_by_key_configINS_14default_configEiiEEPiN6hipcub22TransformInputIteratorIsNS7_6CastOpIsEEPslEEPfsNS7_8EqualityENS7_3SumENS0_19lookback_scan_stateINS_5tupleIJibEEELb1ELb1EEEiEEvT2_T3_T4_T5_T6_T7_T8_mmmPKNSH_IJT9_bEEE,"axG",@progbits,_ZN7rocprim6detail25device_scan_by_key_kernelILNS0_25lookback_scan_determinismE0ELb1ENS0_26wrapped_scan_by_key_configINS_14default_configEiiEEPiN6hipcub22TransformInputIteratorIsNS7_6CastOpIsEEPslEEPfsNS7_8EqualityENS7_3SumENS0_19lookback_scan_stateINS_5tupleIJibEEELb1ELb1EEEiEEvT2_T3_T4_T5_T6_T7_T8_mmmPKNSH_IJT9_bEEE,comdat
	.protected	_ZN7rocprim6detail25device_scan_by_key_kernelILNS0_25lookback_scan_determinismE0ELb1ENS0_26wrapped_scan_by_key_configINS_14default_configEiiEEPiN6hipcub22TransformInputIteratorIsNS7_6CastOpIsEEPslEEPfsNS7_8EqualityENS7_3SumENS0_19lookback_scan_stateINS_5tupleIJibEEELb1ELb1EEEiEEvT2_T3_T4_T5_T6_T7_T8_mmmPKNSH_IJT9_bEEE ; -- Begin function _ZN7rocprim6detail25device_scan_by_key_kernelILNS0_25lookback_scan_determinismE0ELb1ENS0_26wrapped_scan_by_key_configINS_14default_configEiiEEPiN6hipcub22TransformInputIteratorIsNS7_6CastOpIsEEPslEEPfsNS7_8EqualityENS7_3SumENS0_19lookback_scan_stateINS_5tupleIJibEEELb1ELb1EEEiEEvT2_T3_T4_T5_T6_T7_T8_mmmPKNSH_IJT9_bEEE
	.globl	_ZN7rocprim6detail25device_scan_by_key_kernelILNS0_25lookback_scan_determinismE0ELb1ENS0_26wrapped_scan_by_key_configINS_14default_configEiiEEPiN6hipcub22TransformInputIteratorIsNS7_6CastOpIsEEPslEEPfsNS7_8EqualityENS7_3SumENS0_19lookback_scan_stateINS_5tupleIJibEEELb1ELb1EEEiEEvT2_T3_T4_T5_T6_T7_T8_mmmPKNSH_IJT9_bEEE
	.p2align	8
	.type	_ZN7rocprim6detail25device_scan_by_key_kernelILNS0_25lookback_scan_determinismE0ELb1ENS0_26wrapped_scan_by_key_configINS_14default_configEiiEEPiN6hipcub22TransformInputIteratorIsNS7_6CastOpIsEEPslEEPfsNS7_8EqualityENS7_3SumENS0_19lookback_scan_stateINS_5tupleIJibEEELb1ELb1EEEiEEvT2_T3_T4_T5_T6_T7_T8_mmmPKNSH_IJT9_bEEE,@function
_ZN7rocprim6detail25device_scan_by_key_kernelILNS0_25lookback_scan_determinismE0ELb1ENS0_26wrapped_scan_by_key_configINS_14default_configEiiEEPiN6hipcub22TransformInputIteratorIsNS7_6CastOpIsEEPslEEPfsNS7_8EqualityENS7_3SumENS0_19lookback_scan_stateINS_5tupleIJibEEELb1ELb1EEEiEEvT2_T3_T4_T5_T6_T7_T8_mmmPKNSH_IJT9_bEEE: ; @_ZN7rocprim6detail25device_scan_by_key_kernelILNS0_25lookback_scan_determinismE0ELb1ENS0_26wrapped_scan_by_key_configINS_14default_configEiiEEPiN6hipcub22TransformInputIteratorIsNS7_6CastOpIsEEPslEEPfsNS7_8EqualityENS7_3SumENS0_19lookback_scan_stateINS_5tupleIJibEEELb1ELb1EEEiEEvT2_T3_T4_T5_T6_T7_T8_mmmPKNSH_IJT9_bEEE
; %bb.0:
	s_endpgm
	.section	.rodata,"a",@progbits
	.p2align	6, 0x0
	.amdhsa_kernel _ZN7rocprim6detail25device_scan_by_key_kernelILNS0_25lookback_scan_determinismE0ELb1ENS0_26wrapped_scan_by_key_configINS_14default_configEiiEEPiN6hipcub22TransformInputIteratorIsNS7_6CastOpIsEEPslEEPfsNS7_8EqualityENS7_3SumENS0_19lookback_scan_stateINS_5tupleIJibEEELb1ELb1EEEiEEvT2_T3_T4_T5_T6_T7_T8_mmmPKNSH_IJT9_bEEE
		.amdhsa_group_segment_fixed_size 0
		.amdhsa_private_segment_fixed_size 0
		.amdhsa_kernarg_size 80
		.amdhsa_user_sgpr_count 2
		.amdhsa_user_sgpr_dispatch_ptr 0
		.amdhsa_user_sgpr_queue_ptr 0
		.amdhsa_user_sgpr_kernarg_segment_ptr 1
		.amdhsa_user_sgpr_dispatch_id 0
		.amdhsa_user_sgpr_kernarg_preload_length 0
		.amdhsa_user_sgpr_kernarg_preload_offset 0
		.amdhsa_user_sgpr_private_segment_size 0
		.amdhsa_uses_dynamic_stack 0
		.amdhsa_enable_private_segment 0
		.amdhsa_system_sgpr_workgroup_id_x 1
		.amdhsa_system_sgpr_workgroup_id_y 0
		.amdhsa_system_sgpr_workgroup_id_z 0
		.amdhsa_system_sgpr_workgroup_info 0
		.amdhsa_system_vgpr_workitem_id 0
		.amdhsa_next_free_vgpr 1
		.amdhsa_next_free_sgpr 0
		.amdhsa_accum_offset 4
		.amdhsa_reserve_vcc 0
		.amdhsa_float_round_mode_32 0
		.amdhsa_float_round_mode_16_64 0
		.amdhsa_float_denorm_mode_32 3
		.amdhsa_float_denorm_mode_16_64 3
		.amdhsa_dx10_clamp 1
		.amdhsa_ieee_mode 1
		.amdhsa_fp16_overflow 0
		.amdhsa_tg_split 0
		.amdhsa_exception_fp_ieee_invalid_op 0
		.amdhsa_exception_fp_denorm_src 0
		.amdhsa_exception_fp_ieee_div_zero 0
		.amdhsa_exception_fp_ieee_overflow 0
		.amdhsa_exception_fp_ieee_underflow 0
		.amdhsa_exception_fp_ieee_inexact 0
		.amdhsa_exception_int_div_zero 0
	.end_amdhsa_kernel
	.section	.text._ZN7rocprim6detail25device_scan_by_key_kernelILNS0_25lookback_scan_determinismE0ELb1ENS0_26wrapped_scan_by_key_configINS_14default_configEiiEEPiN6hipcub22TransformInputIteratorIsNS7_6CastOpIsEEPslEEPfsNS7_8EqualityENS7_3SumENS0_19lookback_scan_stateINS_5tupleIJibEEELb1ELb1EEEiEEvT2_T3_T4_T5_T6_T7_T8_mmmPKNSH_IJT9_bEEE,"axG",@progbits,_ZN7rocprim6detail25device_scan_by_key_kernelILNS0_25lookback_scan_determinismE0ELb1ENS0_26wrapped_scan_by_key_configINS_14default_configEiiEEPiN6hipcub22TransformInputIteratorIsNS7_6CastOpIsEEPslEEPfsNS7_8EqualityENS7_3SumENS0_19lookback_scan_stateINS_5tupleIJibEEELb1ELb1EEEiEEvT2_T3_T4_T5_T6_T7_T8_mmmPKNSH_IJT9_bEEE,comdat
.Lfunc_end106:
	.size	_ZN7rocprim6detail25device_scan_by_key_kernelILNS0_25lookback_scan_determinismE0ELb1ENS0_26wrapped_scan_by_key_configINS_14default_configEiiEEPiN6hipcub22TransformInputIteratorIsNS7_6CastOpIsEEPslEEPfsNS7_8EqualityENS7_3SumENS0_19lookback_scan_stateINS_5tupleIJibEEELb1ELb1EEEiEEvT2_T3_T4_T5_T6_T7_T8_mmmPKNSH_IJT9_bEEE, .Lfunc_end106-_ZN7rocprim6detail25device_scan_by_key_kernelILNS0_25lookback_scan_determinismE0ELb1ENS0_26wrapped_scan_by_key_configINS_14default_configEiiEEPiN6hipcub22TransformInputIteratorIsNS7_6CastOpIsEEPslEEPfsNS7_8EqualityENS7_3SumENS0_19lookback_scan_stateINS_5tupleIJibEEELb1ELb1EEEiEEvT2_T3_T4_T5_T6_T7_T8_mmmPKNSH_IJT9_bEEE
                                        ; -- End function
	.section	.AMDGPU.csdata,"",@progbits
; Kernel info:
; codeLenInByte = 4
; NumSgprs: 6
; NumVgprs: 0
; NumAgprs: 0
; TotalNumVgprs: 0
; ScratchSize: 0
; MemoryBound: 0
; FloatMode: 240
; IeeeMode: 1
; LDSByteSize: 0 bytes/workgroup (compile time only)
; SGPRBlocks: 0
; VGPRBlocks: 0
; NumSGPRsForWavesPerEU: 6
; NumVGPRsForWavesPerEU: 1
; AccumOffset: 4
; Occupancy: 8
; WaveLimiterHint : 0
; COMPUTE_PGM_RSRC2:SCRATCH_EN: 0
; COMPUTE_PGM_RSRC2:USER_SGPR: 2
; COMPUTE_PGM_RSRC2:TRAP_HANDLER: 0
; COMPUTE_PGM_RSRC2:TGID_X_EN: 1
; COMPUTE_PGM_RSRC2:TGID_Y_EN: 0
; COMPUTE_PGM_RSRC2:TGID_Z_EN: 0
; COMPUTE_PGM_RSRC2:TIDIG_COMP_CNT: 0
; COMPUTE_PGM_RSRC3_GFX90A:ACCUM_OFFSET: 0
; COMPUTE_PGM_RSRC3_GFX90A:TG_SPLIT: 0
	.section	.text._ZN7rocprim6detail25device_scan_by_key_kernelILNS0_25lookback_scan_determinismE0ELb1ENS0_26wrapped_scan_by_key_configINS_14default_configEiiEEPiN6hipcub22TransformInputIteratorIsNS7_6CastOpIsEEPslEEPfsNS7_8EqualityENS7_3SumENS0_19lookback_scan_stateINS_5tupleIJibEEELb0ELb1EEEiEEvT2_T3_T4_T5_T6_T7_T8_mmmPKNSH_IJT9_bEEE,"axG",@progbits,_ZN7rocprim6detail25device_scan_by_key_kernelILNS0_25lookback_scan_determinismE0ELb1ENS0_26wrapped_scan_by_key_configINS_14default_configEiiEEPiN6hipcub22TransformInputIteratorIsNS7_6CastOpIsEEPslEEPfsNS7_8EqualityENS7_3SumENS0_19lookback_scan_stateINS_5tupleIJibEEELb0ELb1EEEiEEvT2_T3_T4_T5_T6_T7_T8_mmmPKNSH_IJT9_bEEE,comdat
	.protected	_ZN7rocprim6detail25device_scan_by_key_kernelILNS0_25lookback_scan_determinismE0ELb1ENS0_26wrapped_scan_by_key_configINS_14default_configEiiEEPiN6hipcub22TransformInputIteratorIsNS7_6CastOpIsEEPslEEPfsNS7_8EqualityENS7_3SumENS0_19lookback_scan_stateINS_5tupleIJibEEELb0ELb1EEEiEEvT2_T3_T4_T5_T6_T7_T8_mmmPKNSH_IJT9_bEEE ; -- Begin function _ZN7rocprim6detail25device_scan_by_key_kernelILNS0_25lookback_scan_determinismE0ELb1ENS0_26wrapped_scan_by_key_configINS_14default_configEiiEEPiN6hipcub22TransformInputIteratorIsNS7_6CastOpIsEEPslEEPfsNS7_8EqualityENS7_3SumENS0_19lookback_scan_stateINS_5tupleIJibEEELb0ELb1EEEiEEvT2_T3_T4_T5_T6_T7_T8_mmmPKNSH_IJT9_bEEE
	.globl	_ZN7rocprim6detail25device_scan_by_key_kernelILNS0_25lookback_scan_determinismE0ELb1ENS0_26wrapped_scan_by_key_configINS_14default_configEiiEEPiN6hipcub22TransformInputIteratorIsNS7_6CastOpIsEEPslEEPfsNS7_8EqualityENS7_3SumENS0_19lookback_scan_stateINS_5tupleIJibEEELb0ELb1EEEiEEvT2_T3_T4_T5_T6_T7_T8_mmmPKNSH_IJT9_bEEE
	.p2align	8
	.type	_ZN7rocprim6detail25device_scan_by_key_kernelILNS0_25lookback_scan_determinismE0ELb1ENS0_26wrapped_scan_by_key_configINS_14default_configEiiEEPiN6hipcub22TransformInputIteratorIsNS7_6CastOpIsEEPslEEPfsNS7_8EqualityENS7_3SumENS0_19lookback_scan_stateINS_5tupleIJibEEELb0ELb1EEEiEEvT2_T3_T4_T5_T6_T7_T8_mmmPKNSH_IJT9_bEEE,@function
_ZN7rocprim6detail25device_scan_by_key_kernelILNS0_25lookback_scan_determinismE0ELb1ENS0_26wrapped_scan_by_key_configINS_14default_configEiiEEPiN6hipcub22TransformInputIteratorIsNS7_6CastOpIsEEPslEEPfsNS7_8EqualityENS7_3SumENS0_19lookback_scan_stateINS_5tupleIJibEEELb0ELb1EEEiEEvT2_T3_T4_T5_T6_T7_T8_mmmPKNSH_IJT9_bEEE: ; @_ZN7rocprim6detail25device_scan_by_key_kernelILNS0_25lookback_scan_determinismE0ELb1ENS0_26wrapped_scan_by_key_configINS_14default_configEiiEEPiN6hipcub22TransformInputIteratorIsNS7_6CastOpIsEEPslEEPfsNS7_8EqualityENS7_3SumENS0_19lookback_scan_stateINS_5tupleIJibEEELb0ELb1EEEiEEvT2_T3_T4_T5_T6_T7_T8_mmmPKNSH_IJT9_bEEE
; %bb.0:
	s_load_dword s3, s[0:1], 0x20
	s_load_dwordx4 s[4:7], s[0:1], 0x0
	s_load_dwordx8 s[64:71], s[0:1], 0x28
	s_load_dwordx2 s[74:75], s[0:1], 0x48
	s_mul_i32 s8, s2, 0x1700
	s_mov_b32 s9, 0
	s_lshl_b64 s[72:73], s[8:9], 2
	s_waitcnt lgkmcnt(0)
	s_add_u32 s54, s4, s72
	s_addc_u32 s55, s5, s73
	s_lshl_b64 s[4:5], s[8:9], 1
	s_add_u32 s52, s6, s4
	s_addc_u32 s53, s7, s5
	s_add_u32 s6, s2, s68
	s_addc_u32 s7, 0, s69
	s_add_u32 s8, s70, -1
	s_addc_u32 s9, s71, -1
	v_mov_b64_e32 v[2:3], s[8:9]
	v_cmp_ge_u64_e64 s[60:61], s[6:7], v[2:3]
	s_sext_i32_i16 s67, s3
	s_mov_b64 s[4:5], -1
	s_and_b64 vcc, exec, s[60:61]
	s_mul_i32 s33, s8, 0xffffe900
	v_lshlrev_b32_e32 v10, 2, v0
	s_cbranch_vccz .LBB107_71
; %bb.1:
	s_load_dword s56, s[54:55], 0x0
	s_add_i32 s3, s33, s66
	v_mov_b32_e32 v11, 0
	v_lshl_add_u64 v[2:3], s[54:55], 0, v[10:11]
	v_cmp_gt_u32_e64 s[4:5], s3, v0
	s_waitcnt lgkmcnt(0)
	v_mov_b32_e32 v1, s56
	s_and_saveexec_b64 s[6:7], s[4:5]
	s_cbranch_execz .LBB107_3
; %bb.2:
	global_load_dword v1, v[2:3], off
.LBB107_3:
	s_or_b64 exec, exec, s[6:7]
	v_or_b32_e32 v4, 0x100, v0
	v_cmp_gt_u32_e64 s[6:7], s3, v4
	v_mov_b32_e32 v4, s56
	s_and_saveexec_b64 s[8:9], s[6:7]
	s_cbranch_execz .LBB107_5
; %bb.4:
	global_load_dword v4, v[2:3], off offset:1024
.LBB107_5:
	s_or_b64 exec, exec, s[8:9]
	v_or_b32_e32 v5, 0x200, v0
	v_cmp_gt_u32_e64 s[8:9], s3, v5
	v_mov_b32_e32 v5, s56
	s_and_saveexec_b64 s[10:11], s[8:9]
	s_cbranch_execz .LBB107_7
; %bb.6:
	global_load_dword v5, v[2:3], off offset:2048
.LBB107_7:
	;; [unrolled: 9-line block ×3, first 2 shown]
	s_or_b64 exec, exec, s[12:13]
	v_or_b32_e32 v7, 0x400, v0
	v_cmp_gt_u32_e64 s[12:13], s3, v7
	v_mov_b32_e32 v7, s56
	s_and_saveexec_b64 s[14:15], s[12:13]
	s_cbranch_execz .LBB107_11
; %bb.10:
	v_add_co_u32_e32 v8, vcc, 0x1000, v2
	s_nop 1
	v_addc_co_u32_e32 v9, vcc, 0, v3, vcc
	global_load_dword v7, v[8:9], off
.LBB107_11:
	s_or_b64 exec, exec, s[14:15]
	v_or_b32_e32 v8, 0x500, v0
	v_cmp_gt_u32_e64 s[14:15], s3, v8
	v_mov_b32_e32 v8, s56
	s_and_saveexec_b64 s[16:17], s[14:15]
	s_cbranch_execz .LBB107_13
; %bb.12:
	v_add_co_u32_e32 v8, vcc, 0x1000, v2
	s_nop 1
	v_addc_co_u32_e32 v9, vcc, 0, v3, vcc
	global_load_dword v8, v[8:9], off offset:1024
.LBB107_13:
	s_or_b64 exec, exec, s[16:17]
	v_or_b32_e32 v9, 0x600, v0
	v_cmp_gt_u32_e64 s[16:17], s3, v9
	v_mov_b32_e32 v9, s56
	s_and_saveexec_b64 s[18:19], s[16:17]
	s_cbranch_execz .LBB107_15
; %bb.14:
	v_add_co_u32_e32 v12, vcc, 0x1000, v2
	s_nop 1
	v_addc_co_u32_e32 v13, vcc, 0, v3, vcc
	global_load_dword v9, v[12:13], off offset:2048
.LBB107_15:
	s_or_b64 exec, exec, s[18:19]
	v_or_b32_e32 v11, 0x700, v0
	v_cmp_gt_u32_e64 s[18:19], s3, v11
	v_mov_b32_e32 v11, s56
	s_and_saveexec_b64 s[20:21], s[18:19]
	s_cbranch_execz .LBB107_17
; %bb.16:
	v_add_co_u32_e32 v12, vcc, 0x1000, v2
	s_nop 1
	v_addc_co_u32_e32 v13, vcc, 0, v3, vcc
	global_load_dword v11, v[12:13], off offset:3072
.LBB107_17:
	s_or_b64 exec, exec, s[20:21]
	v_or_b32_e32 v12, 0x800, v0
	v_cmp_gt_u32_e64 s[20:21], s3, v12
	v_mov_b32_e32 v12, s56
	s_and_saveexec_b64 s[22:23], s[20:21]
	s_cbranch_execz .LBB107_19
; %bb.18:
	v_add_co_u32_e32 v12, vcc, 0x2000, v2
	s_nop 1
	v_addc_co_u32_e32 v13, vcc, 0, v3, vcc
	global_load_dword v12, v[12:13], off
.LBB107_19:
	s_or_b64 exec, exec, s[22:23]
	v_or_b32_e32 v13, 0x900, v0
	v_cmp_gt_u32_e64 s[22:23], s3, v13
	v_mov_b32_e32 v13, s56
	s_and_saveexec_b64 s[24:25], s[22:23]
	s_cbranch_execz .LBB107_21
; %bb.20:
	v_add_co_u32_e32 v14, vcc, 0x2000, v2
	s_nop 1
	v_addc_co_u32_e32 v15, vcc, 0, v3, vcc
	global_load_dword v13, v[14:15], off offset:1024
.LBB107_21:
	s_or_b64 exec, exec, s[24:25]
	v_or_b32_e32 v14, 0xa00, v0
	v_cmp_gt_u32_e64 s[24:25], s3, v14
	v_mov_b32_e32 v14, s56
	s_and_saveexec_b64 s[26:27], s[24:25]
	s_cbranch_execz .LBB107_23
; %bb.22:
	v_add_co_u32_e32 v14, vcc, 0x2000, v2
	s_nop 1
	v_addc_co_u32_e32 v15, vcc, 0, v3, vcc
	global_load_dword v14, v[14:15], off offset:2048
.LBB107_23:
	s_or_b64 exec, exec, s[26:27]
	v_or_b32_e32 v15, 0xb00, v0
	v_cmp_gt_u32_e64 s[26:27], s3, v15
	v_mov_b32_e32 v15, s56
	s_and_saveexec_b64 s[28:29], s[26:27]
	s_cbranch_execz .LBB107_25
; %bb.24:
	v_add_co_u32_e32 v16, vcc, 0x2000, v2
	s_nop 1
	v_addc_co_u32_e32 v17, vcc, 0, v3, vcc
	global_load_dword v15, v[16:17], off offset:3072
.LBB107_25:
	;; [unrolled: 48-line block ×4, first 2 shown]
	s_or_b64 exec, exec, s[46:47]
	v_or_b32_e32 v24, 0x1400, v0
	v_cmp_gt_u32_e64 s[46:47], s3, v24
	v_mov_b32_e32 v24, s56
	s_and_saveexec_b64 s[48:49], s[46:47]
	s_cbranch_execz .LBB107_43
; %bb.42:
	v_add_co_u32_e32 v24, vcc, 0x5000, v2
	s_nop 1
	v_addc_co_u32_e32 v25, vcc, 0, v3, vcc
	global_load_dword v24, v[24:25], off
.LBB107_43:
	s_or_b64 exec, exec, s[48:49]
	v_or_b32_e32 v25, 0x1500, v0
	v_cmp_gt_u32_e64 s[48:49], s3, v25
	v_mov_b32_e32 v25, s56
	s_and_saveexec_b64 s[50:51], s[48:49]
	s_cbranch_execz .LBB107_45
; %bb.44:
	v_add_co_u32_e32 v26, vcc, 0x5000, v2
	s_nop 1
	v_addc_co_u32_e32 v27, vcc, 0, v3, vcc
	global_load_dword v25, v[26:27], off offset:1024
.LBB107_45:
	s_or_b64 exec, exec, s[50:51]
	v_or_b32_e32 v26, 0x1600, v0
	v_cmp_gt_u32_e64 s[50:51], s3, v26
	v_mov_b32_e32 v26, s56
	s_and_saveexec_b64 s[56:57], s[50:51]
	s_cbranch_execz .LBB107_47
; %bb.46:
	v_add_co_u32_e32 v2, vcc, 0x5000, v2
	s_nop 1
	v_addc_co_u32_e32 v3, vcc, 0, v3, vcc
	global_load_dword v26, v[2:3], off offset:2048
.LBB107_47:
	s_or_b64 exec, exec, s[56:57]
	s_movk_i32 s56, 0x58
	s_waitcnt vmcnt(0)
	ds_write2st64_b32 v10, v1, v4 offset1:4
	ds_write2st64_b32 v10, v5, v6 offset0:8 offset1:12
	ds_write2st64_b32 v10, v7, v8 offset0:16 offset1:20
	;; [unrolled: 1-line block ×10, first 2 shown]
	ds_write_b32 v10, v26 offset:22528
	v_mad_u32_u24 v11, v0, s56, v10
	s_waitcnt lgkmcnt(0)
	s_barrier
	ds_read_b32 v73, v11
	ds_read2_b32 v[70:71], v11 offset0:1 offset1:2
	ds_read2_b32 v[68:69], v11 offset0:3 offset1:4
	;; [unrolled: 1-line block ×11, first 2 shown]
	s_load_dword s56, s[54:55], 0x0
	s_movk_i32 s57, 0xffa8
	v_mad_i32_i24 v1, v0, s57, v11
	s_movk_i32 s57, 0xff
	s_waitcnt lgkmcnt(0)
	ds_write_b32 v1, v73 offset:24576
	v_cmp_ne_u32_e32 vcc, s57, v0
	v_mov_b32_e32 v1, s56
	s_waitcnt lgkmcnt(0)
	s_barrier
	s_and_saveexec_b64 s[56:57], vcc
	s_cbranch_execz .LBB107_49
; %bb.48:
	ds_read_b32 v1, v10 offset:24580
.LBB107_49:
	s_or_b64 exec, exec, s[56:57]
	v_lshlrev_b32_e32 v2, 1, v0
	v_mov_b32_e32 v3, 0
	v_lshl_add_u64 v[2:3], s[52:53], 0, v[2:3]
	s_waitcnt lgkmcnt(0)
	s_barrier
	s_waitcnt lgkmcnt(0)
                                        ; implicit-def: $vgpr12
	s_and_saveexec_b64 s[56:57], s[4:5]
	s_cbranch_execz .LBB107_72
; %bb.50:
	global_load_sshort v12, v[2:3], off
	s_or_b64 exec, exec, s[56:57]
                                        ; implicit-def: $vgpr13
	s_and_saveexec_b64 s[4:5], s[6:7]
	s_cbranch_execnz .LBB107_73
.LBB107_51:
	s_or_b64 exec, exec, s[4:5]
                                        ; implicit-def: $vgpr14
	s_and_saveexec_b64 s[4:5], s[8:9]
	s_cbranch_execz .LBB107_74
.LBB107_52:
	global_load_sshort v14, v[2:3], off offset:1024
	s_or_b64 exec, exec, s[4:5]
                                        ; implicit-def: $vgpr15
	s_and_saveexec_b64 s[4:5], s[10:11]
	s_cbranch_execnz .LBB107_75
.LBB107_53:
	s_or_b64 exec, exec, s[4:5]
                                        ; implicit-def: $vgpr16
	s_and_saveexec_b64 s[4:5], s[12:13]
	s_cbranch_execz .LBB107_76
.LBB107_54:
	global_load_sshort v16, v[2:3], off offset:2048
	s_or_b64 exec, exec, s[4:5]
                                        ; implicit-def: $vgpr17
	s_and_saveexec_b64 s[4:5], s[14:15]
	s_cbranch_execnz .LBB107_77
.LBB107_55:
	s_or_b64 exec, exec, s[4:5]
                                        ; implicit-def: $vgpr18
	s_and_saveexec_b64 s[4:5], s[16:17]
	s_cbranch_execz .LBB107_78
.LBB107_56:
	global_load_sshort v18, v[2:3], off offset:3072
	s_or_b64 exec, exec, s[4:5]
                                        ; implicit-def: $vgpr19
	s_and_saveexec_b64 s[4:5], s[18:19]
	s_cbranch_execnz .LBB107_79
.LBB107_57:
	s_or_b64 exec, exec, s[4:5]
                                        ; implicit-def: $vgpr20
	s_and_saveexec_b64 s[4:5], s[20:21]
	s_cbranch_execz .LBB107_80
.LBB107_58:
	v_add_co_u32_e32 v20, vcc, 0x1000, v2
	s_nop 1
	v_addc_co_u32_e32 v21, vcc, 0, v3, vcc
	global_load_sshort v20, v[20:21], off
	s_or_b64 exec, exec, s[4:5]
                                        ; implicit-def: $vgpr21
	s_and_saveexec_b64 s[4:5], s[22:23]
	s_cbranch_execnz .LBB107_81
.LBB107_59:
	s_or_b64 exec, exec, s[4:5]
                                        ; implicit-def: $vgpr22
	s_and_saveexec_b64 s[4:5], s[24:25]
	s_cbranch_execz .LBB107_82
.LBB107_60:
	v_add_co_u32_e32 v22, vcc, 0x1000, v2
	s_nop 1
	v_addc_co_u32_e32 v23, vcc, 0, v3, vcc
	global_load_sshort v22, v[22:23], off offset:1024
	s_or_b64 exec, exec, s[4:5]
                                        ; implicit-def: $vgpr23
	s_and_saveexec_b64 s[4:5], s[26:27]
	s_cbranch_execnz .LBB107_83
.LBB107_61:
	s_or_b64 exec, exec, s[4:5]
                                        ; implicit-def: $vgpr24
	s_and_saveexec_b64 s[4:5], s[28:29]
	s_cbranch_execz .LBB107_84
.LBB107_62:
	v_add_co_u32_e32 v24, vcc, 0x1000, v2
	s_nop 1
	v_addc_co_u32_e32 v25, vcc, 0, v3, vcc
	global_load_sshort v24, v[24:25], off offset:2048
	s_or_b64 exec, exec, s[4:5]
                                        ; implicit-def: $vgpr25
	s_and_saveexec_b64 s[4:5], s[30:31]
	s_cbranch_execnz .LBB107_85
.LBB107_63:
	s_or_b64 exec, exec, s[4:5]
                                        ; implicit-def: $vgpr26
	s_and_saveexec_b64 s[4:5], s[34:35]
	s_cbranch_execz .LBB107_86
.LBB107_64:
	v_add_co_u32_e32 v26, vcc, 0x1000, v2
	s_nop 1
	v_addc_co_u32_e32 v27, vcc, 0, v3, vcc
	global_load_sshort v26, v[26:27], off offset:3072
	s_or_b64 exec, exec, s[4:5]
                                        ; implicit-def: $vgpr27
	s_and_saveexec_b64 s[4:5], s[36:37]
	s_cbranch_execnz .LBB107_87
.LBB107_65:
	s_or_b64 exec, exec, s[4:5]
                                        ; implicit-def: $vgpr28
	s_and_saveexec_b64 s[4:5], s[38:39]
	s_cbranch_execz .LBB107_88
.LBB107_66:
	v_add_co_u32_e32 v28, vcc, 0x2000, v2
	s_nop 1
	v_addc_co_u32_e32 v29, vcc, 0, v3, vcc
	global_load_sshort v28, v[28:29], off
	s_or_b64 exec, exec, s[4:5]
                                        ; implicit-def: $vgpr29
	s_and_saveexec_b64 s[4:5], s[40:41]
	s_cbranch_execnz .LBB107_89
.LBB107_67:
	s_or_b64 exec, exec, s[4:5]
                                        ; implicit-def: $vgpr30
	s_and_saveexec_b64 s[4:5], s[42:43]
	s_cbranch_execz .LBB107_90
.LBB107_68:
	v_add_co_u32_e32 v30, vcc, 0x2000, v2
	s_nop 1
	v_addc_co_u32_e32 v31, vcc, 0, v3, vcc
	global_load_sshort v30, v[30:31], off offset:1024
	s_or_b64 exec, exec, s[4:5]
                                        ; implicit-def: $vgpr31
	s_and_saveexec_b64 s[4:5], s[44:45]
	s_cbranch_execnz .LBB107_91
.LBB107_69:
	s_or_b64 exec, exec, s[4:5]
                                        ; implicit-def: $vgpr32
	s_and_saveexec_b64 s[4:5], s[46:47]
	s_cbranch_execz .LBB107_92
.LBB107_70:
	v_add_co_u32_e32 v32, vcc, 0x2000, v2
	s_nop 1
	v_addc_co_u32_e32 v33, vcc, 0, v3, vcc
	global_load_sshort v32, v[32:33], off offset:2048
	s_or_b64 exec, exec, s[4:5]
                                        ; implicit-def: $vgpr33
	s_and_saveexec_b64 s[4:5], s[48:49]
	s_cbranch_execz .LBB107_94
	s_branch .LBB107_93
.LBB107_71:
	s_mov_b64 s[10:11], 0
                                        ; implicit-def: $sgpr8_sgpr9
                                        ; implicit-def: $vgpr2
                                        ; implicit-def: $vgpr12_vgpr13
                                        ; implicit-def: $vgpr14_vgpr15
                                        ; implicit-def: $vgpr16_vgpr17
                                        ; implicit-def: $vgpr18_vgpr19
                                        ; implicit-def: $vgpr20_vgpr21
                                        ; implicit-def: $vgpr22_vgpr23
                                        ; implicit-def: $vgpr24_vgpr25
                                        ; implicit-def: $vgpr26_vgpr27
                                        ; implicit-def: $vgpr28_vgpr29
                                        ; implicit-def: $vgpr30_vgpr31
                                        ; implicit-def: $vgpr32_vgpr33
                                        ; implicit-def: $vgpr34_vgpr35
                                        ; implicit-def: $vgpr36_vgpr37
                                        ; implicit-def: $vgpr38_vgpr39
                                        ; implicit-def: $vgpr40_vgpr41
                                        ; implicit-def: $vgpr42_vgpr43
                                        ; implicit-def: $vgpr44_vgpr45
                                        ; implicit-def: $vgpr46_vgpr47
                                        ; implicit-def: $vgpr48_vgpr49
                                        ; implicit-def: $vgpr50_vgpr51
                                        ; implicit-def: $vgpr52_vgpr53
                                        ; implicit-def: $vgpr54_vgpr55
                                        ; implicit-def: $sgpr6_sgpr7
	s_and_b64 vcc, exec, s[4:5]
	s_cbranch_vccz .LBB107_148
	s_branch .LBB107_143
.LBB107_72:
	s_or_b64 exec, exec, s[56:57]
                                        ; implicit-def: $vgpr13
	s_and_saveexec_b64 s[4:5], s[6:7]
	s_cbranch_execz .LBB107_51
.LBB107_73:
	global_load_sshort v13, v[2:3], off offset:512
	s_or_b64 exec, exec, s[4:5]
                                        ; implicit-def: $vgpr14
	s_and_saveexec_b64 s[4:5], s[8:9]
	s_cbranch_execnz .LBB107_52
.LBB107_74:
	s_or_b64 exec, exec, s[4:5]
                                        ; implicit-def: $vgpr15
	s_and_saveexec_b64 s[4:5], s[10:11]
	s_cbranch_execz .LBB107_53
.LBB107_75:
	global_load_sshort v15, v[2:3], off offset:1536
	s_or_b64 exec, exec, s[4:5]
                                        ; implicit-def: $vgpr16
	s_and_saveexec_b64 s[4:5], s[12:13]
	s_cbranch_execnz .LBB107_54
.LBB107_76:
	s_or_b64 exec, exec, s[4:5]
                                        ; implicit-def: $vgpr17
	s_and_saveexec_b64 s[4:5], s[14:15]
	s_cbranch_execz .LBB107_55
.LBB107_77:
	global_load_sshort v17, v[2:3], off offset:2560
	s_or_b64 exec, exec, s[4:5]
                                        ; implicit-def: $vgpr18
	s_and_saveexec_b64 s[4:5], s[16:17]
	s_cbranch_execnz .LBB107_56
.LBB107_78:
	s_or_b64 exec, exec, s[4:5]
                                        ; implicit-def: $vgpr19
	s_and_saveexec_b64 s[4:5], s[18:19]
	s_cbranch_execz .LBB107_57
.LBB107_79:
	global_load_sshort v19, v[2:3], off offset:3584
	s_or_b64 exec, exec, s[4:5]
                                        ; implicit-def: $vgpr20
	s_and_saveexec_b64 s[4:5], s[20:21]
	s_cbranch_execnz .LBB107_58
.LBB107_80:
	s_or_b64 exec, exec, s[4:5]
                                        ; implicit-def: $vgpr21
	s_and_saveexec_b64 s[4:5], s[22:23]
	s_cbranch_execz .LBB107_59
.LBB107_81:
	v_add_co_u32_e32 v22, vcc, 0x1000, v2
	s_nop 1
	v_addc_co_u32_e32 v23, vcc, 0, v3, vcc
	global_load_sshort v21, v[22:23], off offset:512
	s_or_b64 exec, exec, s[4:5]
                                        ; implicit-def: $vgpr22
	s_and_saveexec_b64 s[4:5], s[24:25]
	s_cbranch_execnz .LBB107_60
.LBB107_82:
	s_or_b64 exec, exec, s[4:5]
                                        ; implicit-def: $vgpr23
	s_and_saveexec_b64 s[4:5], s[26:27]
	s_cbranch_execz .LBB107_61
.LBB107_83:
	v_add_co_u32_e32 v24, vcc, 0x1000, v2
	s_nop 1
	v_addc_co_u32_e32 v25, vcc, 0, v3, vcc
	global_load_sshort v23, v[24:25], off offset:1536
	s_or_b64 exec, exec, s[4:5]
                                        ; implicit-def: $vgpr24
	s_and_saveexec_b64 s[4:5], s[28:29]
	s_cbranch_execnz .LBB107_62
.LBB107_84:
	s_or_b64 exec, exec, s[4:5]
                                        ; implicit-def: $vgpr25
	s_and_saveexec_b64 s[4:5], s[30:31]
	s_cbranch_execz .LBB107_63
.LBB107_85:
	v_add_co_u32_e32 v26, vcc, 0x1000, v2
	s_nop 1
	v_addc_co_u32_e32 v27, vcc, 0, v3, vcc
	global_load_sshort v25, v[26:27], off offset:2560
	s_or_b64 exec, exec, s[4:5]
                                        ; implicit-def: $vgpr26
	s_and_saveexec_b64 s[4:5], s[34:35]
	s_cbranch_execnz .LBB107_64
.LBB107_86:
	s_or_b64 exec, exec, s[4:5]
                                        ; implicit-def: $vgpr27
	s_and_saveexec_b64 s[4:5], s[36:37]
	s_cbranch_execz .LBB107_65
.LBB107_87:
	v_add_co_u32_e32 v28, vcc, 0x1000, v2
	s_nop 1
	v_addc_co_u32_e32 v29, vcc, 0, v3, vcc
	global_load_sshort v27, v[28:29], off offset:3584
	s_or_b64 exec, exec, s[4:5]
                                        ; implicit-def: $vgpr28
	s_and_saveexec_b64 s[4:5], s[38:39]
	s_cbranch_execnz .LBB107_66
.LBB107_88:
	s_or_b64 exec, exec, s[4:5]
                                        ; implicit-def: $vgpr29
	s_and_saveexec_b64 s[4:5], s[40:41]
	s_cbranch_execz .LBB107_67
.LBB107_89:
	v_add_co_u32_e32 v30, vcc, 0x2000, v2
	s_nop 1
	v_addc_co_u32_e32 v31, vcc, 0, v3, vcc
	global_load_sshort v29, v[30:31], off offset:512
	s_or_b64 exec, exec, s[4:5]
                                        ; implicit-def: $vgpr30
	s_and_saveexec_b64 s[4:5], s[42:43]
	s_cbranch_execnz .LBB107_68
.LBB107_90:
	s_or_b64 exec, exec, s[4:5]
                                        ; implicit-def: $vgpr31
	s_and_saveexec_b64 s[4:5], s[44:45]
	s_cbranch_execz .LBB107_69
.LBB107_91:
	v_add_co_u32_e32 v32, vcc, 0x2000, v2
	s_nop 1
	v_addc_co_u32_e32 v33, vcc, 0, v3, vcc
	global_load_sshort v31, v[32:33], off offset:1536
	s_or_b64 exec, exec, s[4:5]
                                        ; implicit-def: $vgpr32
	s_and_saveexec_b64 s[4:5], s[46:47]
	s_cbranch_execnz .LBB107_70
.LBB107_92:
	s_or_b64 exec, exec, s[4:5]
                                        ; implicit-def: $vgpr33
	s_and_saveexec_b64 s[4:5], s[48:49]
	s_cbranch_execz .LBB107_94
.LBB107_93:
	v_add_co_u32_e32 v34, vcc, 0x2000, v2
	s_nop 1
	v_addc_co_u32_e32 v35, vcc, 0, v3, vcc
	global_load_sshort v33, v[34:35], off offset:2560
.LBB107_94:
	s_or_b64 exec, exec, s[4:5]
	v_mul_u32_u24_e32 v72, 23, v0
                                        ; implicit-def: $vgpr34
	s_and_saveexec_b64 s[4:5], s[50:51]
	s_cbranch_execz .LBB107_96
; %bb.95:
	v_add_co_u32_e32 v2, vcc, 0x2000, v2
	s_nop 1
	v_addc_co_u32_e32 v3, vcc, 0, v3, vcc
	global_load_sshort v34, v[2:3], off offset:3072
.LBB107_96:
	s_or_b64 exec, exec, s[4:5]
	s_waitcnt vmcnt(0)
	ds_write2st64_b32 v10, v12, v13 offset1:4
	ds_write2st64_b32 v10, v14, v15 offset0:8 offset1:12
	ds_write2st64_b32 v10, v16, v17 offset0:16 offset1:20
	;; [unrolled: 1-line block ×10, first 2 shown]
	ds_write_b32 v10, v34 offset:22528
	v_mov_b64_e32 v[12:13], 0
	v_cmp_gt_u32_e32 vcc, s3, v72
	s_mov_b64 s[10:11], 0
	s_mov_b64 s[4:5], 0
	v_mov_b64_e32 v[14:15], v[12:13]
	v_mov_b64_e32 v[16:17], v[12:13]
	;; [unrolled: 1-line block ×21, first 2 shown]
	s_waitcnt lgkmcnt(0)
	s_barrier
	s_waitcnt lgkmcnt(0)
                                        ; implicit-def: $sgpr8_sgpr9
                                        ; implicit-def: $vgpr2
	s_and_saveexec_b64 s[6:7], vcc
	s_cbranch_execz .LBB107_142
; %bb.97:
	ds_read_b32 v2, v11
	v_mov_b32_e32 v12, s67
	v_cmp_eq_u32_e32 vcc, v73, v70
	v_add_u32_e32 v3, 1, v72
	v_mov_b64_e32 v[14:15], 0
	s_waitcnt lgkmcnt(0)
	v_cndmask_b32_e32 v12, v12, v2, vcc
	v_cmp_ne_u32_e32 vcc, v73, v70
	s_mov_b64 s[12:13], 0
	v_mov_b64_e32 v[16:17], v[14:15]
	v_cndmask_b32_e64 v13, 0, 1, vcc
	v_cmp_gt_u32_e32 vcc, s3, v3
	v_mov_b64_e32 v[18:19], v[14:15]
	v_mov_b64_e32 v[20:21], v[14:15]
	v_mov_b64_e32 v[22:23], v[14:15]
	v_mov_b64_e32 v[24:25], v[14:15]
	v_mov_b64_e32 v[26:27], v[14:15]
	v_mov_b64_e32 v[28:29], v[14:15]
	v_mov_b64_e32 v[30:31], v[14:15]
	v_mov_b64_e32 v[32:33], v[14:15]
	v_mov_b64_e32 v[34:35], v[14:15]
	v_mov_b64_e32 v[36:37], v[14:15]
	v_mov_b64_e32 v[38:39], v[14:15]
	v_mov_b64_e32 v[40:41], v[14:15]
	v_mov_b64_e32 v[42:43], v[14:15]
	v_mov_b64_e32 v[44:45], v[14:15]
	v_mov_b64_e32 v[46:47], v[14:15]
	v_mov_b64_e32 v[48:49], v[14:15]
	v_mov_b64_e32 v[50:51], v[14:15]
	v_mov_b64_e32 v[52:53], v[14:15]
	v_mov_b64_e32 v[54:55], v[14:15]
                                        ; implicit-def: $sgpr14_sgpr15
                                        ; implicit-def: $vgpr2
	s_and_saveexec_b64 s[8:9], vcc
	s_cbranch_execz .LBB107_141
; %bb.98:
	ds_read2_b32 v[2:3], v11 offset0:1 offset1:2
	v_mov_b32_e32 v14, s67
	v_cmp_eq_u32_e32 vcc, v70, v71
	v_add_u32_e32 v16, 2, v72
	s_mov_b64 s[14:15], 0
	s_waitcnt lgkmcnt(0)
	v_cndmask_b32_e32 v14, v14, v2, vcc
	v_cmp_ne_u32_e32 vcc, v70, v71
                                        ; implicit-def: $sgpr16_sgpr17
                                        ; implicit-def: $vgpr2
	s_nop 1
	v_cndmask_b32_e64 v15, 0, 1, vcc
	v_cmp_gt_u32_e32 vcc, s3, v16
	v_mov_b64_e32 v[16:17], 0
	v_mov_b64_e32 v[18:19], v[16:17]
	;; [unrolled: 1-line block ×20, first 2 shown]
	s_and_saveexec_b64 s[10:11], vcc
	s_cbranch_execz .LBB107_140
; %bb.99:
	v_mov_b32_e32 v16, s67
	v_cmp_eq_u32_e32 vcc, v71, v68
	v_add_u32_e32 v2, 3, v72
	v_mov_b64_e32 v[18:19], 0
	v_cndmask_b32_e32 v16, v16, v3, vcc
	v_cmp_ne_u32_e32 vcc, v71, v68
	s_mov_b64 s[16:17], 0
	v_mov_b64_e32 v[20:21], v[18:19]
	v_cndmask_b32_e64 v17, 0, 1, vcc
	v_cmp_gt_u32_e32 vcc, s3, v2
	v_mov_b64_e32 v[22:23], v[18:19]
	v_mov_b64_e32 v[24:25], v[18:19]
	;; [unrolled: 1-line block ×17, first 2 shown]
                                        ; implicit-def: $sgpr18_sgpr19
                                        ; implicit-def: $vgpr2
	s_and_saveexec_b64 s[12:13], vcc
	s_cbranch_execz .LBB107_139
; %bb.100:
	ds_read2_b32 v[2:3], v11 offset0:3 offset1:4
	v_mov_b32_e32 v18, s67
	v_cmp_eq_u32_e32 vcc, v68, v69
	v_add_u32_e32 v20, 4, v72
	s_mov_b64 s[18:19], 0
	s_waitcnt lgkmcnt(0)
	v_cndmask_b32_e32 v18, v18, v2, vcc
	v_cmp_ne_u32_e32 vcc, v68, v69
                                        ; implicit-def: $sgpr20_sgpr21
                                        ; implicit-def: $vgpr2
	s_nop 1
	v_cndmask_b32_e64 v19, 0, 1, vcc
	v_cmp_gt_u32_e32 vcc, s3, v20
	v_mov_b64_e32 v[20:21], 0
	v_mov_b64_e32 v[22:23], v[20:21]
	;; [unrolled: 1-line block ×18, first 2 shown]
	s_and_saveexec_b64 s[14:15], vcc
	s_cbranch_execz .LBB107_138
; %bb.101:
	v_mov_b32_e32 v20, s67
	v_cmp_eq_u32_e32 vcc, v69, v66
	v_add_u32_e32 v2, 5, v72
	v_mov_b64_e32 v[22:23], 0
	v_cndmask_b32_e32 v20, v20, v3, vcc
	v_cmp_ne_u32_e32 vcc, v69, v66
	s_mov_b64 s[20:21], 0
	v_mov_b64_e32 v[24:25], v[22:23]
	v_cndmask_b32_e64 v21, 0, 1, vcc
	v_cmp_gt_u32_e32 vcc, s3, v2
	v_mov_b64_e32 v[26:27], v[22:23]
	v_mov_b64_e32 v[28:29], v[22:23]
	;; [unrolled: 1-line block ×15, first 2 shown]
                                        ; implicit-def: $sgpr22_sgpr23
                                        ; implicit-def: $vgpr2
	s_and_saveexec_b64 s[16:17], vcc
	s_cbranch_execz .LBB107_137
; %bb.102:
	ds_read2_b32 v[2:3], v11 offset0:5 offset1:6
	v_mov_b32_e32 v22, s67
	v_cmp_eq_u32_e32 vcc, v66, v67
	v_add_u32_e32 v24, 6, v72
	s_mov_b64 s[22:23], 0
	s_waitcnt lgkmcnt(0)
	v_cndmask_b32_e32 v22, v22, v2, vcc
	v_cmp_ne_u32_e32 vcc, v66, v67
                                        ; implicit-def: $sgpr24_sgpr25
                                        ; implicit-def: $vgpr2
	s_nop 1
	v_cndmask_b32_e64 v23, 0, 1, vcc
	v_cmp_gt_u32_e32 vcc, s3, v24
	v_mov_b64_e32 v[24:25], 0
	v_mov_b64_e32 v[26:27], v[24:25]
	;; [unrolled: 1-line block ×16, first 2 shown]
	s_and_saveexec_b64 s[18:19], vcc
	s_cbranch_execz .LBB107_136
; %bb.103:
	v_mov_b32_e32 v24, s67
	v_cmp_eq_u32_e32 vcc, v67, v64
	v_add_u32_e32 v2, 7, v72
	v_mov_b64_e32 v[26:27], 0
	v_cndmask_b32_e32 v24, v24, v3, vcc
	v_cmp_ne_u32_e32 vcc, v67, v64
	s_mov_b64 s[24:25], 0
	v_mov_b64_e32 v[28:29], v[26:27]
	v_cndmask_b32_e64 v25, 0, 1, vcc
	v_cmp_gt_u32_e32 vcc, s3, v2
	v_mov_b64_e32 v[30:31], v[26:27]
	v_mov_b64_e32 v[32:33], v[26:27]
	;; [unrolled: 1-line block ×13, first 2 shown]
                                        ; implicit-def: $sgpr26_sgpr27
                                        ; implicit-def: $vgpr2
	s_and_saveexec_b64 s[20:21], vcc
	s_cbranch_execz .LBB107_135
; %bb.104:
	ds_read2_b32 v[2:3], v11 offset0:7 offset1:8
	v_mov_b32_e32 v26, s67
	v_cmp_eq_u32_e32 vcc, v64, v65
	v_add_u32_e32 v28, 8, v72
	s_mov_b64 s[26:27], 0
	s_waitcnt lgkmcnt(0)
	v_cndmask_b32_e32 v26, v26, v2, vcc
	v_cmp_ne_u32_e32 vcc, v64, v65
                                        ; implicit-def: $sgpr28_sgpr29
                                        ; implicit-def: $vgpr2
	s_nop 1
	v_cndmask_b32_e64 v27, 0, 1, vcc
	v_cmp_gt_u32_e32 vcc, s3, v28
	v_mov_b64_e32 v[28:29], 0
	v_mov_b64_e32 v[30:31], v[28:29]
	;; [unrolled: 1-line block ×14, first 2 shown]
	s_and_saveexec_b64 s[22:23], vcc
	s_cbranch_execz .LBB107_134
; %bb.105:
	v_mov_b32_e32 v28, s67
	v_cmp_eq_u32_e32 vcc, v65, v62
	v_add_u32_e32 v2, 9, v72
	v_mov_b64_e32 v[30:31], 0
	v_cndmask_b32_e32 v28, v28, v3, vcc
	v_cmp_ne_u32_e32 vcc, v65, v62
	s_mov_b64 s[28:29], 0
	v_mov_b64_e32 v[32:33], v[30:31]
	v_cndmask_b32_e64 v29, 0, 1, vcc
	v_cmp_gt_u32_e32 vcc, s3, v2
	v_mov_b64_e32 v[34:35], v[30:31]
	v_mov_b64_e32 v[36:37], v[30:31]
	;; [unrolled: 1-line block ×11, first 2 shown]
                                        ; implicit-def: $sgpr30_sgpr31
                                        ; implicit-def: $vgpr2
	s_and_saveexec_b64 s[24:25], vcc
	s_cbranch_execz .LBB107_133
; %bb.106:
	ds_read2_b32 v[2:3], v11 offset0:9 offset1:10
	v_mov_b32_e32 v30, s67
	v_cmp_eq_u32_e32 vcc, v62, v63
	v_add_u32_e32 v32, 10, v72
	s_mov_b64 s[30:31], 0
	s_waitcnt lgkmcnt(0)
	v_cndmask_b32_e32 v30, v30, v2, vcc
	v_cmp_ne_u32_e32 vcc, v62, v63
                                        ; implicit-def: $sgpr34_sgpr35
                                        ; implicit-def: $vgpr2
	s_nop 1
	v_cndmask_b32_e64 v31, 0, 1, vcc
	v_cmp_gt_u32_e32 vcc, s3, v32
	v_mov_b64_e32 v[32:33], 0
	v_mov_b64_e32 v[34:35], v[32:33]
	v_mov_b64_e32 v[36:37], v[32:33]
	v_mov_b64_e32 v[38:39], v[32:33]
	v_mov_b64_e32 v[40:41], v[32:33]
	v_mov_b64_e32 v[42:43], v[32:33]
	v_mov_b64_e32 v[44:45], v[32:33]
	v_mov_b64_e32 v[46:47], v[32:33]
	v_mov_b64_e32 v[48:49], v[32:33]
	v_mov_b64_e32 v[50:51], v[32:33]
	v_mov_b64_e32 v[52:53], v[32:33]
	v_mov_b64_e32 v[54:55], v[32:33]
	s_and_saveexec_b64 s[26:27], vcc
	s_cbranch_execz .LBB107_132
; %bb.107:
	v_mov_b32_e32 v32, s67
	v_cmp_eq_u32_e32 vcc, v63, v60
	v_add_u32_e32 v2, 11, v72
	v_mov_b64_e32 v[34:35], 0
	v_cndmask_b32_e32 v32, v32, v3, vcc
	v_cmp_ne_u32_e32 vcc, v63, v60
	s_mov_b64 s[34:35], 0
	v_mov_b64_e32 v[36:37], v[34:35]
	v_cndmask_b32_e64 v33, 0, 1, vcc
	v_cmp_gt_u32_e32 vcc, s3, v2
	v_mov_b64_e32 v[38:39], v[34:35]
	v_mov_b64_e32 v[40:41], v[34:35]
	;; [unrolled: 1-line block ×9, first 2 shown]
                                        ; implicit-def: $sgpr36_sgpr37
                                        ; implicit-def: $vgpr2
	s_and_saveexec_b64 s[28:29], vcc
	s_cbranch_execz .LBB107_131
; %bb.108:
	ds_read2_b32 v[2:3], v11 offset0:11 offset1:12
	v_mov_b32_e32 v34, s67
	v_cmp_eq_u32_e32 vcc, v60, v61
	v_add_u32_e32 v36, 12, v72
	s_mov_b64 s[36:37], 0
	s_waitcnt lgkmcnt(0)
	v_cndmask_b32_e32 v34, v34, v2, vcc
	v_cmp_ne_u32_e32 vcc, v60, v61
                                        ; implicit-def: $sgpr38_sgpr39
                                        ; implicit-def: $vgpr2
	s_nop 1
	v_cndmask_b32_e64 v35, 0, 1, vcc
	v_cmp_gt_u32_e32 vcc, s3, v36
	v_mov_b64_e32 v[36:37], 0
	v_mov_b64_e32 v[38:39], v[36:37]
	;; [unrolled: 1-line block ×10, first 2 shown]
	s_and_saveexec_b64 s[30:31], vcc
	s_cbranch_execz .LBB107_130
; %bb.109:
	v_mov_b32_e32 v36, s67
	v_cmp_eq_u32_e32 vcc, v61, v58
	v_add_u32_e32 v2, 13, v72
	v_mov_b64_e32 v[38:39], 0
	v_cndmask_b32_e32 v36, v36, v3, vcc
	v_cmp_ne_u32_e32 vcc, v61, v58
	s_mov_b64 s[38:39], 0
	v_mov_b64_e32 v[40:41], v[38:39]
	v_cndmask_b32_e64 v37, 0, 1, vcc
	v_cmp_gt_u32_e32 vcc, s3, v2
	v_mov_b64_e32 v[42:43], v[38:39]
	v_mov_b64_e32 v[44:45], v[38:39]
	;; [unrolled: 1-line block ×7, first 2 shown]
                                        ; implicit-def: $sgpr40_sgpr41
                                        ; implicit-def: $vgpr2
	s_and_saveexec_b64 s[34:35], vcc
	s_cbranch_execz .LBB107_129
; %bb.110:
	ds_read2_b32 v[2:3], v11 offset0:13 offset1:14
	v_mov_b32_e32 v38, s67
	v_cmp_eq_u32_e32 vcc, v58, v59
	v_add_u32_e32 v40, 14, v72
	s_mov_b64 s[40:41], 0
	s_waitcnt lgkmcnt(0)
	v_cndmask_b32_e32 v38, v38, v2, vcc
	v_cmp_ne_u32_e32 vcc, v58, v59
                                        ; implicit-def: $sgpr42_sgpr43
                                        ; implicit-def: $vgpr2
	s_nop 1
	v_cndmask_b32_e64 v39, 0, 1, vcc
	v_cmp_gt_u32_e32 vcc, s3, v40
	v_mov_b64_e32 v[40:41], 0
	v_mov_b64_e32 v[42:43], v[40:41]
	v_mov_b64_e32 v[44:45], v[40:41]
	v_mov_b64_e32 v[46:47], v[40:41]
	v_mov_b64_e32 v[48:49], v[40:41]
	v_mov_b64_e32 v[50:51], v[40:41]
	v_mov_b64_e32 v[52:53], v[40:41]
	v_mov_b64_e32 v[54:55], v[40:41]
	s_and_saveexec_b64 s[36:37], vcc
	s_cbranch_execz .LBB107_128
; %bb.111:
	v_mov_b32_e32 v40, s67
	v_cmp_eq_u32_e32 vcc, v59, v56
	v_add_u32_e32 v2, 15, v72
	v_mov_b64_e32 v[42:43], 0
	v_cndmask_b32_e32 v40, v40, v3, vcc
	v_cmp_ne_u32_e32 vcc, v59, v56
	s_mov_b64 s[42:43], 0
	v_mov_b64_e32 v[44:45], v[42:43]
	v_cndmask_b32_e64 v41, 0, 1, vcc
	v_cmp_gt_u32_e32 vcc, s3, v2
	v_mov_b64_e32 v[46:47], v[42:43]
	v_mov_b64_e32 v[48:49], v[42:43]
	;; [unrolled: 1-line block ×5, first 2 shown]
                                        ; implicit-def: $sgpr44_sgpr45
                                        ; implicit-def: $vgpr2
	s_and_saveexec_b64 s[38:39], vcc
	s_cbranch_execz .LBB107_127
; %bb.112:
	ds_read2_b32 v[2:3], v11 offset0:15 offset1:16
	v_mov_b32_e32 v42, s67
	v_cmp_eq_u32_e32 vcc, v56, v57
	v_add_u32_e32 v44, 16, v72
	s_mov_b64 s[44:45], 0
	s_waitcnt lgkmcnt(0)
	v_cndmask_b32_e32 v42, v42, v2, vcc
	v_cmp_ne_u32_e32 vcc, v56, v57
                                        ; implicit-def: $sgpr46_sgpr47
                                        ; implicit-def: $vgpr2
	s_nop 1
	v_cndmask_b32_e64 v43, 0, 1, vcc
	v_cmp_gt_u32_e32 vcc, s3, v44
	v_mov_b64_e32 v[44:45], 0
	v_mov_b64_e32 v[46:47], v[44:45]
	;; [unrolled: 1-line block ×6, first 2 shown]
	s_and_saveexec_b64 s[40:41], vcc
	s_cbranch_execz .LBB107_126
; %bb.113:
	v_mov_b32_e32 v44, s67
	v_cmp_eq_u32_e32 vcc, v57, v8
	v_add_u32_e32 v2, 17, v72
	v_mov_b64_e32 v[46:47], 0
	v_cndmask_b32_e32 v44, v44, v3, vcc
	v_cmp_ne_u32_e32 vcc, v57, v8
	s_mov_b64 s[46:47], 0
	v_mov_b64_e32 v[48:49], v[46:47]
	v_cndmask_b32_e64 v45, 0, 1, vcc
	v_cmp_gt_u32_e32 vcc, s3, v2
	v_mov_b64_e32 v[50:51], v[46:47]
	v_mov_b64_e32 v[52:53], v[46:47]
	;; [unrolled: 1-line block ×3, first 2 shown]
                                        ; implicit-def: $sgpr48_sgpr49
                                        ; implicit-def: $vgpr2
	s_and_saveexec_b64 s[42:43], vcc
	s_cbranch_execz .LBB107_125
; %bb.114:
	ds_read2_b32 v[2:3], v11 offset0:17 offset1:18
	v_mov_b32_e32 v46, s67
	v_cmp_eq_u32_e32 vcc, v8, v9
	v_add_u32_e32 v48, 18, v72
	s_mov_b64 s[48:49], 0
	s_waitcnt lgkmcnt(0)
	v_cndmask_b32_e32 v46, v46, v2, vcc
	v_cmp_ne_u32_e32 vcc, v8, v9
                                        ; implicit-def: $sgpr50_sgpr51
                                        ; implicit-def: $vgpr2
	s_nop 1
	v_cndmask_b32_e64 v47, 0, 1, vcc
	v_cmp_gt_u32_e32 vcc, s3, v48
	v_mov_b64_e32 v[48:49], 0
	v_mov_b64_e32 v[50:51], v[48:49]
	;; [unrolled: 1-line block ×4, first 2 shown]
	s_and_saveexec_b64 s[44:45], vcc
	s_cbranch_execz .LBB107_124
; %bb.115:
	v_mov_b32_e32 v8, s67
	v_cmp_eq_u32_e32 vcc, v9, v6
	v_add_u32_e32 v2, 19, v72
	v_mov_b64_e32 v[50:51], 0
	v_cndmask_b32_e32 v48, v8, v3, vcc
	v_cmp_ne_u32_e32 vcc, v9, v6
	s_mov_b64 s[50:51], 0
	v_mov_b64_e32 v[52:53], v[50:51]
	v_cndmask_b32_e64 v49, 0, 1, vcc
	v_cmp_gt_u32_e32 vcc, s3, v2
	v_mov_b64_e32 v[54:55], v[50:51]
                                        ; implicit-def: $sgpr56_sgpr57
                                        ; implicit-def: $vgpr2
	s_and_saveexec_b64 s[46:47], vcc
	s_cbranch_execz .LBB107_123
; %bb.116:
	ds_read2_b32 v[2:3], v11 offset0:19 offset1:20
	v_mov_b32_e32 v9, s67
	v_cmp_eq_u32_e32 vcc, v6, v7
	v_add_u32_e32 v8, 20, v72
	v_mov_b64_e32 v[52:53], 0
	s_waitcnt lgkmcnt(0)
	v_cndmask_b32_e32 v50, v9, v2, vcc
	v_cmp_ne_u32_e32 vcc, v6, v7
	s_mov_b64 s[56:57], 0
	v_mov_b64_e32 v[54:55], v[52:53]
	v_cndmask_b32_e64 v51, 0, 1, vcc
	v_cmp_gt_u32_e32 vcc, s3, v8
                                        ; implicit-def: $sgpr58_sgpr59
                                        ; implicit-def: $vgpr2
	s_and_saveexec_b64 s[48:49], vcc
	s_cbranch_execz .LBB107_122
; %bb.117:
	v_mov_b32_e32 v6, s67
	v_cmp_eq_u32_e32 vcc, v7, v4
	v_add_u32_e32 v2, 21, v72
	v_mov_b64_e32 v[54:55], 0
	v_cndmask_b32_e32 v52, v6, v3, vcc
	v_cmp_ne_u32_e32 vcc, v7, v4
                                        ; implicit-def: $sgpr58_sgpr59
	s_nop 1
	v_cndmask_b32_e64 v53, 0, 1, vcc
	v_cmp_gt_u32_e32 vcc, s3, v2
                                        ; implicit-def: $vgpr2
	s_and_saveexec_b64 s[50:51], vcc
	s_cbranch_execz .LBB107_121
; %bb.118:
	ds_read2_b32 v[2:3], v11 offset0:21 offset1:22
	v_mov_b32_e32 v7, s67
	v_cmp_eq_u32_e32 vcc, v4, v5
	v_add_u32_e32 v6, 22, v72
                                        ; implicit-def: $sgpr58_sgpr59
	s_waitcnt lgkmcnt(0)
	v_cndmask_b32_e32 v54, v7, v2, vcc
	v_cmp_ne_u32_e32 vcc, v4, v5
                                        ; implicit-def: $vgpr2
	s_nop 1
	v_cndmask_b32_e64 v55, 0, 1, vcc
	v_cmp_gt_u32_e32 vcc, s3, v6
	s_and_saveexec_b64 s[62:63], vcc
	s_xor_b64 s[62:63], exec, s[62:63]
; %bb.119:
	v_mov_b32_e32 v2, s67
	v_cmp_ne_u32_e32 vcc, v5, v1
	s_mov_b64 s[56:57], exec
	s_and_b64 s[58:59], vcc, exec
	v_cndmask_b32_e32 v2, v3, v2, vcc
; %bb.120:
	s_or_b64 exec, exec, s[62:63]
	s_and_b64 s[58:59], s[58:59], exec
	s_and_b64 s[56:57], s[56:57], exec
.LBB107_121:
	s_or_b64 exec, exec, s[50:51]
	s_and_b64 s[58:59], s[58:59], exec
	s_and_b64 s[50:51], s[56:57], exec
.LBB107_122:
	s_or_b64 exec, exec, s[48:49]
	s_and_b64 s[56:57], s[58:59], exec
	s_and_b64 s[48:49], s[50:51], exec
.LBB107_123:
	s_or_b64 exec, exec, s[46:47]
	s_and_b64 s[50:51], s[56:57], exec
	s_and_b64 s[46:47], s[48:49], exec
.LBB107_124:
	s_or_b64 exec, exec, s[44:45]
	s_and_b64 s[48:49], s[50:51], exec
	s_and_b64 s[44:45], s[46:47], exec
.LBB107_125:
	s_or_b64 exec, exec, s[42:43]
	s_and_b64 s[46:47], s[48:49], exec
	s_and_b64 s[42:43], s[44:45], exec
.LBB107_126:
	s_or_b64 exec, exec, s[40:41]
	s_and_b64 s[44:45], s[46:47], exec
	s_and_b64 s[40:41], s[42:43], exec
.LBB107_127:
	s_or_b64 exec, exec, s[38:39]
	s_and_b64 s[42:43], s[44:45], exec
	s_and_b64 s[38:39], s[40:41], exec
.LBB107_128:
	s_or_b64 exec, exec, s[36:37]
	s_and_b64 s[40:41], s[42:43], exec
	s_and_b64 s[36:37], s[38:39], exec
.LBB107_129:
	s_or_b64 exec, exec, s[34:35]
	s_and_b64 s[38:39], s[40:41], exec
	s_and_b64 s[34:35], s[36:37], exec
.LBB107_130:
	s_or_b64 exec, exec, s[30:31]
	s_and_b64 s[36:37], s[38:39], exec
	s_and_b64 s[30:31], s[34:35], exec
.LBB107_131:
	s_or_b64 exec, exec, s[28:29]
	s_and_b64 s[34:35], s[36:37], exec
	s_and_b64 s[28:29], s[30:31], exec
.LBB107_132:
	s_or_b64 exec, exec, s[26:27]
	s_and_b64 s[30:31], s[34:35], exec
	s_and_b64 s[26:27], s[28:29], exec
.LBB107_133:
	s_or_b64 exec, exec, s[24:25]
	s_and_b64 s[28:29], s[30:31], exec
	s_and_b64 s[24:25], s[26:27], exec
.LBB107_134:
	s_or_b64 exec, exec, s[22:23]
	s_and_b64 s[26:27], s[28:29], exec
	s_and_b64 s[22:23], s[24:25], exec
.LBB107_135:
	s_or_b64 exec, exec, s[20:21]
	s_and_b64 s[24:25], s[26:27], exec
	s_and_b64 s[20:21], s[22:23], exec
.LBB107_136:
	s_or_b64 exec, exec, s[18:19]
	s_and_b64 s[22:23], s[24:25], exec
	s_and_b64 s[18:19], s[20:21], exec
.LBB107_137:
	s_or_b64 exec, exec, s[16:17]
	s_and_b64 s[20:21], s[22:23], exec
	s_and_b64 s[16:17], s[18:19], exec
.LBB107_138:
	s_or_b64 exec, exec, s[14:15]
	s_and_b64 s[18:19], s[20:21], exec
	s_and_b64 s[14:15], s[16:17], exec
.LBB107_139:
	s_or_b64 exec, exec, s[12:13]
	s_and_b64 s[16:17], s[18:19], exec
	s_and_b64 s[12:13], s[14:15], exec
.LBB107_140:
	s_or_b64 exec, exec, s[10:11]
	s_and_b64 s[14:15], s[16:17], exec
	s_and_b64 s[10:11], s[12:13], exec
.LBB107_141:
	s_or_b64 exec, exec, s[8:9]
	s_and_b64 s[8:9], s[14:15], exec
	s_and_b64 s[10:11], s[10:11], exec
.LBB107_142:
	s_or_b64 exec, exec, s[6:7]
	s_mov_b64 s[6:7], 0
	s_and_b64 vcc, exec, s[4:5]
	s_cbranch_vccz .LBB107_148
.LBB107_143:
	v_mov_b32_e32 v13, 0
	v_mov_b32_e32 v11, v13
	v_lshl_add_u64 v[2:3], s[54:55], 0, v[10:11]
	v_add_co_u32_e32 v4, vcc, 0x1000, v2
	global_load_dword v1, v10, s[54:55]
	global_load_dword v8, v10, s[54:55] offset:1024
	global_load_dword v9, v10, s[54:55] offset:2048
	;; [unrolled: 1-line block ×3, first 2 shown]
	v_addc_co_u32_e32 v5, vcc, 0, v3, vcc
	v_add_co_u32_e32 v6, vcc, 0x2000, v2
	s_movk_i32 s6, 0x58
	s_nop 0
	v_addc_co_u32_e32 v7, vcc, 0, v3, vcc
	global_load_dword v14, v[4:5], off
	global_load_dword v15, v[4:5], off offset:1024
	global_load_dword v16, v[4:5], off offset:2048
	;; [unrolled: 1-line block ×3, first 2 shown]
	global_load_dword v18, v[6:7], off
	global_load_dword v19, v[6:7], off offset:1024
	global_load_dword v20, v[6:7], off offset:2048
	;; [unrolled: 1-line block ×3, first 2 shown]
	v_add_co_u32_e32 v4, vcc, 0x3000, v2
	v_mad_u32_u24 v11, v0, s6, v10
	s_nop 0
	v_addc_co_u32_e32 v5, vcc, 0, v3, vcc
	v_add_co_u32_e32 v6, vcc, 0x4000, v2
	s_movk_i32 s7, 0xffa8
	s_nop 0
	v_addc_co_u32_e32 v7, vcc, 0, v3, vcc
	v_add_co_u32_e32 v2, vcc, 0x5000, v2
	global_load_dword v22, v[4:5], off
	global_load_dword v23, v[4:5], off offset:1024
	global_load_dword v24, v[4:5], off offset:2048
	;; [unrolled: 1-line block ×3, first 2 shown]
	global_load_dword v26, v[6:7], off
	global_load_dword v27, v[6:7], off offset:1024
	global_load_dword v28, v[6:7], off offset:2048
	;; [unrolled: 1-line block ×3, first 2 shown]
	v_addc_co_u32_e32 v3, vcc, 0, v3, vcc
	global_load_dword v4, v[2:3], off
	global_load_dword v5, v[2:3], off offset:1024
	global_load_dword v6, v[2:3], off offset:2048
	s_movk_i32 s8, 0xff
	s_movk_i32 s5, 0x1000
	s_mov_b32 s4, 0
	s_movk_i32 s3, 0x2000
	v_cmp_ne_u32_e32 vcc, s8, v0
	v_mad_i32_i24 v30, v0, s7, v11
	s_waitcnt vmcnt(21)
	ds_write2st64_b32 v10, v1, v8 offset1:4
	s_waitcnt vmcnt(19)
	ds_write2st64_b32 v10, v9, v12 offset0:8 offset1:12
	s_waitcnt vmcnt(17)
	ds_write2st64_b32 v10, v14, v15 offset0:16 offset1:20
	;; [unrolled: 2-line block ×10, first 2 shown]
	s_waitcnt vmcnt(0)
	ds_write_b32 v10, v6 offset:22528
	s_waitcnt lgkmcnt(0)
	s_barrier
	ds_read_b32 v14, v11
	ds_read2_b32 v[16:17], v11 offset0:1 offset1:2
	ds_read2_b32 v[20:21], v11 offset0:3 offset1:4
	;; [unrolled: 1-line block ×11, first 2 shown]
	s_load_dword s6, s[54:55], 0x5c00
	s_waitcnt lgkmcnt(0)
	ds_write_b32 v30, v14 offset:24576
	s_waitcnt lgkmcnt(0)
	s_barrier
	v_mov_b32_e32 v1, s6
	s_and_saveexec_b64 s[6:7], vcc
	s_cbranch_execz .LBB107_145
; %bb.144:
	ds_read_b32 v1, v10 offset:24580
.LBB107_145:
	s_or_b64 exec, exec, s[6:7]
	v_lshlrev_b32_e32 v12, 1, v0
	v_lshl_add_u64 v[18:19], s[52:53], 0, v[12:13]
	v_add_co_u32_e32 v22, vcc, s5, v18
	s_waitcnt lgkmcnt(0)
	s_nop 0
	v_addc_co_u32_e32 v23, vcc, 0, v19, vcc
	v_add_co_u32_e32 v18, vcc, s3, v18
	s_barrier
	global_load_sshort v13, v12, s[52:53]
	v_addc_co_u32_e32 v19, vcc, 0, v19, vcc
	global_load_sshort v15, v12, s[52:53] offset:512
	global_load_sshort v26, v12, s[52:53] offset:1024
	;; [unrolled: 1-line block ×7, first 2 shown]
	global_load_sshort v38, v[18:19], off offset:-4096
	global_load_sshort v39, v[22:23], off offset:512
	global_load_sshort v42, v[22:23], off offset:1024
	;; [unrolled: 1-line block ×7, first 2 shown]
                                        ; kill: killed $vgpr12
                                        ; kill: killed $sgpr52 killed $sgpr53
                                        ; kill: killed $vgpr22 killed $vgpr23
	global_load_sshort v12, v[18:19], off
	s_nop 0
	global_load_sshort v22, v[18:19], off offset:512
	global_load_sshort v23, v[18:19], off offset:1024
	global_load_sshort v48, v[18:19], off offset:1536
	global_load_sshort v49, v[18:19], off offset:2048
	global_load_sshort v50, v[18:19], off offset:2560
	global_load_sshort v51, v[18:19], off offset:3072
	s_mov_b32 s5, 1
	v_cmp_eq_u32_e32 vcc, v14, v16
	v_mov_b32_e32 v14, s67
	s_waitcnt vmcnt(21)
	ds_write2st64_b32 v10, v13, v15 offset1:4
	s_waitcnt vmcnt(19)
	ds_write2st64_b32 v10, v26, v27 offset0:8 offset1:12
	s_waitcnt vmcnt(17)
	ds_write2st64_b32 v10, v30, v31 offset0:16 offset1:20
	;; [unrolled: 2-line block ×10, first 2 shown]
	s_waitcnt vmcnt(0)
	ds_write_b32 v10, v51 offset:22528
	s_waitcnt lgkmcnt(0)
	s_barrier
	ds_read2_b32 v[18:19], v11 offset0:1 offset1:2
	ds_read2_b32 v[22:23], v11 offset0:3 offset1:4
	;; [unrolled: 1-line block ×11, first 2 shown]
	v_mov_b64_e32 v[12:13], s[4:5]
	s_and_saveexec_b64 s[4:5], vcc
	s_cbranch_execz .LBB107_147
; %bb.146:
	ds_read_b32 v14, v11
	v_mov_b64_e32 v[12:13], 0
.LBB107_147:
	s_or_b64 exec, exec, s[4:5]
	v_mov_b32_e32 v11, s67
	v_cmp_eq_u32_e32 vcc, v16, v17
	s_waitcnt lgkmcnt(0)
	v_or_b32_e32 v12, v12, v14
	v_cmp_ne_u32_e64 s[8:9], v3, v1
	v_cndmask_b32_e32 v14, v11, v18, vcc
	v_cmp_ne_u32_e32 vcc, v16, v17
	s_mov_b64 s[10:11], -1
                                        ; implicit-def: $sgpr6_sgpr7
	s_nop 0
	v_cndmask_b32_e64 v15, 0, 1, vcc
	v_cmp_eq_u32_e32 vcc, v17, v20
	s_nop 1
	v_cndmask_b32_e32 v16, v11, v19, vcc
	v_cmp_ne_u32_e32 vcc, v17, v20
	s_nop 1
	v_cndmask_b32_e64 v17, 0, 1, vcc
	v_cmp_eq_u32_e32 vcc, v20, v21
	s_nop 1
	v_cndmask_b32_e32 v18, v11, v22, vcc
	v_cmp_ne_u32_e32 vcc, v20, v21
	;; [unrolled: 6-line block ×20, first 2 shown]
	v_cndmask_b32_e64 v2, v57, v11, s[8:9]
	s_nop 0
	v_cndmask_b32_e64 v55, 0, 1, vcc
.LBB107_148:
	v_mov_b64_e32 v[56:57], s[6:7]
	s_and_saveexec_b64 s[4:5], s[10:11]
; %bb.149:
	v_cndmask_b32_e64 v3, 0, 1, s[8:9]
	v_mov_b64_e32 v[56:57], v[2:3]
; %bb.150:
	s_or_b64 exec, exec, s[4:5]
	s_mov_b32 s48, 0
	s_cmp_lg_u32 s2, 0
	v_or_b32_e32 v11, v57, v55
	v_lshrrev_b32_e32 v1, 5, v0
	v_cmp_gt_u32_e32 vcc, 64, v0
	s_barrier
	s_cbranch_scc0 .LBB107_185
; %bb.151:
	s_mov_b32 s49, 1
	v_cmp_gt_u64_e64 s[4:5], s[48:49], v[14:15]
	v_cmp_gt_u64_e64 s[6:7], s[48:49], v[16:17]
	v_cmp_gt_u64_e64 s[8:9], s[48:49], v[18:19]
	v_cndmask_b32_e64 v2, 0, v12, s[4:5]
	v_add_u32_e32 v2, v2, v14
	v_cndmask_b32_e64 v2, 0, v2, s[6:7]
	v_add_u32_e32 v2, v2, v16
	v_cndmask_b32_e64 v2, 0, v2, s[8:9]
	v_add_u32_e32 v2, v2, v18
	v_cmp_gt_u64_e64 s[10:11], s[48:49], v[20:21]
	v_cmp_gt_u64_e64 s[12:13], s[48:49], v[22:23]
	v_cmp_gt_u64_e64 s[14:15], s[48:49], v[24:25]
	v_cndmask_b32_e64 v2, 0, v2, s[10:11]
	v_add_u32_e32 v2, v2, v20
	v_cndmask_b32_e64 v2, 0, v2, s[12:13]
	v_add_u32_e32 v2, v2, v22
	v_cndmask_b32_e64 v2, 0, v2, s[14:15]
	v_add_u32_e32 v2, v2, v24
	;; [unrolled: 9-line block ×7, first 2 shown]
	v_cmp_gt_u64_e64 s[48:49], s[48:49], v[56:57]
	s_nop 1
	v_cndmask_b32_e64 v2, 0, v2, s[48:49]
	v_add_u32_e32 v62, v2, v56
	v_or3_b32 v2, v11, v53, v51
	v_or3_b32 v2, v2, v49, v47
	;; [unrolled: 1-line block ×10, first 2 shown]
	v_and_b32_e32 v2, 1, v2
	v_cmp_eq_u32_e64 s[48:49], 1, v2
	v_add_lshl_u32 v2, v1, v0, 3
	s_nop 0
	v_cndmask_b32_e64 v63, v13, 1, s[48:49]
	ds_write_b32 v2, v62
	ds_write_b8 v2, v63 offset:4
	s_waitcnt lgkmcnt(0)
	s_barrier
	s_and_saveexec_b64 s[68:69], vcc
	s_cbranch_execz .LBB107_163
; %bb.152:
	v_lshrrev_b32_e32 v2, 3, v0
	v_add_lshl_u32 v6, v2, v10, 3
	ds_read2_b32 v[2:3], v6 offset0:2 offset1:4
	ds_read_b64 v[4:5], v6
	ds_read_u8 v9, v6 offset:12
	ds_read_u8 v58, v6 offset:20
	ds_read_b32 v7, v6 offset:24
	ds_read_u8 v59, v6 offset:28
	s_waitcnt lgkmcnt(4)
	v_and_b32_e32 v8, 1, v5
	s_waitcnt lgkmcnt(3)
	v_cmp_eq_u16_e64 s[48:49], 0, v9
	v_and_b32_e32 v9, 1, v9
	s_waitcnt lgkmcnt(2)
	v_cmp_eq_u16_e64 s[50:51], 0, v58
	v_cndmask_b32_e64 v60, 0, v4, s[48:49]
	v_add_u32_e32 v60, v60, v2
	v_cmp_eq_u32_e64 s[54:55], 1, v9
	v_cndmask_b32_e64 v9, 0, v60, s[50:51]
	v_add_u32_e32 v9, v9, v3
	s_waitcnt lgkmcnt(0)
	v_cmp_eq_u16_e64 s[52:53], 0, v59
	v_and_b32_e32 v58, 1, v58
	v_cmp_eq_u32_e64 s[56:57], 1, v58
	v_cndmask_b32_e64 v9, 0, v9, s[52:53]
	v_add_u32_e32 v58, v9, v7
	v_and_b32_e32 v9, 1, v59
	v_cmp_eq_u32_e64 s[58:59], 1, v9
	s_or_b64 s[62:63], s[58:59], s[56:57]
	s_or_b64 s[62:63], s[62:63], s[54:55]
	v_mbcnt_lo_u32_b32 v59, -1, 0
	v_cndmask_b32_e64 v60, v8, 1, s[62:63]
	v_and_b32_e32 v9, 0xffffff00, v5
	v_mbcnt_hi_u32_b32 v59, -1, v59
	v_and_b32_e32 v65, 15, v59
	v_or_b32_sdwa v61, v9, v60 dst_sel:DWORD dst_unused:UNUSED_PAD src0_sel:DWORD src1_sel:WORD_0
	v_mov_b32_dpp v64, v58 row_shr:1 row_mask:0xf bank_mask:0xf
	v_cmp_ne_u32_e64 s[62:63], 0, v65
	v_mov_b32_dpp v66, v61 row_shr:1 row_mask:0xf bank_mask:0xf
	s_and_saveexec_b64 s[70:71], s[62:63]
; %bb.153:
	v_and_b32_e32 v61, 1, v60
	v_and_b32_e32 v66, 1, v66
	v_cmp_eq_u32_e64 s[62:63], 1, v61
	s_nop 1
	v_cndmask_b32_e64 v66, v66, 1, s[62:63]
	v_cmp_eq_u16_e64 s[62:63], 0, v60
	v_or_b32_sdwa v61, v9, v66 dst_sel:DWORD dst_unused:UNUSED_PAD src0_sel:DWORD src1_sel:WORD_0
	s_nop 0
	v_cndmask_b32_e64 v60, 0, v64, s[62:63]
	v_add_u32_e32 v58, v60, v58
	v_mov_b32_e32 v60, v66
; %bb.154:
	s_or_b64 exec, exec, s[70:71]
	v_mov_b32_dpp v66, v58 row_shr:2 row_mask:0xf bank_mask:0xf
	v_mov_b32_dpp v67, v61 row_shr:2 row_mask:0xf bank_mask:0xf
	v_cmp_lt_u32_e64 s[62:63], 1, v65
	v_mov_b32_e32 v64, v61
	s_and_saveexec_b64 s[70:71], s[62:63]
; %bb.155:
	v_and_b32_e32 v60, 1, v61
	v_and_b32_e32 v64, 1, v67
	v_cmp_eq_u32_e64 s[62:63], 1, v60
	s_nop 1
	v_cndmask_b32_e64 v60, v64, 1, s[62:63]
	v_mov_b32_e32 v64, 0
	v_cmp_eq_u16_sdwa s[62:63], v61, v64 src0_sel:BYTE_0 src1_sel:DWORD
	v_mov_b32_e32 v64, v60
	s_nop 0
	v_cndmask_b32_e64 v61, 0, v66, s[62:63]
	v_add_u32_e32 v58, v61, v58
	v_or_b32_sdwa v61, v9, v60 dst_sel:DWORD dst_unused:UNUSED_PAD src0_sel:DWORD src1_sel:WORD_0
; %bb.156:
	s_or_b64 exec, exec, s[70:71]
	v_mov_b32_dpp v66, v58 row_shr:4 row_mask:0xf bank_mask:0xf
	v_mov_b32_dpp v67, v61 row_shr:4 row_mask:0xf bank_mask:0xf
	v_cmp_lt_u32_e64 s[62:63], 3, v65
	s_and_saveexec_b64 s[70:71], s[62:63]
; %bb.157:
	v_and_b32_e32 v60, 1, v64
	v_and_b32_e32 v61, 1, v67
	v_cmp_eq_u32_e64 s[62:63], 1, v60
	s_nop 1
	v_cndmask_b32_e64 v60, v61, 1, s[62:63]
	v_mov_b32_e32 v61, 0
	v_cmp_eq_u16_sdwa s[62:63], v64, v61 src0_sel:BYTE_0 src1_sel:DWORD
	v_mov_b32_e32 v64, v60
	s_nop 0
	v_cndmask_b32_e64 v61, 0, v66, s[62:63]
	v_add_u32_e32 v58, v61, v58
	v_or_b32_sdwa v61, v9, v60 dst_sel:DWORD dst_unused:UNUSED_PAD src0_sel:DWORD src1_sel:WORD_0
; %bb.158:
	s_or_b64 exec, exec, s[70:71]
	v_mov_b32_dpp v66, v58 row_shr:8 row_mask:0xf bank_mask:0xf
	v_mov_b32_dpp v67, v61 row_shr:8 row_mask:0xf bank_mask:0xf
	v_cmp_lt_u32_e64 s[62:63], 7, v65
	s_and_saveexec_b64 s[70:71], s[62:63]
; %bb.159:
	v_and_b32_e32 v60, 1, v64
	v_and_b32_e32 v61, 1, v67
	v_cmp_eq_u32_e64 s[62:63], 1, v60
	s_nop 1
	v_cndmask_b32_e64 v60, v61, 1, s[62:63]
	v_mov_b32_e32 v61, 0
	v_cmp_eq_u16_sdwa s[62:63], v64, v61 src0_sel:BYTE_0 src1_sel:DWORD
	v_mov_b32_e32 v64, v60
	s_nop 0
	v_cndmask_b32_e64 v61, 0, v66, s[62:63]
	v_add_u32_e32 v58, v61, v58
	v_or_b32_sdwa v61, v9, v60 dst_sel:DWORD dst_unused:UNUSED_PAD src0_sel:DWORD src1_sel:WORD_0
; %bb.160:
	s_or_b64 exec, exec, s[70:71]
	v_and_b32_e32 v67, 16, v59
	v_mov_b32_dpp v65, v58 row_bcast:15 row_mask:0xf bank_mask:0xf
	v_mov_b32_dpp v66, v61 row_bcast:15 row_mask:0xf bank_mask:0xf
	v_cmp_ne_u32_e64 s[62:63], 0, v67
	s_and_saveexec_b64 s[70:71], s[62:63]
; %bb.161:
	v_and_b32_e32 v60, 1, v64
	v_and_b32_e32 v61, 1, v66
	v_cmp_eq_u32_e64 s[62:63], 1, v60
	s_nop 1
	v_cndmask_b32_e64 v60, v61, 1, s[62:63]
	v_mov_b32_e32 v61, 0
	v_cmp_eq_u16_sdwa s[62:63], v64, v61 src0_sel:BYTE_0 src1_sel:DWORD
	v_mov_b32_e32 v64, v60
	s_nop 0
	v_cndmask_b32_e64 v61, 0, v65, s[62:63]
	v_add_u32_e32 v58, v61, v58
	v_or_b32_sdwa v61, v9, v60 dst_sel:DWORD dst_unused:UNUSED_PAD src0_sel:DWORD src1_sel:WORD_0
; %bb.162:
	s_or_b64 exec, exec, s[70:71]
	s_nop 0
	v_mov_b32_dpp v61, v61 row_bcast:31 row_mask:0xf bank_mask:0xf
	v_and_b32_e32 v66, 1, v64
	v_and_b32_e32 v61, 1, v61
	v_cmp_eq_u32_e64 s[62:63], 1, v66
	v_mov_b32_e32 v66, 0
	v_cmp_eq_u16_sdwa s[70:71], v64, v66 src0_sel:BYTE_0 src1_sel:DWORD
	v_cndmask_b32_e64 v61, v61, 1, s[62:63]
	v_cmp_lt_u32_e64 s[62:63], 31, v59
	v_mov_b32_dpp v65, v58 row_bcast:31 row_mask:0xf bank_mask:0xf
	v_and_b32_e32 v64, 64, v59
	v_cndmask_b32_e64 v60, v60, v61, s[62:63]
	s_and_b64 s[62:63], s[62:63], s[70:71]
	v_cndmask_b32_e64 v61, 0, v65, s[62:63]
	v_add_u32_e32 v58, v61, v58
	v_add_u32_e32 v61, -1, v59
	v_cmp_lt_i32_e64 s[62:63], v61, v64
	v_or_b32_sdwa v9, v9, v60 dst_sel:DWORD dst_unused:UNUSED_PAD src0_sel:DWORD src1_sel:WORD_0
	s_nop 0
	v_cndmask_b32_e64 v59, v61, v59, s[62:63]
	v_lshlrev_b32_e32 v59, 2, v59
	ds_bpermute_b32 v58, v59, v58
	ds_bpermute_b32 v9, v59, v9
	v_cmp_eq_u16_sdwa s[62:63], v5, v66 src0_sel:BYTE_0 src1_sel:DWORD
	s_waitcnt lgkmcnt(1)
	s_nop 0
	v_cndmask_b32_e64 v5, 0, v58, s[62:63]
	v_add_u32_e32 v4, v5, v4
	s_waitcnt lgkmcnt(0)
	v_and_b32_e32 v5, 1, v9
	v_cmp_eq_u32_e64 s[62:63], 1, v8
	s_nop 1
	v_cndmask_b32_e64 v5, v5, 1, s[62:63]
	v_cmp_eq_u32_e64 s[62:63], 0, v0
	s_nop 1
	v_cndmask_b32_e64 v4, v4, v62, s[62:63]
	v_cndmask_b32_e64 v8, 0, v4, s[48:49]
	;; [unrolled: 1-line block ×3, first 2 shown]
	v_add_u32_e32 v2, v8, v2
	ds_write_b8 v6, v5 offset:4
	v_cndmask_b32_e64 v5, v5, 1, s[54:55]
	ds_write2_b32 v6, v4, v2 offset1:2
	ds_write_b8 v6, v5 offset:12
	v_cndmask_b32_e64 v2, 0, v2, s[50:51]
	v_add_u32_e32 v2, v2, v3
	v_cndmask_b32_e64 v4, 0, v2, s[52:53]
	v_cndmask_b32_e64 v3, v5, 1, s[56:57]
	v_add_u32_e32 v4, v4, v7
	ds_write_b8 v6, v3 offset:20
	v_cndmask_b32_e64 v3, v3, 1, s[58:59]
	ds_write2_b32 v6, v2, v4 offset0:4 offset1:6
	ds_write_b8 v6, v3 offset:28
.LBB107_163:
	s_or_b64 exec, exec, s[68:69]
	v_cmp_eq_u32_e64 s[48:49], 0, v0
	v_cmp_ne_u32_e64 s[50:51], 0, v0
	s_waitcnt lgkmcnt(0)
	s_barrier
	s_and_saveexec_b64 s[52:53], s[50:51]
	s_cbranch_execz .LBB107_165
; %bb.164:
	v_add_u32_e32 v2, -1, v0
	v_lshrrev_b32_e32 v3, 5, v2
	v_add_lshl_u32 v2, v3, v2, 3
	ds_read_b32 v62, v2
	ds_read_u8 v63, v2 offset:4
.LBB107_165:
	s_or_b64 exec, exec, s[52:53]
	s_and_saveexec_b64 s[54:55], vcc
	s_cbranch_execz .LBB107_184
; %bb.166:
	v_mov_b32_e32 v5, 0
	ds_read_b64 v[2:3], v5 offset:2096
	v_mbcnt_lo_u32_b32 v4, -1, 0
	v_mbcnt_hi_u32_b32 v73, -1, v4
	s_mov_b32 s57, 0
	v_cmp_eq_u32_e64 s[50:51], 0, v73
	s_waitcnt lgkmcnt(0)
	v_readfirstlane_b32 s3, v3
	s_and_saveexec_b64 s[52:53], s[50:51]
	s_cbranch_execz .LBB107_168
; %bb.167:
	s_add_i32 s56, s2, 64
	s_lshl_b64 s[58:59], s[56:57], 4
	s_add_u32 s58, s64, s58
	s_addc_u32 s59, s65, s59
	s_and_b32 s63, s3, 0xff000000
	s_mov_b32 s62, s57
	s_and_b32 s69, s3, 0xff0000
	s_mov_b32 s68, s57
	s_or_b64 s[62:63], s[68:69], s[62:63]
	s_and_b32 s69, s3, 0xff00
	s_or_b64 s[62:63], s[62:63], s[68:69]
	s_and_b32 s69, s3, 0xff
	s_or_b64 s[56:57], s[62:63], s[68:69]
	v_mov_b32_e32 v3, s57
	v_mov_b32_e32 v4, 1
	v_mov_b64_e32 v[6:7], s[58:59]
	;;#ASMSTART
	global_store_dwordx4 v[6:7], v[2:5] off sc1	
s_waitcnt vmcnt(0)
	;;#ASMEND
.LBB107_168:
	s_or_b64 exec, exec, s[52:53]
	v_xad_u32 v58, v73, -1, s2
	v_add_u32_e32 v4, 64, v58
	v_lshl_add_u64 v[60:61], v[4:5], 4, s[64:65]
	;;#ASMSTART
	global_load_dwordx4 v[6:9], v[60:61] off sc1	
s_waitcnt vmcnt(0)
	;;#ASMEND
	s_nop 0
	v_cmp_eq_u16_sdwa s[56:57], v8, v5 src0_sel:BYTE_0 src1_sel:DWORD
	s_and_saveexec_b64 s[52:53], s[56:57]
	s_cbranch_execz .LBB107_172
; %bb.169:
	s_mov_b64 s[56:57], 0
	v_mov_b32_e32 v3, 0
.LBB107_170:                            ; =>This Inner Loop Header: Depth=1
	;;#ASMSTART
	global_load_dwordx4 v[6:9], v[60:61] off sc1	
s_waitcnt vmcnt(0)
	;;#ASMEND
	s_nop 0
	v_cmp_ne_u16_sdwa s[58:59], v8, v3 src0_sel:BYTE_0 src1_sel:DWORD
	s_or_b64 s[56:57], s[58:59], s[56:57]
	s_andn2_b64 exec, exec, s[56:57]
	s_cbranch_execnz .LBB107_170
; %bb.171:
	s_or_b64 exec, exec, s[56:57]
.LBB107_172:
	s_or_b64 exec, exec, s[52:53]
	v_mov_b32_e32 v3, 2
	v_cmp_eq_u16_sdwa s[52:53], v8, v3 src0_sel:BYTE_0 src1_sel:DWORD
	v_lshlrev_b64 v[4:5], v73, -1
	v_and_b32_e32 v75, 63, v73
	v_and_b32_e32 v9, s53, v5
	v_or_b32_e32 v9, 0x80000000, v9
	v_and_b32_e32 v59, s52, v4
	v_ffbl_b32_e32 v9, v9
	v_add_u32_e32 v9, 32, v9
	v_ffbl_b32_e32 v59, v59
	v_cmp_ne_u32_e32 vcc, 63, v75
	v_min_u32_e32 v9, v59, v9
	v_and_b32_e32 v61, 0xff, v7
	v_addc_co_u32_e32 v59, vcc, 0, v73, vcc
	v_lshlrev_b32_e32 v64, 2, v59
	ds_bpermute_b32 v59, v64, v61
	ds_bpermute_b32 v66, v64, v6
	s_mov_b32 s56, 0
	v_and_b32_e32 v7, 1, v7
	v_mov_b32_e32 v60, v6
	s_mov_b32 s57, 1
	s_waitcnt lgkmcnt(1)
	v_and_b32_e32 v59, 1, v59
	v_cmp_eq_u32_e32 vcc, 1, v7
	v_add_u32_e32 v65, 1, v73
	v_add_u32_e32 v67, 2, v73
	v_cndmask_b32_e64 v7, v59, 1, vcc
	v_cmp_gt_u64_e32 vcc, s[56:57], v[60:61]
	v_and_b32_e32 v59, 0xffff, v7
	v_add_u32_e32 v69, 4, v73
	s_waitcnt lgkmcnt(0)
	v_cndmask_b32_e32 v60, 0, v66, vcc
	v_cmp_gt_u32_e32 vcc, v65, v9
	v_add_u32_e32 v71, 8, v73
	v_add_u32_e32 v74, 16, v73
	v_cndmask_b32_e32 v7, v7, v61, vcc
	v_cndmask_b32_e64 v60, v60, 0, vcc
	v_cndmask_b32_e32 v59, v59, v61, vcc
	v_cmp_gt_u32_e32 vcc, 62, v75
	v_add_u32_e32 v6, v60, v6
	v_and_b32_e32 v68, 1, v7
	v_cndmask_b32_e64 v61, 0, 1, vcc
	v_lshlrev_b32_e32 v61, 1, v61
	v_add_lshl_u32 v66, v61, v73, 2
	ds_bpermute_b32 v61, v66, v59
	ds_bpermute_b32 v60, v66, v6
	v_cmp_eq_u32_e32 vcc, 1, v68
	v_cmp_gt_u32_e64 s[52:53], 32, v75
	s_waitcnt lgkmcnt(1)
	v_and_b32_e32 v61, 1, v61
	v_cndmask_b32_e64 v61, v61, 1, vcc
	v_cmp_eq_u16_e32 vcc, 0, v7
	v_and_b32_e32 v68, 0xffff, v61
	s_waitcnt lgkmcnt(0)
	v_cndmask_b32_e32 v60, 0, v60, vcc
	v_cmp_gt_u32_e32 vcc, v67, v9
	s_nop 1
	v_cndmask_b32_e32 v7, v61, v7, vcc
	v_cndmask_b32_e64 v60, v60, 0, vcc
	v_cndmask_b32_e32 v59, v68, v59, vcc
	v_cmp_gt_u32_e32 vcc, 60, v75
	v_add_u32_e32 v6, v60, v6
	v_and_b32_e32 v70, 1, v7
	v_cndmask_b32_e64 v61, 0, 1, vcc
	v_lshlrev_b32_e32 v61, 2, v61
	v_add_lshl_u32 v68, v61, v73, 2
	ds_bpermute_b32 v61, v68, v59
	ds_bpermute_b32 v60, v68, v6
	v_cmp_eq_u32_e32 vcc, 1, v70
	s_waitcnt lgkmcnt(1)
	v_and_b32_e32 v61, 1, v61
	v_cndmask_b32_e64 v61, v61, 1, vcc
	v_cmp_eq_u16_e32 vcc, 0, v7
	v_and_b32_e32 v70, 0xffff, v61
	s_waitcnt lgkmcnt(0)
	v_cndmask_b32_e32 v60, 0, v60, vcc
	v_cmp_gt_u32_e32 vcc, v69, v9
	s_nop 1
	v_cndmask_b32_e32 v7, v61, v7, vcc
	v_cndmask_b32_e64 v60, v60, 0, vcc
	v_cndmask_b32_e32 v59, v70, v59, vcc
	v_cmp_gt_u32_e32 vcc, 56, v75
	v_add_u32_e32 v6, v60, v6
	v_and_b32_e32 v72, 1, v7
	v_cndmask_b32_e64 v61, 0, 1, vcc
	v_lshlrev_b32_e32 v61, 3, v61
	v_add_lshl_u32 v70, v61, v73, 2
	ds_bpermute_b32 v61, v70, v59
	ds_bpermute_b32 v60, v70, v6
	v_cmp_eq_u32_e32 vcc, 1, v72
	;; [unrolled: 21-line block ×3, first 2 shown]
	s_waitcnt lgkmcnt(1)
	v_and_b32_e32 v59, 1, v59
	v_cndmask_b32_e64 v76, v59, 1, vcc
	v_mov_b32_e32 v59, 0
	v_cmp_eq_u16_sdwa vcc, v7, v59 src0_sel:BYTE_0 src1_sel:DWORD
	v_and_b32_e32 v77, 0xffff, v76
	s_waitcnt lgkmcnt(0)
	v_cndmask_b32_e32 v60, 0, v60, vcc
	v_cmp_gt_u32_e32 vcc, v74, v9
	s_nop 1
	v_cndmask_b32_e64 v60, v60, 0, vcc
	v_add_u32_e32 v6, v60, v6
	v_cndmask_b32_e64 v60, 0, 1, s[52:53]
	v_lshlrev_b32_e32 v60, 5, v60
	v_cndmask_b32_e32 v7, v76, v7, vcc
	v_add_lshl_u32 v76, v60, v73, 2
	v_cndmask_b32_e32 v61, v77, v61, vcc
	ds_bpermute_b32 v60, v76, v6
	ds_bpermute_b32 v61, v76, v61
	v_add_u32_e32 v77, 32, v73
	v_cmp_eq_u16_sdwa vcc, v7, v59 src0_sel:BYTE_0 src1_sel:DWORD
	v_and_b32_e32 v73, 1, v7
	s_waitcnt lgkmcnt(0)
	v_and_b32_e32 v61, 1, v61
	v_cndmask_b32_e32 v60, 0, v60, vcc
	v_cmp_eq_u32_e32 vcc, 1, v73
	s_nop 1
	v_cndmask_b32_e64 v61, v61, 1, vcc
	v_cmp_gt_u32_e32 vcc, v77, v9
	s_nop 1
	v_cndmask_b32_e64 v9, v60, 0, vcc
	v_cndmask_b32_e32 v7, v61, v7, vcc
	v_add_u32_e32 v6, v9, v6
	s_branch .LBB107_174
.LBB107_173:                            ;   in Loop: Header=BB107_174 Depth=1
	s_or_b64 exec, exec, s[52:53]
	v_cmp_eq_u16_sdwa s[52:53], v8, v3 src0_sel:BYTE_0 src1_sel:DWORD
	v_and_b32_e32 v61, 0xff, v7
	ds_bpermute_b32 v79, v64, v61
	v_and_b32_e32 v9, s53, v5
	v_or_b32_e32 v9, 0x80000000, v9
	v_and_b32_e32 v78, s52, v4
	v_ffbl_b32_e32 v9, v9
	v_add_u32_e32 v9, 32, v9
	v_ffbl_b32_e32 v78, v78
	v_min_u32_e32 v9, v78, v9
	ds_bpermute_b32 v78, v64, v6
	v_and_b32_e32 v7, 1, v7
	v_mov_b32_e32 v60, v6
	s_waitcnt lgkmcnt(1)
	v_and_b32_e32 v79, 1, v79
	v_cmp_eq_u32_e32 vcc, 1, v7
	v_subrev_u32_e32 v58, 64, v58
	s_nop 0
	v_cndmask_b32_e64 v7, v79, 1, vcc
	v_cmp_gt_u64_e32 vcc, s[56:57], v[60:61]
	v_and_b32_e32 v79, 0xffff, v7
	s_waitcnt lgkmcnt(0)
	v_cndmask_b32_e32 v60, 0, v78, vcc
	v_cmp_gt_u32_e32 vcc, v65, v9
	s_nop 1
	v_cndmask_b32_e32 v7, v7, v61, vcc
	v_cndmask_b32_e32 v61, v79, v61, vcc
	ds_bpermute_b32 v78, v66, v61
	v_cndmask_b32_e64 v60, v60, 0, vcc
	v_add_u32_e32 v6, v60, v6
	ds_bpermute_b32 v60, v66, v6
	v_and_b32_e32 v79, 1, v7
	s_waitcnt lgkmcnt(1)
	v_and_b32_e32 v78, 1, v78
	v_cmp_eq_u32_e32 vcc, 1, v79
	s_nop 1
	v_cndmask_b32_e64 v78, v78, 1, vcc
	v_cmp_eq_u16_e32 vcc, 0, v7
	v_and_b32_e32 v79, 0xffff, v78
	s_waitcnt lgkmcnt(0)
	v_cndmask_b32_e32 v60, 0, v60, vcc
	v_cmp_gt_u32_e32 vcc, v67, v9
	s_nop 1
	v_cndmask_b32_e32 v61, v79, v61, vcc
	v_cndmask_b32_e32 v7, v78, v7, vcc
	ds_bpermute_b32 v78, v68, v61
	v_cndmask_b32_e64 v60, v60, 0, vcc
	v_add_u32_e32 v6, v60, v6
	ds_bpermute_b32 v60, v68, v6
	v_and_b32_e32 v79, 1, v7
	s_waitcnt lgkmcnt(1)
	v_and_b32_e32 v78, 1, v78
	v_cmp_eq_u32_e32 vcc, 1, v79
	s_nop 1
	v_cndmask_b32_e64 v78, v78, 1, vcc
	v_cmp_eq_u16_e32 vcc, 0, v7
	;; [unrolled: 18-line block ×3, first 2 shown]
	v_and_b32_e32 v79, 0xffff, v78
	s_waitcnt lgkmcnt(0)
	v_cndmask_b32_e32 v60, 0, v60, vcc
	v_cmp_gt_u32_e32 vcc, v71, v9
	s_nop 1
	v_cndmask_b32_e32 v61, v79, v61, vcc
	v_cndmask_b32_e32 v7, v78, v7, vcc
	ds_bpermute_b32 v78, v72, v61
	v_cndmask_b32_e64 v60, v60, 0, vcc
	v_add_u32_e32 v6, v60, v6
	ds_bpermute_b32 v60, v72, v6
	v_and_b32_e32 v79, 1, v7
	s_waitcnt lgkmcnt(1)
	v_and_b32_e32 v78, 1, v78
	v_cmp_eq_u32_e32 vcc, 1, v79
	s_nop 1
	v_cndmask_b32_e64 v78, v78, 1, vcc
	v_cmp_eq_u16_sdwa vcc, v7, v59 src0_sel:BYTE_0 src1_sel:DWORD
	s_waitcnt lgkmcnt(0)
	s_nop 0
	v_cndmask_b32_e32 v60, 0, v60, vcc
	v_cmp_gt_u32_e32 vcc, v74, v9
	s_nop 1
	v_cndmask_b32_e64 v60, v60, 0, vcc
	v_cndmask_b32_e32 v7, v78, v7, vcc
	v_add_u32_e32 v6, v60, v6
	v_and_b32_e32 v78, 0xffff, v78
	ds_bpermute_b32 v60, v76, v6
	v_cndmask_b32_e32 v61, v78, v61, vcc
	ds_bpermute_b32 v61, v76, v61
	v_cmp_eq_u16_sdwa vcc, v7, v59 src0_sel:BYTE_0 src1_sel:DWORD
	v_and_b32_e32 v78, 1, v7
	s_waitcnt lgkmcnt(1)
	v_cndmask_b32_e32 v60, 0, v60, vcc
	v_cmp_eq_u32_e32 vcc, 1, v78
	s_waitcnt lgkmcnt(0)
	s_nop 0
	v_cndmask_b32_e64 v61, v61, 1, vcc
	v_cmp_gt_u32_e32 vcc, v77, v9
	s_nop 1
	v_cndmask_b32_e64 v9, v60, 0, vcc
	v_cndmask_b32_e32 v7, v61, v7, vcc
	v_add_u32_e32 v6, v9, v6
	v_cmp_eq_u16_sdwa vcc, v73, v59 src0_sel:BYTE_0 src1_sel:DWORD
	v_and_b32_e32 v9, 1, v73
	v_and_b32_e32 v7, 1, v7
	v_cndmask_b32_e32 v6, 0, v6, vcc
	v_cmp_eq_u32_e32 vcc, 1, v9
	v_add_u32_e32 v6, v6, v75
	s_nop 0
	v_cndmask_b32_e64 v7, v7, 1, vcc
.LBB107_174:                            ; =>This Loop Header: Depth=1
                                        ;     Child Loop BB107_177 Depth 2
	v_cmp_ne_u16_sdwa s[52:53], v8, v3 src0_sel:BYTE_0 src1_sel:DWORD
	v_mov_b32_e32 v73, v7
	v_mov_b32_e32 v75, v6
	v_cndmask_b32_e64 v7, 0, 1, s[52:53]
	;;#ASMSTART
	;;#ASMEND
	s_nop 0
	v_cmp_ne_u32_e32 vcc, 0, v7
	s_cmp_lg_u64 vcc, exec
	s_cbranch_scc1 .LBB107_179
; %bb.175:                              ;   in Loop: Header=BB107_174 Depth=1
	v_lshl_add_u64 v[60:61], v[58:59], 4, s[64:65]
	;;#ASMSTART
	global_load_dwordx4 v[6:9], v[60:61] off sc1	
s_waitcnt vmcnt(0)
	;;#ASMEND
	s_nop 0
	v_cmp_eq_u16_sdwa s[58:59], v8, v59 src0_sel:BYTE_0 src1_sel:DWORD
	s_and_saveexec_b64 s[52:53], s[58:59]
	s_cbranch_execz .LBB107_173
; %bb.176:                              ;   in Loop: Header=BB107_174 Depth=1
	s_mov_b64 s[58:59], 0
.LBB107_177:                            ;   Parent Loop BB107_174 Depth=1
                                        ; =>  This Inner Loop Header: Depth=2
	;;#ASMSTART
	global_load_dwordx4 v[6:9], v[60:61] off sc1	
s_waitcnt vmcnt(0)
	;;#ASMEND
	s_nop 0
	v_cmp_ne_u16_sdwa s[62:63], v8, v59 src0_sel:BYTE_0 src1_sel:DWORD
	s_or_b64 s[58:59], s[62:63], s[58:59]
	s_andn2_b64 exec, exec, s[58:59]
	s_cbranch_execnz .LBB107_177
; %bb.178:                              ;   in Loop: Header=BB107_174 Depth=1
	s_or_b64 exec, exec, s[58:59]
	s_branch .LBB107_173
.LBB107_179:                            ;   in Loop: Header=BB107_174 Depth=1
                                        ; implicit-def: $vgpr7
                                        ; implicit-def: $vgpr6
                                        ; implicit-def: $vgpr8
	s_cbranch_execz .LBB107_174
; %bb.180:
	s_and_saveexec_b64 s[52:53], s[50:51]
	s_cbranch_execz .LBB107_182
; %bb.181:
	s_and_b32 s50, s3, 0xff
	s_cmp_eq_u32 s50, 0
	s_cselect_b64 vcc, -1, 0
	s_bitcmp1_b32 s3, 0
	s_mov_b32 s51, 0
	s_cselect_b64 s[56:57], -1, 0
	s_add_i32 s50, s2, 64
	s_lshl_b64 s[2:3], s[50:51], 4
	v_cndmask_b32_e32 v3, 0, v75, vcc
	s_add_u32 s2, s64, s2
	v_add_u32_e32 v2, v3, v2
	v_and_b32_e32 v3, 1, v73
	s_addc_u32 s3, s65, s3
	v_mov_b32_e32 v5, 0
	v_cndmask_b32_e64 v3, v3, 1, s[56:57]
	v_mov_b32_e32 v4, 2
	v_mov_b64_e32 v[6:7], s[2:3]
	;;#ASMSTART
	global_store_dwordx4 v[6:7], v[2:5] off sc1	
s_waitcnt vmcnt(0)
	;;#ASMEND
.LBB107_182:
	s_or_b64 exec, exec, s[52:53]
	s_and_b64 exec, exec, s[48:49]
	s_cbranch_execz .LBB107_184
; %bb.183:
	v_mov_b32_e32 v2, 0
	ds_write_b32 v2, v75
	ds_write_b8 v2, v73 offset:4
.LBB107_184:
	s_or_b64 exec, exec, s[54:55]
	v_mov_b32_e32 v4, 0
	s_waitcnt lgkmcnt(0)
	s_barrier
	ds_read_b32 v2, v4
	v_cmp_eq_u16_sdwa vcc, v63, v4 src0_sel:BYTE_0 src1_sel:DWORD
	v_and_b32_e32 v5, 0xff, v13
	s_waitcnt lgkmcnt(0)
	v_cndmask_b32_e32 v3, 0, v2, vcc
	v_add_u32_e32 v3, v3, v62
	v_cndmask_b32_e64 v2, v3, v2, s[48:49]
	v_cmp_eq_u64_e32 vcc, 0, v[4:5]
	s_nop 1
	v_cndmask_b32_e32 v3, 0, v2, vcc
	v_add_u32_e32 v3, v3, v12
	v_cndmask_b32_e64 v4, 0, v3, s[4:5]
	v_add_u32_e32 v4, v4, v14
	v_cndmask_b32_e64 v5, 0, v4, s[6:7]
	;; [unrolled: 2-line block ×21, first 2 shown]
	v_add_u32_e32 v72, v72, v54
	s_branch .LBB107_205
.LBB107_185:
                                        ; implicit-def: $vgpr72
                                        ; implicit-def: $vgpr70_vgpr71
                                        ; implicit-def: $vgpr68_vgpr69
                                        ; implicit-def: $vgpr66_vgpr67
                                        ; implicit-def: $vgpr64_vgpr65
                                        ; implicit-def: $vgpr62_vgpr63
                                        ; implicit-def: $vgpr60_vgpr61
                                        ; implicit-def: $vgpr58_vgpr59
                                        ; implicit-def: $vgpr8_vgpr9
                                        ; implicit-def: $vgpr6_vgpr7
                                        ; implicit-def: $vgpr4_vgpr5
                                        ; implicit-def: $vgpr2_vgpr3
	s_cbranch_execz .LBB107_205
; %bb.186:
	s_cmp_eq_u64 s[74:75], 0
	s_cbranch_scc1 .LBB107_188
; %bb.187:
	s_load_dword s67, s[74:75], 0x0
.LBB107_188:
	s_mov_b32 s2, 0
	s_mov_b32 s3, 1
	v_cmp_gt_u64_e32 vcc, s[2:3], v[14:15]
	v_cmp_gt_u64_e64 s[4:5], s[2:3], v[16:17]
	v_cmp_gt_u64_e64 s[6:7], s[2:3], v[18:19]
	v_cndmask_b32_e32 v2, 0, v12, vcc
	v_add_u32_e32 v2, v2, v14
	v_cndmask_b32_e64 v2, 0, v2, s[4:5]
	v_add_u32_e32 v2, v2, v16
	v_cndmask_b32_e64 v2, 0, v2, s[6:7]
	v_add_u32_e32 v2, v2, v18
	v_cmp_gt_u64_e64 s[8:9], s[2:3], v[20:21]
	v_cmp_gt_u64_e64 s[10:11], s[2:3], v[22:23]
	v_cmp_gt_u64_e64 s[12:13], s[2:3], v[24:25]
	v_cndmask_b32_e64 v2, 0, v2, s[8:9]
	v_add_u32_e32 v2, v2, v20
	v_cndmask_b32_e64 v2, 0, v2, s[10:11]
	v_add_u32_e32 v2, v2, v22
	v_cndmask_b32_e64 v2, 0, v2, s[12:13]
	v_add_u32_e32 v2, v2, v24
	v_cmp_gt_u64_e64 s[14:15], s[2:3], v[26:27]
	v_cmp_gt_u64_e64 s[16:17], s[2:3], v[28:29]
	v_cmp_gt_u64_e64 s[18:19], s[2:3], v[30:31]
	v_cndmask_b32_e64 v2, 0, v2, s[14:15]
	;; [unrolled: 9-line block ×6, first 2 shown]
	v_add_u32_e32 v2, v2, v50
	v_cndmask_b32_e64 v2, 0, v2, s[42:43]
	v_add_u32_e32 v2, v2, v52
	v_cndmask_b32_e64 v2, 0, v2, s[44:45]
	v_add_u32_e32 v2, v2, v54
	v_cmp_gt_u64_e64 s[2:3], s[2:3], v[56:57]
	v_add_lshl_u32 v1, v1, v0, 3
	s_nop 0
	v_cndmask_b32_e64 v2, 0, v2, s[2:3]
	v_add_u32_e32 v6, v2, v56
	v_or3_b32 v2, v11, v53, v51
	v_or3_b32 v2, v2, v49, v47
	;; [unrolled: 1-line block ×10, first 2 shown]
	v_and_b32_e32 v2, 1, v2
	v_cmp_eq_u32_e64 s[2:3], 1, v2
	s_nop 1
	v_cndmask_b32_e64 v7, v13, 1, s[2:3]
	v_cmp_gt_u32_e64 s[2:3], 64, v0
	ds_write_b32 v1, v6
	ds_write_b8 v1, v7 offset:4
	s_waitcnt lgkmcnt(0)
	s_barrier
	s_and_saveexec_b64 s[58:59], s[2:3]
	s_cbranch_execz .LBB107_200
; %bb.189:
	v_lshrrev_b32_e32 v1, 3, v0
	v_add_lshl_u32 v1, v1, v10, 3
	ds_read2_b32 v[2:3], v1 offset0:2 offset1:4
	ds_read_b64 v[4:5], v1
	ds_read_u8 v11, v1 offset:12
	ds_read_u8 v15, v1 offset:20
	ds_read_b32 v8, v1 offset:24
	ds_read_u8 v17, v1 offset:28
	s_waitcnt lgkmcnt(4)
	v_and_b32_e32 v9, 1, v5
	s_waitcnt lgkmcnt(3)
	v_cmp_eq_u16_e64 s[46:47], 0, v11
	v_and_b32_e32 v11, 1, v11
	s_waitcnt lgkmcnt(2)
	v_cmp_eq_u16_e64 s[48:49], 0, v15
	v_cndmask_b32_e64 v19, 0, v4, s[46:47]
	v_add_u32_e32 v19, v19, v2
	v_cmp_eq_u32_e64 s[52:53], 1, v11
	v_cndmask_b32_e64 v11, 0, v19, s[48:49]
	v_add_u32_e32 v11, v11, v3
	s_waitcnt lgkmcnt(0)
	v_cmp_eq_u16_e64 s[50:51], 0, v17
	v_and_b32_e32 v15, 1, v15
	v_cmp_eq_u32_e64 s[54:55], 1, v15
	v_cndmask_b32_e64 v11, 0, v11, s[50:51]
	v_add_u32_e32 v15, v11, v8
	v_and_b32_e32 v11, 1, v17
	v_cmp_eq_u32_e64 s[56:57], 1, v11
	s_or_b64 s[2:3], s[56:57], s[54:55]
	s_or_b64 s[2:3], s[2:3], s[52:53]
	v_mbcnt_lo_u32_b32 v17, -1, 0
	v_cndmask_b32_e64 v19, v9, 1, s[2:3]
	v_and_b32_e32 v11, 0xffffff00, v5
	v_mbcnt_hi_u32_b32 v17, -1, v17
	v_and_b32_e32 v25, 15, v17
	v_or_b32_sdwa v21, v11, v19 dst_sel:DWORD dst_unused:UNUSED_PAD src0_sel:DWORD src1_sel:WORD_0
	v_mov_b32_dpp v23, v15 row_shr:1 row_mask:0xf bank_mask:0xf
	v_cmp_ne_u32_e64 s[2:3], 0, v25
	v_mov_b32_dpp v27, v21 row_shr:1 row_mask:0xf bank_mask:0xf
	s_and_saveexec_b64 s[62:63], s[2:3]
; %bb.190:
	v_and_b32_e32 v21, 1, v19
	v_and_b32_e32 v27, 1, v27
	v_cmp_eq_u32_e64 s[2:3], 1, v21
	s_nop 1
	v_cndmask_b32_e64 v27, v27, 1, s[2:3]
	v_cmp_eq_u16_e64 s[2:3], 0, v19
	v_or_b32_sdwa v21, v11, v27 dst_sel:DWORD dst_unused:UNUSED_PAD src0_sel:DWORD src1_sel:WORD_0
	s_nop 0
	v_cndmask_b32_e64 v19, 0, v23, s[2:3]
	v_add_u32_e32 v15, v19, v15
	v_mov_b32_e32 v19, v27
; %bb.191:
	s_or_b64 exec, exec, s[62:63]
	v_mov_b32_dpp v27, v15 row_shr:2 row_mask:0xf bank_mask:0xf
	v_mov_b32_dpp v29, v21 row_shr:2 row_mask:0xf bank_mask:0xf
	v_cmp_lt_u32_e64 s[2:3], 1, v25
	v_mov_b32_e32 v23, v21
	s_and_saveexec_b64 s[62:63], s[2:3]
; %bb.192:
	v_and_b32_e32 v19, 1, v21
	v_and_b32_e32 v23, 1, v29
	v_cmp_eq_u32_e64 s[2:3], 1, v19
	s_nop 1
	v_cndmask_b32_e64 v19, v23, 1, s[2:3]
	v_mov_b32_e32 v23, 0
	v_cmp_eq_u16_sdwa s[2:3], v21, v23 src0_sel:BYTE_0 src1_sel:DWORD
	v_mov_b32_e32 v23, v19
	s_nop 0
	v_cndmask_b32_e64 v21, 0, v27, s[2:3]
	v_add_u32_e32 v15, v21, v15
	v_or_b32_sdwa v21, v11, v19 dst_sel:DWORD dst_unused:UNUSED_PAD src0_sel:DWORD src1_sel:WORD_0
; %bb.193:
	s_or_b64 exec, exec, s[62:63]
	v_mov_b32_dpp v27, v15 row_shr:4 row_mask:0xf bank_mask:0xf
	v_mov_b32_dpp v29, v21 row_shr:4 row_mask:0xf bank_mask:0xf
	v_cmp_lt_u32_e64 s[2:3], 3, v25
	s_and_saveexec_b64 s[62:63], s[2:3]
; %bb.194:
	v_and_b32_e32 v19, 1, v23
	v_and_b32_e32 v21, 1, v29
	v_cmp_eq_u32_e64 s[2:3], 1, v19
	s_nop 1
	v_cndmask_b32_e64 v19, v21, 1, s[2:3]
	v_mov_b32_e32 v21, 0
	v_cmp_eq_u16_sdwa s[2:3], v23, v21 src0_sel:BYTE_0 src1_sel:DWORD
	v_mov_b32_e32 v23, v19
	s_nop 0
	v_cndmask_b32_e64 v21, 0, v27, s[2:3]
	v_add_u32_e32 v15, v21, v15
	v_or_b32_sdwa v21, v11, v19 dst_sel:DWORD dst_unused:UNUSED_PAD src0_sel:DWORD src1_sel:WORD_0
; %bb.195:
	s_or_b64 exec, exec, s[62:63]
	v_mov_b32_dpp v27, v15 row_shr:8 row_mask:0xf bank_mask:0xf
	v_mov_b32_dpp v29, v21 row_shr:8 row_mask:0xf bank_mask:0xf
	v_cmp_lt_u32_e64 s[2:3], 7, v25
	s_and_saveexec_b64 s[62:63], s[2:3]
; %bb.196:
	v_and_b32_e32 v19, 1, v23
	v_and_b32_e32 v21, 1, v29
	v_cmp_eq_u32_e64 s[2:3], 1, v19
	s_nop 1
	v_cndmask_b32_e64 v19, v21, 1, s[2:3]
	v_mov_b32_e32 v21, 0
	v_cmp_eq_u16_sdwa s[2:3], v23, v21 src0_sel:BYTE_0 src1_sel:DWORD
	v_mov_b32_e32 v23, v19
	s_nop 0
	v_cndmask_b32_e64 v21, 0, v27, s[2:3]
	v_add_u32_e32 v15, v21, v15
	v_or_b32_sdwa v21, v11, v19 dst_sel:DWORD dst_unused:UNUSED_PAD src0_sel:DWORD src1_sel:WORD_0
; %bb.197:
	s_or_b64 exec, exec, s[62:63]
	v_and_b32_e32 v29, 16, v17
	v_mov_b32_dpp v25, v15 row_bcast:15 row_mask:0xf bank_mask:0xf
	v_mov_b32_dpp v27, v21 row_bcast:15 row_mask:0xf bank_mask:0xf
	v_cmp_ne_u32_e64 s[2:3], 0, v29
	s_and_saveexec_b64 s[62:63], s[2:3]
; %bb.198:
	v_and_b32_e32 v19, 1, v23
	v_and_b32_e32 v21, 1, v27
	v_cmp_eq_u32_e64 s[2:3], 1, v19
	s_nop 1
	v_cndmask_b32_e64 v19, v21, 1, s[2:3]
	v_mov_b32_e32 v21, 0
	v_cmp_eq_u16_sdwa s[2:3], v23, v21 src0_sel:BYTE_0 src1_sel:DWORD
	v_mov_b32_e32 v23, v19
	s_nop 0
	v_cndmask_b32_e64 v21, 0, v25, s[2:3]
	v_add_u32_e32 v15, v21, v15
	v_or_b32_sdwa v21, v11, v19 dst_sel:DWORD dst_unused:UNUSED_PAD src0_sel:DWORD src1_sel:WORD_0
; %bb.199:
	s_or_b64 exec, exec, s[62:63]
	s_nop 0
	v_mov_b32_dpp v21, v21 row_bcast:31 row_mask:0xf bank_mask:0xf
	v_and_b32_e32 v27, 1, v23
	v_and_b32_e32 v21, 1, v21
	v_cmp_eq_u32_e64 s[2:3], 1, v27
	v_mov_b32_e32 v27, 0
	v_cmp_eq_u16_sdwa s[62:63], v23, v27 src0_sel:BYTE_0 src1_sel:DWORD
	v_cndmask_b32_e64 v21, v21, 1, s[2:3]
	v_cmp_lt_u32_e64 s[2:3], 31, v17
	v_mov_b32_dpp v25, v15 row_bcast:31 row_mask:0xf bank_mask:0xf
	v_and_b32_e32 v23, 64, v17
	v_cndmask_b32_e64 v19, v19, v21, s[2:3]
	s_and_b64 s[2:3], s[2:3], s[62:63]
	v_cndmask_b32_e64 v21, 0, v25, s[2:3]
	v_add_u32_e32 v15, v21, v15
	v_add_u32_e32 v21, -1, v17
	v_cmp_lt_i32_e64 s[2:3], v21, v23
	v_or_b32_sdwa v11, v11, v19 dst_sel:DWORD dst_unused:UNUSED_PAD src0_sel:DWORD src1_sel:WORD_0
	s_nop 0
	v_cndmask_b32_e64 v17, v21, v17, s[2:3]
	v_lshlrev_b32_e32 v17, 2, v17
	ds_bpermute_b32 v15, v17, v15
	ds_bpermute_b32 v11, v17, v11
	v_cmp_eq_u16_sdwa s[2:3], v5, v27 src0_sel:BYTE_0 src1_sel:DWORD
	s_waitcnt lgkmcnt(1)
	s_nop 0
	v_cndmask_b32_e64 v5, 0, v15, s[2:3]
	v_add_u32_e32 v4, v5, v4
	s_waitcnt lgkmcnt(0)
	v_and_b32_e32 v5, 1, v11
	v_cmp_eq_u32_e64 s[2:3], 1, v9
	s_nop 1
	v_cndmask_b32_e64 v5, v5, 1, s[2:3]
	v_cmp_eq_u32_e64 s[2:3], 0, v0
	s_nop 1
	v_cndmask_b32_e64 v4, v4, v6, s[2:3]
	v_cndmask_b32_e64 v6, 0, v4, s[46:47]
	;; [unrolled: 1-line block ×3, first 2 shown]
	v_add_u32_e32 v2, v6, v2
	ds_write_b8 v1, v5 offset:4
	v_cndmask_b32_e64 v5, v5, 1, s[52:53]
	ds_write2_b32 v1, v4, v2 offset1:2
	ds_write_b8 v1, v5 offset:12
	v_cndmask_b32_e64 v2, 0, v2, s[48:49]
	v_add_u32_e32 v2, v2, v3
	v_cndmask_b32_e64 v4, 0, v2, s[50:51]
	v_cndmask_b32_e64 v3, v5, 1, s[54:55]
	v_add_u32_e32 v4, v4, v8
	ds_write_b8 v1, v3 offset:20
	v_cndmask_b32_e64 v3, v3, 1, s[56:57]
	ds_write2_b32 v1, v2, v4 offset0:4 offset1:6
	ds_write_b8 v1, v3 offset:28
.LBB107_200:
	s_or_b64 exec, exec, s[58:59]
	v_cmp_eq_u32_e64 s[46:47], 0, v0
	v_cmp_ne_u32_e64 s[2:3], 0, v0
	v_mov_b32_e32 v2, s67
	s_waitcnt lgkmcnt(0)
	s_barrier
	s_and_saveexec_b64 s[48:49], s[2:3]
	s_cbranch_execz .LBB107_202
; %bb.201:
	v_add_u32_e32 v1, -1, v0
	v_lshrrev_b32_e32 v2, 5, v1
	v_add_lshl_u32 v1, v2, v1, 3
	ds_read_u8 v2, v1 offset:4
	ds_read_b32 v1, v1
	v_mov_b32_e32 v3, s67
	s_waitcnt lgkmcnt(1)
	v_cmp_eq_u16_e64 s[2:3], 0, v2
	s_nop 1
	v_cndmask_b32_e64 v2, 0, v3, s[2:3]
	s_waitcnt lgkmcnt(0)
	v_add_u32_e32 v2, v2, v1
.LBB107_202:
	s_or_b64 exec, exec, s[48:49]
	v_and_b32_e32 v57, 0xff, v13
	v_mov_b32_e32 v56, 0
	v_cmp_eq_u64_e64 s[2:3], 0, v[56:57]
	s_nop 1
	v_cndmask_b32_e64 v1, 0, v2, s[2:3]
	v_add_u32_e32 v3, v1, v12
	v_cndmask_b32_e32 v1, 0, v3, vcc
	v_add_u32_e32 v4, v1, v14
	v_cndmask_b32_e64 v1, 0, v4, s[4:5]
	v_add_u32_e32 v5, v1, v16
	v_cndmask_b32_e64 v1, 0, v5, s[6:7]
	;; [unrolled: 2-line block ×20, first 2 shown]
	s_and_saveexec_b64 s[2:3], s[46:47]
	s_cbranch_execz .LBB107_204
; %bb.203:
	ds_read_u8 v11, v56 offset:2100
	ds_read_b32 v12, v56 offset:2096
	v_mov_b32_e32 v14, 2
	v_mov_b32_e32 v15, v56
	s_waitcnt lgkmcnt(1)
	v_cmp_eq_u16_e32 vcc, 0, v11
	s_and_b64 s[4:5], vcc, exec
	s_cselect_b32 s5, s67, 0
	s_add_u32 s4, s64, 0x400
	s_waitcnt lgkmcnt(0)
	v_add_u32_e32 v12, s5, v12
	s_addc_u32 s5, s65, 0
	v_and_b32_e32 v13, 0xffff, v11
	v_mov_b64_e32 v[16:17], s[4:5]
	;;#ASMSTART
	global_store_dwordx4 v[16:17], v[12:15] off sc1	
s_waitcnt vmcnt(0)
	;;#ASMEND
.LBB107_204:
	s_or_b64 exec, exec, s[2:3]
	v_add_u32_e32 v72, v1, v54
.LBB107_205:
	s_load_dwordx2 s[0:1], s[0:1], 0x18
	s_waitcnt lgkmcnt(0)
	s_add_u32 s0, s0, s72
	s_addc_u32 s1, s1, s73
	s_and_b64 vcc, exec, s[60:61]
	s_cbranch_vccz .LBB107_251
; %bb.206:
	s_movk_i32 s2, 0x5c
	v_mul_i32_i24_e32 v36, 0xffffffa8, v0
	v_mul_u32_u24_e32 v1, 0x5c, v0
	v_mad_u32_u24 v11, v0, s2, v36
	s_barrier
	ds_write2_b32 v1, v2, v3 offset1:1
	ds_write2_b32 v1, v4, v5 offset0:2 offset1:3
	ds_write2_b32 v1, v6, v7 offset0:4 offset1:5
	;; [unrolled: 1-line block ×10, first 2 shown]
	ds_write_b32 v1, v72 offset:88
	s_waitcnt lgkmcnt(0)
	s_barrier
	ds_read2st64_b32 v[34:35], v11 offset0:4 offset1:8
	ds_read2st64_b32 v[32:33], v11 offset0:12 offset1:16
	;; [unrolled: 1-line block ×11, first 2 shown]
	s_add_i32 s33, s33, s66
	v_mov_b32_e32 v11, 0
	v_lshl_add_u64 v[14:15], s[0:1], 0, v[10:11]
	v_cmp_gt_u32_e32 vcc, s33, v0
	s_and_saveexec_b64 s[2:3], vcc
	s_cbranch_execz .LBB107_208
; %bb.207:
	v_add_u32_e32 v1, v1, v36
	ds_read_b32 v1, v1
	s_waitcnt lgkmcnt(0)
	v_cvt_f32_i32_e32 v1, v1
	global_store_dword v[14:15], v1, off
.LBB107_208:
	s_or_b64 exec, exec, s[2:3]
	v_or_b32_e32 v1, 0x100, v0
	v_cmp_gt_u32_e32 vcc, s33, v1
	s_and_saveexec_b64 s[2:3], vcc
	s_cbranch_execz .LBB107_210
; %bb.209:
	s_waitcnt lgkmcnt(10)
	v_cvt_f32_i32_e32 v1, v34
	global_store_dword v[14:15], v1, off offset:1024
.LBB107_210:
	s_or_b64 exec, exec, s[2:3]
	v_or_b32_e32 v1, 0x200, v0
	v_cmp_gt_u32_e32 vcc, s33, v1
	s_and_saveexec_b64 s[2:3], vcc
	s_cbranch_execz .LBB107_212
; %bb.211:
	s_waitcnt lgkmcnt(10)
	v_cvt_f32_i32_e32 v1, v35
	global_store_dword v[14:15], v1, off offset:2048
.LBB107_212:
	s_or_b64 exec, exec, s[2:3]
	v_or_b32_e32 v1, 0x300, v0
	v_cmp_gt_u32_e32 vcc, s33, v1
	s_and_saveexec_b64 s[2:3], vcc
	s_cbranch_execz .LBB107_214
; %bb.213:
	s_waitcnt lgkmcnt(9)
	v_cvt_f32_i32_e32 v1, v32
	global_store_dword v[14:15], v1, off offset:3072
.LBB107_214:
	s_or_b64 exec, exec, s[2:3]
	v_or_b32_e32 v1, 0x400, v0
	v_cmp_gt_u32_e32 vcc, s33, v1
	s_and_saveexec_b64 s[2:3], vcc
	s_cbranch_execz .LBB107_216
; %bb.215:
	s_waitcnt lgkmcnt(9)
	v_cvt_f32_i32_e32 v1, v33
	v_add_co_u32_e32 v32, vcc, 0x1000, v14
	s_nop 1
	v_addc_co_u32_e32 v33, vcc, 0, v15, vcc
	global_store_dword v[32:33], v1, off
.LBB107_216:
	s_or_b64 exec, exec, s[2:3]
	v_or_b32_e32 v1, 0x500, v0
	v_cmp_gt_u32_e32 vcc, s33, v1
	s_and_saveexec_b64 s[2:3], vcc
	s_cbranch_execz .LBB107_218
; %bb.217:
	s_waitcnt lgkmcnt(8)
	v_cvt_f32_i32_e32 v1, v30
	v_add_co_u32_e32 v32, vcc, 0x1000, v14
	s_nop 1
	v_addc_co_u32_e32 v33, vcc, 0, v15, vcc
	global_store_dword v[32:33], v1, off offset:1024
.LBB107_218:
	s_or_b64 exec, exec, s[2:3]
	v_or_b32_e32 v1, 0x600, v0
	v_cmp_gt_u32_e32 vcc, s33, v1
	s_and_saveexec_b64 s[2:3], vcc
	s_cbranch_execz .LBB107_220
; %bb.219:
	s_waitcnt lgkmcnt(8)
	v_cvt_f32_i32_e32 v1, v31
	v_add_co_u32_e32 v30, vcc, 0x1000, v14
	s_nop 1
	v_addc_co_u32_e32 v31, vcc, 0, v15, vcc
	global_store_dword v[30:31], v1, off offset:2048
.LBB107_220:
	s_or_b64 exec, exec, s[2:3]
	v_or_b32_e32 v1, 0x700, v0
	v_cmp_gt_u32_e32 vcc, s33, v1
	s_and_saveexec_b64 s[2:3], vcc
	s_cbranch_execz .LBB107_222
; %bb.221:
	s_waitcnt lgkmcnt(7)
	v_cvt_f32_i32_e32 v1, v28
	v_add_co_u32_e32 v30, vcc, 0x1000, v14
	s_nop 1
	v_addc_co_u32_e32 v31, vcc, 0, v15, vcc
	global_store_dword v[30:31], v1, off offset:3072
.LBB107_222:
	s_or_b64 exec, exec, s[2:3]
	v_or_b32_e32 v1, 0x800, v0
	v_cmp_gt_u32_e32 vcc, s33, v1
	s_and_saveexec_b64 s[2:3], vcc
	s_cbranch_execz .LBB107_224
; %bb.223:
	s_waitcnt lgkmcnt(7)
	v_cvt_f32_i32_e32 v1, v29
	v_add_co_u32_e32 v28, vcc, 0x2000, v14
	s_nop 1
	v_addc_co_u32_e32 v29, vcc, 0, v15, vcc
	global_store_dword v[28:29], v1, off
.LBB107_224:
	s_or_b64 exec, exec, s[2:3]
	v_or_b32_e32 v1, 0x900, v0
	v_cmp_gt_u32_e32 vcc, s33, v1
	s_and_saveexec_b64 s[2:3], vcc
	s_cbranch_execz .LBB107_226
; %bb.225:
	s_waitcnt lgkmcnt(6)
	v_cvt_f32_i32_e32 v1, v26
	v_add_co_u32_e32 v28, vcc, 0x2000, v14
	s_nop 1
	v_addc_co_u32_e32 v29, vcc, 0, v15, vcc
	global_store_dword v[28:29], v1, off offset:1024
.LBB107_226:
	s_or_b64 exec, exec, s[2:3]
	v_or_b32_e32 v1, 0xa00, v0
	v_cmp_gt_u32_e32 vcc, s33, v1
	s_and_saveexec_b64 s[2:3], vcc
	s_cbranch_execz .LBB107_228
; %bb.227:
	s_waitcnt lgkmcnt(6)
	v_cvt_f32_i32_e32 v1, v27
	v_add_co_u32_e32 v26, vcc, 0x2000, v14
	s_nop 1
	v_addc_co_u32_e32 v27, vcc, 0, v15, vcc
	global_store_dword v[26:27], v1, off offset:2048
.LBB107_228:
	s_or_b64 exec, exec, s[2:3]
	v_or_b32_e32 v1, 0xb00, v0
	v_cmp_gt_u32_e32 vcc, s33, v1
	s_and_saveexec_b64 s[2:3], vcc
	s_cbranch_execz .LBB107_230
; %bb.229:
	s_waitcnt lgkmcnt(5)
	v_cvt_f32_i32_e32 v1, v24
	v_add_co_u32_e32 v26, vcc, 0x2000, v14
	s_nop 1
	v_addc_co_u32_e32 v27, vcc, 0, v15, vcc
	global_store_dword v[26:27], v1, off offset:3072
.LBB107_230:
	;; [unrolled: 52-line block ×4, first 2 shown]
	s_or_b64 exec, exec, s[2:3]
	v_or_b32_e32 v1, 0x1400, v0
	v_cmp_gt_u32_e32 vcc, s33, v1
	s_and_saveexec_b64 s[2:3], vcc
	s_cbranch_execz .LBB107_248
; %bb.247:
	s_waitcnt lgkmcnt(1)
	v_cvt_f32_i32_e32 v1, v17
	v_add_co_u32_e32 v16, vcc, 0x5000, v14
	s_nop 1
	v_addc_co_u32_e32 v17, vcc, 0, v15, vcc
	global_store_dword v[16:17], v1, off
.LBB107_248:
	s_or_b64 exec, exec, s[2:3]
	v_or_b32_e32 v1, 0x1500, v0
	v_cmp_gt_u32_e32 vcc, s33, v1
	s_and_saveexec_b64 s[2:3], vcc
	s_cbranch_execz .LBB107_250
; %bb.249:
	s_waitcnt lgkmcnt(0)
	v_cvt_f32_i32_e32 v1, v12
	v_add_co_u32_e32 v14, vcc, 0x5000, v14
	s_nop 1
	v_addc_co_u32_e32 v15, vcc, 0, v15, vcc
	global_store_dword v[14:15], v1, off offset:1024
.LBB107_250:
	s_or_b64 exec, exec, s[2:3]
	v_mov_b32_e32 v1, v11
	v_or_b32_e32 v11, 0x1600, v0
	v_cmp_gt_u32_e64 s[2:3], s33, v11
	s_branch .LBB107_253
.LBB107_251:
	s_mov_b64 s[2:3], 0
                                        ; implicit-def: $vgpr13
	s_cbranch_execz .LBB107_253
; %bb.252:
	v_mul_u32_u24_e32 v1, 0x5c, v0
	s_waitcnt lgkmcnt(0)
	s_barrier
	s_movk_i32 s4, 0x5c
	ds_write2_b32 v1, v2, v3 offset1:1
	ds_write2_b32 v1, v4, v5 offset0:2 offset1:3
	ds_write2_b32 v1, v6, v7 offset0:4 offset1:5
	;; [unrolled: 1-line block ×10, first 2 shown]
	ds_write_b32 v1, v72 offset:88
	v_mul_i32_i24_e32 v2, 0xffffffa8, v0
	v_mad_u32_u24 v11, v0, s4, v2
	s_waitcnt lgkmcnt(0)
	s_barrier
	ds_read2st64_b32 v[2:3], v11 offset1:4
	ds_read2st64_b32 v[4:5], v11 offset0:8 offset1:12
	ds_read2st64_b32 v[6:7], v11 offset0:16 offset1:20
	;; [unrolled: 1-line block ×10, first 2 shown]
	ds_read_b32 v13, v11 offset:22528
	s_waitcnt lgkmcnt(11)
	v_cvt_f32_i32_e32 v2, v2
	v_mov_b32_e32 v1, 0
	v_cvt_f32_i32_e32 v3, v3
	v_mov_b32_e32 v11, v1
	s_waitcnt lgkmcnt(10)
	v_cvt_f32_i32_e32 v4, v4
	v_lshl_add_u64 v[28:29], s[0:1], 0, v[10:11]
	v_cvt_f32_i32_e32 v5, v5
	s_movk_i32 s4, 0x1000
	global_store_dword v10, v2, s[0:1]
	global_store_dword v10, v3, s[0:1] offset:1024
	global_store_dword v10, v4, s[0:1] offset:2048
	;; [unrolled: 1-line block ×3, first 2 shown]
	s_waitcnt lgkmcnt(9)
	v_cvt_f32_i32_e32 v6, v6
	v_add_co_u32_e32 v2, vcc, s4, v28
	s_movk_i32 s4, 0x2000
	s_nop 0
	v_addc_co_u32_e32 v3, vcc, 0, v29, vcc
	v_cvt_f32_i32_e32 v7, v7
	v_add_co_u32_e32 v4, vcc, s4, v28
	s_waitcnt lgkmcnt(8)
	v_cvt_f32_i32_e32 v8, v8
	v_addc_co_u32_e32 v5, vcc, 0, v29, vcc
	v_cvt_f32_i32_e32 v9, v9
	global_store_dword v[4:5], v6, off offset:-4096
	global_store_dword v[2:3], v7, off offset:1024
	global_store_dword v[2:3], v8, off offset:2048
	;; [unrolled: 1-line block ×3, first 2 shown]
	s_waitcnt lgkmcnt(7)
	v_cvt_f32_i32_e32 v2, v14
	v_cvt_f32_i32_e32 v3, v15
	s_waitcnt lgkmcnt(6)
	v_cvt_f32_i32_e32 v6, v16
	v_cvt_f32_i32_e32 v7, v17
	s_movk_i32 s4, 0x3000
	global_store_dword v[4:5], v2, off
	global_store_dword v[4:5], v3, off offset:1024
	global_store_dword v[4:5], v6, off offset:2048
	;; [unrolled: 1-line block ×3, first 2 shown]
	s_waitcnt lgkmcnt(5)
	v_cvt_f32_i32_e32 v6, v18
	v_add_co_u32_e32 v2, vcc, s4, v28
	s_movk_i32 s4, 0x4000
	s_nop 0
	v_addc_co_u32_e32 v3, vcc, 0, v29, vcc
	v_cvt_f32_i32_e32 v7, v19
	v_add_co_u32_e32 v4, vcc, s4, v28
	s_waitcnt lgkmcnt(4)
	v_cvt_f32_i32_e32 v8, v20
	v_addc_co_u32_e32 v5, vcc, 0, v29, vcc
	v_cvt_f32_i32_e32 v9, v21
	global_store_dword v[4:5], v6, off offset:-4096
	global_store_dword v[2:3], v7, off offset:1024
	global_store_dword v[2:3], v8, off offset:2048
	;; [unrolled: 1-line block ×3, first 2 shown]
	s_waitcnt lgkmcnt(3)
	v_cvt_f32_i32_e32 v2, v22
	v_cvt_f32_i32_e32 v3, v23
	s_waitcnt lgkmcnt(2)
	v_cvt_f32_i32_e32 v6, v24
	v_cvt_f32_i32_e32 v7, v25
	global_store_dword v[4:5], v2, off
	global_store_dword v[4:5], v3, off offset:1024
	global_store_dword v[4:5], v6, off offset:2048
	;; [unrolled: 1-line block ×3, first 2 shown]
	s_waitcnt lgkmcnt(1)
	v_cvt_f32_i32_e32 v4, v26
	v_cvt_f32_i32_e32 v5, v27
	v_add_co_u32_e32 v2, vcc, 0x5000, v28
	s_or_b64 s[2:3], s[2:3], exec
	s_nop 0
	v_addc_co_u32_e32 v3, vcc, 0, v29, vcc
	global_store_dword v[2:3], v4, off
	global_store_dword v[2:3], v5, off offset:1024
.LBB107_253:
	s_and_saveexec_b64 s[4:5], s[2:3]
	s_cbranch_execz .LBB107_255
; %bb.254:
	s_waitcnt lgkmcnt(0)
	v_cvt_f32_i32_e32 v2, v13
	v_lshl_add_u64 v[0:1], v[0:1], 2, s[0:1]
	v_add_co_u32_e32 v0, vcc, 0x5000, v0
	s_nop 1
	v_addc_co_u32_e32 v1, vcc, 0, v1, vcc
	global_store_dword v[0:1], v2, off offset:2048
	s_endpgm
.LBB107_255:
	s_endpgm
	.section	.rodata,"a",@progbits
	.p2align	6, 0x0
	.amdhsa_kernel _ZN7rocprim6detail25device_scan_by_key_kernelILNS0_25lookback_scan_determinismE0ELb1ENS0_26wrapped_scan_by_key_configINS_14default_configEiiEEPiN6hipcub22TransformInputIteratorIsNS7_6CastOpIsEEPslEEPfsNS7_8EqualityENS7_3SumENS0_19lookback_scan_stateINS_5tupleIJibEEELb0ELb1EEEiEEvT2_T3_T4_T5_T6_T7_T8_mmmPKNSH_IJT9_bEEE
		.amdhsa_group_segment_fixed_size 25600
		.amdhsa_private_segment_fixed_size 0
		.amdhsa_kernarg_size 80
		.amdhsa_user_sgpr_count 2
		.amdhsa_user_sgpr_dispatch_ptr 0
		.amdhsa_user_sgpr_queue_ptr 0
		.amdhsa_user_sgpr_kernarg_segment_ptr 1
		.amdhsa_user_sgpr_dispatch_id 0
		.amdhsa_user_sgpr_kernarg_preload_length 0
		.amdhsa_user_sgpr_kernarg_preload_offset 0
		.amdhsa_user_sgpr_private_segment_size 0
		.amdhsa_uses_dynamic_stack 0
		.amdhsa_enable_private_segment 0
		.amdhsa_system_sgpr_workgroup_id_x 1
		.amdhsa_system_sgpr_workgroup_id_y 0
		.amdhsa_system_sgpr_workgroup_id_z 0
		.amdhsa_system_sgpr_workgroup_info 0
		.amdhsa_system_vgpr_workitem_id 0
		.amdhsa_next_free_vgpr 80
		.amdhsa_next_free_sgpr 76
		.amdhsa_accum_offset 80
		.amdhsa_reserve_vcc 1
		.amdhsa_float_round_mode_32 0
		.amdhsa_float_round_mode_16_64 0
		.amdhsa_float_denorm_mode_32 3
		.amdhsa_float_denorm_mode_16_64 3
		.amdhsa_dx10_clamp 1
		.amdhsa_ieee_mode 1
		.amdhsa_fp16_overflow 0
		.amdhsa_tg_split 0
		.amdhsa_exception_fp_ieee_invalid_op 0
		.amdhsa_exception_fp_denorm_src 0
		.amdhsa_exception_fp_ieee_div_zero 0
		.amdhsa_exception_fp_ieee_overflow 0
		.amdhsa_exception_fp_ieee_underflow 0
		.amdhsa_exception_fp_ieee_inexact 0
		.amdhsa_exception_int_div_zero 0
	.end_amdhsa_kernel
	.section	.text._ZN7rocprim6detail25device_scan_by_key_kernelILNS0_25lookback_scan_determinismE0ELb1ENS0_26wrapped_scan_by_key_configINS_14default_configEiiEEPiN6hipcub22TransformInputIteratorIsNS7_6CastOpIsEEPslEEPfsNS7_8EqualityENS7_3SumENS0_19lookback_scan_stateINS_5tupleIJibEEELb0ELb1EEEiEEvT2_T3_T4_T5_T6_T7_T8_mmmPKNSH_IJT9_bEEE,"axG",@progbits,_ZN7rocprim6detail25device_scan_by_key_kernelILNS0_25lookback_scan_determinismE0ELb1ENS0_26wrapped_scan_by_key_configINS_14default_configEiiEEPiN6hipcub22TransformInputIteratorIsNS7_6CastOpIsEEPslEEPfsNS7_8EqualityENS7_3SumENS0_19lookback_scan_stateINS_5tupleIJibEEELb0ELb1EEEiEEvT2_T3_T4_T5_T6_T7_T8_mmmPKNSH_IJT9_bEEE,comdat
.Lfunc_end107:
	.size	_ZN7rocprim6detail25device_scan_by_key_kernelILNS0_25lookback_scan_determinismE0ELb1ENS0_26wrapped_scan_by_key_configINS_14default_configEiiEEPiN6hipcub22TransformInputIteratorIsNS7_6CastOpIsEEPslEEPfsNS7_8EqualityENS7_3SumENS0_19lookback_scan_stateINS_5tupleIJibEEELb0ELb1EEEiEEvT2_T3_T4_T5_T6_T7_T8_mmmPKNSH_IJT9_bEEE, .Lfunc_end107-_ZN7rocprim6detail25device_scan_by_key_kernelILNS0_25lookback_scan_determinismE0ELb1ENS0_26wrapped_scan_by_key_configINS_14default_configEiiEEPiN6hipcub22TransformInputIteratorIsNS7_6CastOpIsEEPslEEPfsNS7_8EqualityENS7_3SumENS0_19lookback_scan_stateINS_5tupleIJibEEELb0ELb1EEEiEEvT2_T3_T4_T5_T6_T7_T8_mmmPKNSH_IJT9_bEEE
                                        ; -- End function
	.section	.AMDGPU.csdata,"",@progbits
; Kernel info:
; codeLenInByte = 15416
; NumSgprs: 82
; NumVgprs: 80
; NumAgprs: 0
; TotalNumVgprs: 80
; ScratchSize: 0
; MemoryBound: 0
; FloatMode: 240
; IeeeMode: 1
; LDSByteSize: 25600 bytes/workgroup (compile time only)
; SGPRBlocks: 10
; VGPRBlocks: 9
; NumSGPRsForWavesPerEU: 82
; NumVGPRsForWavesPerEU: 80
; AccumOffset: 80
; Occupancy: 2
; WaveLimiterHint : 1
; COMPUTE_PGM_RSRC2:SCRATCH_EN: 0
; COMPUTE_PGM_RSRC2:USER_SGPR: 2
; COMPUTE_PGM_RSRC2:TRAP_HANDLER: 0
; COMPUTE_PGM_RSRC2:TGID_X_EN: 1
; COMPUTE_PGM_RSRC2:TGID_Y_EN: 0
; COMPUTE_PGM_RSRC2:TGID_Z_EN: 0
; COMPUTE_PGM_RSRC2:TIDIG_COMP_CNT: 0
; COMPUTE_PGM_RSRC3_GFX90A:ACCUM_OFFSET: 19
; COMPUTE_PGM_RSRC3_GFX90A:TG_SPLIT: 0
	.section	.text._ZN7rocprim6detail25device_scan_by_key_kernelILNS0_25lookback_scan_determinismE0ELb1ENS0_26wrapped_scan_by_key_configINS_14default_configEisEEPiN6hipcub22TransformInputIteratorIsNS7_6CastOpIsEEPslEEPfsNS7_8EqualityENS7_3MaxENS0_19lookback_scan_stateINS_5tupleIJsbEEELb1ELb1EEEsEEvT2_T3_T4_T5_T6_T7_T8_mmmPKNSH_IJT9_bEEE,"axG",@progbits,_ZN7rocprim6detail25device_scan_by_key_kernelILNS0_25lookback_scan_determinismE0ELb1ENS0_26wrapped_scan_by_key_configINS_14default_configEisEEPiN6hipcub22TransformInputIteratorIsNS7_6CastOpIsEEPslEEPfsNS7_8EqualityENS7_3MaxENS0_19lookback_scan_stateINS_5tupleIJsbEEELb1ELb1EEEsEEvT2_T3_T4_T5_T6_T7_T8_mmmPKNSH_IJT9_bEEE,comdat
	.protected	_ZN7rocprim6detail25device_scan_by_key_kernelILNS0_25lookback_scan_determinismE0ELb1ENS0_26wrapped_scan_by_key_configINS_14default_configEisEEPiN6hipcub22TransformInputIteratorIsNS7_6CastOpIsEEPslEEPfsNS7_8EqualityENS7_3MaxENS0_19lookback_scan_stateINS_5tupleIJsbEEELb1ELb1EEEsEEvT2_T3_T4_T5_T6_T7_T8_mmmPKNSH_IJT9_bEEE ; -- Begin function _ZN7rocprim6detail25device_scan_by_key_kernelILNS0_25lookback_scan_determinismE0ELb1ENS0_26wrapped_scan_by_key_configINS_14default_configEisEEPiN6hipcub22TransformInputIteratorIsNS7_6CastOpIsEEPslEEPfsNS7_8EqualityENS7_3MaxENS0_19lookback_scan_stateINS_5tupleIJsbEEELb1ELb1EEEsEEvT2_T3_T4_T5_T6_T7_T8_mmmPKNSH_IJT9_bEEE
	.globl	_ZN7rocprim6detail25device_scan_by_key_kernelILNS0_25lookback_scan_determinismE0ELb1ENS0_26wrapped_scan_by_key_configINS_14default_configEisEEPiN6hipcub22TransformInputIteratorIsNS7_6CastOpIsEEPslEEPfsNS7_8EqualityENS7_3MaxENS0_19lookback_scan_stateINS_5tupleIJsbEEELb1ELb1EEEsEEvT2_T3_T4_T5_T6_T7_T8_mmmPKNSH_IJT9_bEEE
	.p2align	8
	.type	_ZN7rocprim6detail25device_scan_by_key_kernelILNS0_25lookback_scan_determinismE0ELb1ENS0_26wrapped_scan_by_key_configINS_14default_configEisEEPiN6hipcub22TransformInputIteratorIsNS7_6CastOpIsEEPslEEPfsNS7_8EqualityENS7_3MaxENS0_19lookback_scan_stateINS_5tupleIJsbEEELb1ELb1EEEsEEvT2_T3_T4_T5_T6_T7_T8_mmmPKNSH_IJT9_bEEE,@function
_ZN7rocprim6detail25device_scan_by_key_kernelILNS0_25lookback_scan_determinismE0ELb1ENS0_26wrapped_scan_by_key_configINS_14default_configEisEEPiN6hipcub22TransformInputIteratorIsNS7_6CastOpIsEEPslEEPfsNS7_8EqualityENS7_3MaxENS0_19lookback_scan_stateINS_5tupleIJsbEEELb1ELb1EEEsEEvT2_T3_T4_T5_T6_T7_T8_mmmPKNSH_IJT9_bEEE: ; @_ZN7rocprim6detail25device_scan_by_key_kernelILNS0_25lookback_scan_determinismE0ELb1ENS0_26wrapped_scan_by_key_configINS_14default_configEisEEPiN6hipcub22TransformInputIteratorIsNS7_6CastOpIsEEPslEEPfsNS7_8EqualityENS7_3MaxENS0_19lookback_scan_stateINS_5tupleIJsbEEELb1ELb1EEEsEEvT2_T3_T4_T5_T6_T7_T8_mmmPKNSH_IJT9_bEEE
; %bb.0:
	s_endpgm
	.section	.rodata,"a",@progbits
	.p2align	6, 0x0
	.amdhsa_kernel _ZN7rocprim6detail25device_scan_by_key_kernelILNS0_25lookback_scan_determinismE0ELb1ENS0_26wrapped_scan_by_key_configINS_14default_configEisEEPiN6hipcub22TransformInputIteratorIsNS7_6CastOpIsEEPslEEPfsNS7_8EqualityENS7_3MaxENS0_19lookback_scan_stateINS_5tupleIJsbEEELb1ELb1EEEsEEvT2_T3_T4_T5_T6_T7_T8_mmmPKNSH_IJT9_bEEE
		.amdhsa_group_segment_fixed_size 0
		.amdhsa_private_segment_fixed_size 0
		.amdhsa_kernarg_size 80
		.amdhsa_user_sgpr_count 2
		.amdhsa_user_sgpr_dispatch_ptr 0
		.amdhsa_user_sgpr_queue_ptr 0
		.amdhsa_user_sgpr_kernarg_segment_ptr 1
		.amdhsa_user_sgpr_dispatch_id 0
		.amdhsa_user_sgpr_kernarg_preload_length 0
		.amdhsa_user_sgpr_kernarg_preload_offset 0
		.amdhsa_user_sgpr_private_segment_size 0
		.amdhsa_uses_dynamic_stack 0
		.amdhsa_enable_private_segment 0
		.amdhsa_system_sgpr_workgroup_id_x 1
		.amdhsa_system_sgpr_workgroup_id_y 0
		.amdhsa_system_sgpr_workgroup_id_z 0
		.amdhsa_system_sgpr_workgroup_info 0
		.amdhsa_system_vgpr_workitem_id 0
		.amdhsa_next_free_vgpr 1
		.amdhsa_next_free_sgpr 0
		.amdhsa_accum_offset 4
		.amdhsa_reserve_vcc 0
		.amdhsa_float_round_mode_32 0
		.amdhsa_float_round_mode_16_64 0
		.amdhsa_float_denorm_mode_32 3
		.amdhsa_float_denorm_mode_16_64 3
		.amdhsa_dx10_clamp 1
		.amdhsa_ieee_mode 1
		.amdhsa_fp16_overflow 0
		.amdhsa_tg_split 0
		.amdhsa_exception_fp_ieee_invalid_op 0
		.amdhsa_exception_fp_denorm_src 0
		.amdhsa_exception_fp_ieee_div_zero 0
		.amdhsa_exception_fp_ieee_overflow 0
		.amdhsa_exception_fp_ieee_underflow 0
		.amdhsa_exception_fp_ieee_inexact 0
		.amdhsa_exception_int_div_zero 0
	.end_amdhsa_kernel
	.section	.text._ZN7rocprim6detail25device_scan_by_key_kernelILNS0_25lookback_scan_determinismE0ELb1ENS0_26wrapped_scan_by_key_configINS_14default_configEisEEPiN6hipcub22TransformInputIteratorIsNS7_6CastOpIsEEPslEEPfsNS7_8EqualityENS7_3MaxENS0_19lookback_scan_stateINS_5tupleIJsbEEELb1ELb1EEEsEEvT2_T3_T4_T5_T6_T7_T8_mmmPKNSH_IJT9_bEEE,"axG",@progbits,_ZN7rocprim6detail25device_scan_by_key_kernelILNS0_25lookback_scan_determinismE0ELb1ENS0_26wrapped_scan_by_key_configINS_14default_configEisEEPiN6hipcub22TransformInputIteratorIsNS7_6CastOpIsEEPslEEPfsNS7_8EqualityENS7_3MaxENS0_19lookback_scan_stateINS_5tupleIJsbEEELb1ELb1EEEsEEvT2_T3_T4_T5_T6_T7_T8_mmmPKNSH_IJT9_bEEE,comdat
.Lfunc_end108:
	.size	_ZN7rocprim6detail25device_scan_by_key_kernelILNS0_25lookback_scan_determinismE0ELb1ENS0_26wrapped_scan_by_key_configINS_14default_configEisEEPiN6hipcub22TransformInputIteratorIsNS7_6CastOpIsEEPslEEPfsNS7_8EqualityENS7_3MaxENS0_19lookback_scan_stateINS_5tupleIJsbEEELb1ELb1EEEsEEvT2_T3_T4_T5_T6_T7_T8_mmmPKNSH_IJT9_bEEE, .Lfunc_end108-_ZN7rocprim6detail25device_scan_by_key_kernelILNS0_25lookback_scan_determinismE0ELb1ENS0_26wrapped_scan_by_key_configINS_14default_configEisEEPiN6hipcub22TransformInputIteratorIsNS7_6CastOpIsEEPslEEPfsNS7_8EqualityENS7_3MaxENS0_19lookback_scan_stateINS_5tupleIJsbEEELb1ELb1EEEsEEvT2_T3_T4_T5_T6_T7_T8_mmmPKNSH_IJT9_bEEE
                                        ; -- End function
	.section	.AMDGPU.csdata,"",@progbits
; Kernel info:
; codeLenInByte = 4
; NumSgprs: 6
; NumVgprs: 0
; NumAgprs: 0
; TotalNumVgprs: 0
; ScratchSize: 0
; MemoryBound: 0
; FloatMode: 240
; IeeeMode: 1
; LDSByteSize: 0 bytes/workgroup (compile time only)
; SGPRBlocks: 0
; VGPRBlocks: 0
; NumSGPRsForWavesPerEU: 6
; NumVGPRsForWavesPerEU: 1
; AccumOffset: 4
; Occupancy: 8
; WaveLimiterHint : 0
; COMPUTE_PGM_RSRC2:SCRATCH_EN: 0
; COMPUTE_PGM_RSRC2:USER_SGPR: 2
; COMPUTE_PGM_RSRC2:TRAP_HANDLER: 0
; COMPUTE_PGM_RSRC2:TGID_X_EN: 1
; COMPUTE_PGM_RSRC2:TGID_Y_EN: 0
; COMPUTE_PGM_RSRC2:TGID_Z_EN: 0
; COMPUTE_PGM_RSRC2:TIDIG_COMP_CNT: 0
; COMPUTE_PGM_RSRC3_GFX90A:ACCUM_OFFSET: 0
; COMPUTE_PGM_RSRC3_GFX90A:TG_SPLIT: 0
	.section	.text._ZN7rocprim6detail25device_scan_by_key_kernelILNS0_25lookback_scan_determinismE0ELb1ENS0_26wrapped_scan_by_key_configINS_14default_configEisEEPiN6hipcub22TransformInputIteratorIsNS7_6CastOpIsEEPslEEPfsNS7_8EqualityENS7_3MaxENS0_19lookback_scan_stateINS_5tupleIJsbEEELb0ELb1EEEsEEvT2_T3_T4_T5_T6_T7_T8_mmmPKNSH_IJT9_bEEE,"axG",@progbits,_ZN7rocprim6detail25device_scan_by_key_kernelILNS0_25lookback_scan_determinismE0ELb1ENS0_26wrapped_scan_by_key_configINS_14default_configEisEEPiN6hipcub22TransformInputIteratorIsNS7_6CastOpIsEEPslEEPfsNS7_8EqualityENS7_3MaxENS0_19lookback_scan_stateINS_5tupleIJsbEEELb0ELb1EEEsEEvT2_T3_T4_T5_T6_T7_T8_mmmPKNSH_IJT9_bEEE,comdat
	.protected	_ZN7rocprim6detail25device_scan_by_key_kernelILNS0_25lookback_scan_determinismE0ELb1ENS0_26wrapped_scan_by_key_configINS_14default_configEisEEPiN6hipcub22TransformInputIteratorIsNS7_6CastOpIsEEPslEEPfsNS7_8EqualityENS7_3MaxENS0_19lookback_scan_stateINS_5tupleIJsbEEELb0ELb1EEEsEEvT2_T3_T4_T5_T6_T7_T8_mmmPKNSH_IJT9_bEEE ; -- Begin function _ZN7rocprim6detail25device_scan_by_key_kernelILNS0_25lookback_scan_determinismE0ELb1ENS0_26wrapped_scan_by_key_configINS_14default_configEisEEPiN6hipcub22TransformInputIteratorIsNS7_6CastOpIsEEPslEEPfsNS7_8EqualityENS7_3MaxENS0_19lookback_scan_stateINS_5tupleIJsbEEELb0ELb1EEEsEEvT2_T3_T4_T5_T6_T7_T8_mmmPKNSH_IJT9_bEEE
	.globl	_ZN7rocprim6detail25device_scan_by_key_kernelILNS0_25lookback_scan_determinismE0ELb1ENS0_26wrapped_scan_by_key_configINS_14default_configEisEEPiN6hipcub22TransformInputIteratorIsNS7_6CastOpIsEEPslEEPfsNS7_8EqualityENS7_3MaxENS0_19lookback_scan_stateINS_5tupleIJsbEEELb0ELb1EEEsEEvT2_T3_T4_T5_T6_T7_T8_mmmPKNSH_IJT9_bEEE
	.p2align	8
	.type	_ZN7rocprim6detail25device_scan_by_key_kernelILNS0_25lookback_scan_determinismE0ELb1ENS0_26wrapped_scan_by_key_configINS_14default_configEisEEPiN6hipcub22TransformInputIteratorIsNS7_6CastOpIsEEPslEEPfsNS7_8EqualityENS7_3MaxENS0_19lookback_scan_stateINS_5tupleIJsbEEELb0ELb1EEEsEEvT2_T3_T4_T5_T6_T7_T8_mmmPKNSH_IJT9_bEEE,@function
_ZN7rocprim6detail25device_scan_by_key_kernelILNS0_25lookback_scan_determinismE0ELb1ENS0_26wrapped_scan_by_key_configINS_14default_configEisEEPiN6hipcub22TransformInputIteratorIsNS7_6CastOpIsEEPslEEPfsNS7_8EqualityENS7_3MaxENS0_19lookback_scan_stateINS_5tupleIJsbEEELb0ELb1EEEsEEvT2_T3_T4_T5_T6_T7_T8_mmmPKNSH_IJT9_bEEE: ; @_ZN7rocprim6detail25device_scan_by_key_kernelILNS0_25lookback_scan_determinismE0ELb1ENS0_26wrapped_scan_by_key_configINS_14default_configEisEEPiN6hipcub22TransformInputIteratorIsNS7_6CastOpIsEEPslEEPfsNS7_8EqualityENS7_3MaxENS0_19lookback_scan_stateINS_5tupleIJsbEEELb0ELb1EEEsEEvT2_T3_T4_T5_T6_T7_T8_mmmPKNSH_IJT9_bEEE
; %bb.0:
	s_load_dwordx4 s[4:7], s[0:1], 0x0
	s_load_dword s76, s[0:1], 0x20
	s_load_dwordx8 s[56:63], s[0:1], 0x28
	s_load_dwordx2 s[66:67], s[0:1], 0x48
	s_mul_i32 s8, s2, 0x1800
	s_mov_b32 s9, 0
	s_lshl_b64 s[64:65], s[8:9], 2
	s_waitcnt lgkmcnt(0)
	s_add_u32 s70, s4, s64
	s_addc_u32 s71, s5, s65
	s_lshl_b64 s[4:5], s[8:9], 1
	s_add_u32 s68, s6, s4
	s_addc_u32 s69, s7, s5
	s_add_u32 s4, s2, s60
	s_addc_u32 s5, 0, s61
	s_add_u32 s6, s62, -1
	s_addc_u32 s7, s63, -1
	v_mov_b64_e32 v[2:3], s[6:7]
	v_cmp_ge_u64_e64 s[54:55], s[4:5], v[2:3]
	s_mov_b64 s[20:21], -1
	s_and_b64 vcc, exec, s[54:55]
	s_mul_i32 s33, s6, 0xffffe800
	v_lshlrev_b32_e32 v50, 2, v0
	s_cbranch_vccz .LBB109_126
; %bb.1:
	s_load_dword s59, s[70:71], 0x0
	s_add_i32 s3, s33, s58
	v_mov_b32_e32 v51, 0
	v_lshl_add_u64 v[2:3], s[70:71], 0, v[50:51]
	v_cmp_gt_u32_e64 s[4:5], s3, v0
	s_waitcnt lgkmcnt(0)
	v_mov_b32_e32 v1, s59
	s_and_saveexec_b64 s[6:7], s[4:5]
	s_cbranch_execz .LBB109_3
; %bb.2:
	global_load_dword v1, v[2:3], off
.LBB109_3:
	s_or_b64 exec, exec, s[6:7]
	v_or_b32_e32 v4, 0x100, v0
	v_cmp_gt_u32_e64 s[6:7], s3, v4
	v_mov_b32_e32 v4, s59
	s_and_saveexec_b64 s[8:9], s[6:7]
	s_cbranch_execz .LBB109_5
; %bb.4:
	global_load_dword v4, v[2:3], off offset:1024
.LBB109_5:
	s_or_b64 exec, exec, s[8:9]
	v_or_b32_e32 v5, 0x200, v0
	v_cmp_gt_u32_e64 s[8:9], s3, v5
	v_mov_b32_e32 v5, s59
	s_and_saveexec_b64 s[10:11], s[8:9]
	s_cbranch_execz .LBB109_7
; %bb.6:
	global_load_dword v5, v[2:3], off offset:2048
.LBB109_7:
	;; [unrolled: 9-line block ×3, first 2 shown]
	s_or_b64 exec, exec, s[12:13]
	v_or_b32_e32 v7, 0x400, v0
	v_cmp_gt_u32_e64 s[12:13], s3, v7
	v_mov_b32_e32 v7, s59
	s_and_saveexec_b64 s[14:15], s[12:13]
	s_cbranch_execz .LBB109_11
; %bb.10:
	v_add_co_u32_e32 v8, vcc, 0x1000, v2
	s_nop 1
	v_addc_co_u32_e32 v9, vcc, 0, v3, vcc
	global_load_dword v7, v[8:9], off
.LBB109_11:
	s_or_b64 exec, exec, s[14:15]
	v_or_b32_e32 v8, 0x500, v0
	v_cmp_gt_u32_e64 s[14:15], s3, v8
	v_mov_b32_e32 v8, s59
	s_and_saveexec_b64 s[16:17], s[14:15]
	s_cbranch_execz .LBB109_13
; %bb.12:
	v_add_co_u32_e32 v8, vcc, 0x1000, v2
	s_nop 1
	v_addc_co_u32_e32 v9, vcc, 0, v3, vcc
	global_load_dword v8, v[8:9], off offset:1024
.LBB109_13:
	s_or_b64 exec, exec, s[16:17]
	v_or_b32_e32 v9, 0x600, v0
	v_cmp_gt_u32_e64 s[16:17], s3, v9
	v_mov_b32_e32 v9, s59
	s_and_saveexec_b64 s[18:19], s[16:17]
	s_cbranch_execz .LBB109_15
; %bb.14:
	v_add_co_u32_e32 v10, vcc, 0x1000, v2
	s_nop 1
	v_addc_co_u32_e32 v11, vcc, 0, v3, vcc
	global_load_dword v9, v[10:11], off offset:2048
.LBB109_15:
	s_or_b64 exec, exec, s[18:19]
	v_or_b32_e32 v10, 0x700, v0
	v_cmp_gt_u32_e64 s[18:19], s3, v10
	v_mov_b32_e32 v10, s59
	s_and_saveexec_b64 s[20:21], s[18:19]
	s_cbranch_execz .LBB109_17
; %bb.16:
	v_add_co_u32_e32 v10, vcc, 0x1000, v2
	s_nop 1
	v_addc_co_u32_e32 v11, vcc, 0, v3, vcc
	global_load_dword v10, v[10:11], off offset:3072
.LBB109_17:
	s_or_b64 exec, exec, s[20:21]
	v_or_b32_e32 v11, 0x800, v0
	v_cmp_gt_u32_e64 s[20:21], s3, v11
	v_mov_b32_e32 v11, s59
	s_and_saveexec_b64 s[22:23], s[20:21]
	s_cbranch_execz .LBB109_19
; %bb.18:
	v_add_co_u32_e32 v12, vcc, 0x2000, v2
	s_nop 1
	v_addc_co_u32_e32 v13, vcc, 0, v3, vcc
	global_load_dword v11, v[12:13], off
.LBB109_19:
	s_or_b64 exec, exec, s[22:23]
	v_or_b32_e32 v12, 0x900, v0
	v_cmp_gt_u32_e64 s[22:23], s3, v12
	v_mov_b32_e32 v12, s59
	s_and_saveexec_b64 s[24:25], s[22:23]
	s_cbranch_execz .LBB109_21
; %bb.20:
	v_add_co_u32_e32 v12, vcc, 0x2000, v2
	s_nop 1
	v_addc_co_u32_e32 v13, vcc, 0, v3, vcc
	global_load_dword v12, v[12:13], off offset:1024
.LBB109_21:
	s_or_b64 exec, exec, s[24:25]
	v_or_b32_e32 v13, 0xa00, v0
	v_cmp_gt_u32_e64 s[24:25], s3, v13
	v_mov_b32_e32 v13, s59
	s_and_saveexec_b64 s[26:27], s[24:25]
	s_cbranch_execz .LBB109_23
; %bb.22:
	v_add_co_u32_e32 v14, vcc, 0x2000, v2
	s_nop 1
	v_addc_co_u32_e32 v15, vcc, 0, v3, vcc
	global_load_dword v13, v[14:15], off offset:2048
.LBB109_23:
	s_or_b64 exec, exec, s[26:27]
	v_or_b32_e32 v14, 0xb00, v0
	v_cmp_gt_u32_e64 s[26:27], s3, v14
	v_mov_b32_e32 v14, s59
	s_and_saveexec_b64 s[28:29], s[26:27]
	s_cbranch_execz .LBB109_25
; %bb.24:
	v_add_co_u32_e32 v14, vcc, 0x2000, v2
	s_nop 1
	v_addc_co_u32_e32 v15, vcc, 0, v3, vcc
	global_load_dword v14, v[14:15], off offset:3072
.LBB109_25:
	;; [unrolled: 48-line block ×5, first 2 shown]
	s_or_b64 exec, exec, s[60:61]
	s_movk_i32 s59, 0x5c
	s_waitcnt vmcnt(0)
	ds_write2st64_b32 v50, v1, v4 offset1:4
	ds_write2st64_b32 v50, v5, v6 offset0:8 offset1:12
	ds_write2st64_b32 v50, v7, v8 offset0:16 offset1:20
	;; [unrolled: 1-line block ×11, first 2 shown]
	v_mad_u32_u24 v1, v0, s59, v50
	s_waitcnt lgkmcnt(0)
	s_barrier
	ds_read_b128 v[42:45], v1
	ds_read_b128 v[38:41], v1 offset:16
	ds_read_b128 v[34:37], v1 offset:32
	;; [unrolled: 1-line block ×5, first 2 shown]
	s_load_dword s59, s[70:71], 0x0
	s_movk_i32 s60, 0xffa4
	v_mad_i32_i24 v1, v0, s60, v1
	s_movk_i32 s60, 0xff
	v_cmp_ne_u32_e32 vcc, s60, v0
	s_waitcnt lgkmcnt(0)
	v_mov_b32_e32 v53, s59
	ds_write_b32 v1, v42 offset:25600
	s_waitcnt lgkmcnt(0)
	s_barrier
	s_and_saveexec_b64 s[60:61], vcc
	s_cbranch_execz .LBB109_51
; %bb.50:
	ds_read_b32 v53, v50 offset:25604
.LBB109_51:
	s_or_b64 exec, exec, s[60:61]
	v_lshlrev_b32_e32 v2, 1, v0
	v_mov_b32_e32 v3, 0
	v_lshl_add_u64 v[4:5], s[68:69], 0, v[2:3]
	s_waitcnt lgkmcnt(0)
	s_barrier
	s_waitcnt lgkmcnt(0)
                                        ; implicit-def: $vgpr3
	s_and_saveexec_b64 s[60:61], s[4:5]
	s_cbranch_execz .LBB109_201
; %bb.52:
	global_load_ushort v3, v[4:5], off
	s_or_b64 exec, exec, s[60:61]
                                        ; implicit-def: $vgpr6
	s_and_saveexec_b64 s[4:5], s[6:7]
	s_cbranch_execnz .LBB109_202
.LBB109_53:
	s_or_b64 exec, exec, s[4:5]
                                        ; implicit-def: $vgpr7
	s_and_saveexec_b64 s[4:5], s[8:9]
	s_cbranch_execz .LBB109_203
.LBB109_54:
	global_load_ushort v7, v[4:5], off offset:1024
	s_or_b64 exec, exec, s[4:5]
                                        ; implicit-def: $vgpr8
	s_and_saveexec_b64 s[4:5], s[10:11]
	s_cbranch_execnz .LBB109_204
.LBB109_55:
	s_or_b64 exec, exec, s[4:5]
                                        ; implicit-def: $vgpr9
	s_and_saveexec_b64 s[4:5], s[12:13]
	s_cbranch_execz .LBB109_205
.LBB109_56:
	global_load_ushort v9, v[4:5], off offset:2048
	s_or_b64 exec, exec, s[4:5]
                                        ; implicit-def: $vgpr10
	s_and_saveexec_b64 s[4:5], s[14:15]
	s_cbranch_execnz .LBB109_206
.LBB109_57:
	s_or_b64 exec, exec, s[4:5]
                                        ; implicit-def: $vgpr11
	s_and_saveexec_b64 s[4:5], s[16:17]
	s_cbranch_execz .LBB109_207
.LBB109_58:
	global_load_ushort v11, v[4:5], off offset:3072
	s_or_b64 exec, exec, s[4:5]
                                        ; implicit-def: $vgpr12
	s_and_saveexec_b64 s[4:5], s[18:19]
	s_cbranch_execnz .LBB109_208
.LBB109_59:
	s_or_b64 exec, exec, s[4:5]
                                        ; implicit-def: $vgpr13
	s_and_saveexec_b64 s[4:5], s[20:21]
	s_cbranch_execz .LBB109_209
.LBB109_60:
	v_add_co_u32_e32 v14, vcc, 0x1000, v4
	s_nop 1
	v_addc_co_u32_e32 v15, vcc, 0, v5, vcc
	global_load_ushort v13, v[14:15], off
	s_or_b64 exec, exec, s[4:5]
                                        ; implicit-def: $vgpr14
	s_and_saveexec_b64 s[4:5], s[22:23]
	s_cbranch_execnz .LBB109_210
.LBB109_61:
	s_or_b64 exec, exec, s[4:5]
                                        ; implicit-def: $vgpr15
	s_and_saveexec_b64 s[4:5], s[24:25]
	s_cbranch_execz .LBB109_211
.LBB109_62:
	v_add_co_u32_e32 v16, vcc, 0x1000, v4
	s_nop 1
	v_addc_co_u32_e32 v17, vcc, 0, v5, vcc
	global_load_ushort v15, v[16:17], off offset:1024
	s_or_b64 exec, exec, s[4:5]
                                        ; implicit-def: $vgpr16
	s_and_saveexec_b64 s[4:5], s[26:27]
	s_cbranch_execnz .LBB109_212
.LBB109_63:
	s_or_b64 exec, exec, s[4:5]
                                        ; implicit-def: $vgpr17
	s_and_saveexec_b64 s[4:5], s[28:29]
	s_cbranch_execz .LBB109_213
.LBB109_64:
	v_add_co_u32_e32 v18, vcc, 0x1000, v4
	s_nop 1
	v_addc_co_u32_e32 v19, vcc, 0, v5, vcc
	global_load_ushort v17, v[18:19], off offset:2048
	s_or_b64 exec, exec, s[4:5]
                                        ; implicit-def: $vgpr18
	s_and_saveexec_b64 s[4:5], s[30:31]
	s_cbranch_execnz .LBB109_214
.LBB109_65:
	s_or_b64 exec, exec, s[4:5]
                                        ; implicit-def: $vgpr19
	s_and_saveexec_b64 s[4:5], s[34:35]
	s_cbranch_execz .LBB109_215
.LBB109_66:
	v_add_co_u32_e32 v20, vcc, 0x1000, v4
	s_nop 1
	v_addc_co_u32_e32 v21, vcc, 0, v5, vcc
	global_load_ushort v19, v[20:21], off offset:3072
	s_or_b64 exec, exec, s[4:5]
                                        ; implicit-def: $vgpr20
	s_and_saveexec_b64 s[4:5], s[36:37]
	s_cbranch_execnz .LBB109_216
.LBB109_67:
	s_or_b64 exec, exec, s[4:5]
                                        ; implicit-def: $vgpr21
	s_and_saveexec_b64 s[4:5], s[38:39]
	s_cbranch_execz .LBB109_217
.LBB109_68:
	v_add_co_u32_e32 v46, vcc, 0x2000, v4
	s_nop 1
	v_addc_co_u32_e32 v47, vcc, 0, v5, vcc
	global_load_ushort v21, v[46:47], off
	s_or_b64 exec, exec, s[4:5]
                                        ; implicit-def: $vgpr46
	s_and_saveexec_b64 s[4:5], s[40:41]
	s_cbranch_execnz .LBB109_218
.LBB109_69:
	s_or_b64 exec, exec, s[4:5]
                                        ; implicit-def: $vgpr47
	s_and_saveexec_b64 s[4:5], s[42:43]
	s_cbranch_execz .LBB109_219
.LBB109_70:
	v_add_co_u32_e32 v48, vcc, 0x2000, v4
	s_nop 1
	v_addc_co_u32_e32 v49, vcc, 0, v5, vcc
	global_load_ushort v47, v[48:49], off offset:1024
	s_or_b64 exec, exec, s[4:5]
                                        ; implicit-def: $vgpr49
	s_and_saveexec_b64 s[4:5], s[44:45]
	s_cbranch_execnz .LBB109_220
.LBB109_71:
	s_or_b64 exec, exec, s[4:5]
                                        ; implicit-def: $vgpr51
	s_and_saveexec_b64 s[4:5], s[46:47]
	s_cbranch_execz .LBB109_221
.LBB109_72:
	v_add_co_u32_e32 v54, vcc, 0x2000, v4
	s_nop 1
	v_addc_co_u32_e32 v55, vcc, 0, v5, vcc
	global_load_ushort v51, v[54:55], off offset:2048
	s_or_b64 exec, exec, s[4:5]
                                        ; implicit-def: $vgpr52
	s_and_saveexec_b64 s[4:5], s[48:49]
	s_cbranch_execnz .LBB109_222
.LBB109_73:
	s_or_b64 exec, exec, s[4:5]
                                        ; implicit-def: $vgpr54
	s_and_saveexec_b64 s[4:5], s[50:51]
	s_cbranch_execz .LBB109_75
.LBB109_74:
	v_add_co_u32_e32 v54, vcc, 0x2000, v4
	s_nop 1
	v_addc_co_u32_e32 v55, vcc, 0, v5, vcc
	global_load_ushort v54, v[54:55], off offset:3072
.LBB109_75:
	s_or_b64 exec, exec, s[4:5]
	v_mul_u32_u24_e32 v55, 24, v0
                                        ; implicit-def: $vgpr56
	s_and_saveexec_b64 s[4:5], s[52:53]
	s_cbranch_execz .LBB109_77
; %bb.76:
	v_add_co_u32_e32 v4, vcc, 0x2000, v4
	s_nop 1
	v_addc_co_u32_e32 v5, vcc, 0, v5, vcc
	global_load_ushort v56, v[4:5], off offset:3584
.LBB109_77:
	s_or_b64 exec, exec, s[4:5]
	s_mov_b32 s4, 0
	v_sub_u32_e32 v48, v1, v2
	s_mov_b32 s5, s4
	s_waitcnt vmcnt(0)
	ds_write_b16 v48, v3
	ds_write_b16 v48, v6 offset:512
	ds_write_b16 v48, v7 offset:1024
	;; [unrolled: 1-line block ×23, first 2 shown]
	s_mov_b32 s6, s4
	s_mov_b32 s7, s4
	;; [unrolled: 1-line block ×6, first 2 shown]
	v_mov_b64_e32 v[2:3], s[4:5]
	s_mov_b32 s14, s4
	s_mov_b32 s15, s4
	v_mov_b64_e32 v[8:9], s[10:11]
	s_mov_b32 s12, s4
	s_mov_b32 s13, s4
	v_mov_b64_e32 v[20:21], s[14:15]
	v_mov_b64_e32 v[4:5], s[6:7]
	;; [unrolled: 1-line block ×4, first 2 shown]
	v_cmp_gt_u32_e32 vcc, s3, v55
	s_mov_b64 s[20:21], 0
	v_mov_b64_e32 v[18:19], s[12:13]
	v_mov_b32_e32 v1, 0
	s_mov_b64 s[10:11], 0
	v_mov_b64_e32 v[14:15], v[6:7]
	v_mov_b64_e32 v[12:13], v[4:5]
	v_mov_b64_e32 v[10:11], v[2:3]
	v_mov_b32_e32 v51, 0
	v_mov_b32_e32 v52, 0
	s_waitcnt lgkmcnt(0)
	s_barrier
	s_waitcnt lgkmcnt(0)
                                        ; implicit-def: $sgpr8_sgpr9
                                        ; implicit-def: $vgpr54
	s_and_saveexec_b64 s[6:7], vcc
	s_cbranch_execz .LBB109_125
; %bb.78:
	v_mad_u32_u24 v1, v0, 46, v48
	ds_read_u16 v1, v1
	v_mov_b32_e32 v3, s76
	v_cmp_eq_u32_e32 vcc, v42, v43
	s_mov_b32 s8, 0
	v_or_b32_e32 v2, 1, v55
	s_waitcnt lgkmcnt(0)
	v_cndmask_b32_e32 v1, v3, v1, vcc
	v_cmp_ne_u32_e32 vcc, v42, v43
	v_and_b32_e32 v1, 0xffff, v1
	s_mov_b32 s9, s8
	v_cndmask_b32_e64 v3, 0, 1, vcc
	v_lshl_or_b32 v1, v3, 16, v1
	v_cmp_gt_u32_e32 vcc, s3, v2
	s_mov_b32 s10, s8
	s_mov_b32 s11, s8
	;; [unrolled: 1-line block ×6, first 2 shown]
	v_mov_b64_e32 v[2:3], s[8:9]
	s_mov_b32 s18, s8
	s_mov_b32 s19, s8
	v_mov_b64_e32 v[8:9], s[14:15]
	s_mov_b32 s16, s8
	s_mov_b32 s17, s8
	v_mov_b64_e32 v[20:21], s[18:19]
	v_mov_b64_e32 v[4:5], s[10:11]
	v_mov_b64_e32 v[6:7], s[12:13]
	v_mov_b64_e32 v[16:17], v[8:9]
	s_mov_b64 s[24:25], 0
	v_mov_b64_e32 v[18:19], s[16:17]
	v_mov_b32_e32 v51, 0
	v_mov_b64_e32 v[14:15], v[6:7]
	v_mov_b64_e32 v[12:13], v[4:5]
	;; [unrolled: 1-line block ×3, first 2 shown]
	v_mov_b32_e32 v52, 0
                                        ; implicit-def: $sgpr26_sgpr27
                                        ; implicit-def: $vgpr54
	s_and_saveexec_b64 s[22:23], vcc
	s_cbranch_execz .LBB109_124
; %bb.79:
	v_mul_u32_u24_e32 v2, 46, v0
	v_add_u32_e32 v42, v48, v2
	ds_read_b128 v[46:49], v42 offset:2
	v_mov_b32_e32 v3, s76
	v_cmp_eq_u32_e32 vcc, v43, v44
	v_or_b32_e32 v2, 2, v55
	v_mov_b64_e32 v[20:21], s[18:19]
	s_waitcnt lgkmcnt(0)
	v_cndmask_b32_e32 v3, v3, v46, vcc
	v_cmp_ne_u32_e32 vcc, v43, v44
	v_and_b32_e32 v3, 0xffff, v3
	v_mov_b64_e32 v[18:19], s[16:17]
	v_cndmask_b32_e64 v4, 0, 1, vcc
	v_lshl_or_b32 v51, v4, 16, v3
	v_cmp_gt_u32_e32 vcc, s3, v2
	v_mov_b64_e32 v[2:3], s[8:9]
	v_mov_b64_e32 v[8:9], s[14:15]
	;; [unrolled: 1-line block ×5, first 2 shown]
	v_mov_b32_e32 v52, 0
	v_mov_b64_e32 v[14:15], v[6:7]
	v_mov_b64_e32 v[12:13], v[4:5]
	;; [unrolled: 1-line block ×3, first 2 shown]
                                        ; implicit-def: $sgpr8_sgpr9
                                        ; implicit-def: $vgpr54
	s_and_saveexec_b64 s[16:17], vcc
	s_cbranch_execz .LBB109_123
; %bb.80:
	v_lshrrev_b32_e32 v2, 16, v46
	v_mov_b32_e32 v4, s76
	v_cmp_eq_u32_e32 vcc, v44, v45
	s_mov_b32 s8, 0
	v_or_b32_e32 v3, 3, v55
	v_cndmask_b32_e32 v2, v4, v2, vcc
	v_cmp_ne_u32_e32 vcc, v44, v45
	v_and_b32_e32 v2, 0xffff, v2
	s_mov_b32 s9, s8
	v_cndmask_b32_e64 v4, 0, 1, vcc
	v_lshl_or_b32 v21, v4, 16, v2
	v_cmp_gt_u32_e32 vcc, s3, v3
	s_mov_b32 s10, s8
	s_mov_b32 s11, s8
	;; [unrolled: 1-line block ×6, first 2 shown]
	v_mov_b64_e32 v[2:3], s[8:9]
	v_mov_b64_e32 v[8:9], s[14:15]
	v_mov_b32_e32 v18, 0
	v_mov_b64_e32 v[4:5], s[10:11]
	v_mov_b64_e32 v[6:7], s[12:13]
	;; [unrolled: 1-line block ×3, first 2 shown]
	v_mov_b32_e32 v19, v18
	v_mov_b32_e32 v20, v18
	v_mov_b64_e32 v[14:15], v[6:7]
	v_mov_b64_e32 v[12:13], v[4:5]
	v_mov_b64_e32 v[10:11], v[2:3]
	v_mov_b32_e32 v52, v18
                                        ; implicit-def: $sgpr28_sgpr29
                                        ; implicit-def: $vgpr54
	s_and_saveexec_b64 s[18:19], vcc
	s_cbranch_execz .LBB109_122
; %bb.81:
	v_mov_b32_e32 v3, s76
	v_cmp_eq_u32_e32 vcc, v45, v38
	v_or_b32_e32 v2, 4, v55
	v_mov_b32_e32 v18, 0
	v_cndmask_b32_e32 v3, v3, v47, vcc
	v_cmp_ne_u32_e32 vcc, v45, v38
	v_and_b32_e32 v3, 0xffff, v3
	v_mov_b32_e32 v19, v18
	v_cndmask_b32_e64 v4, 0, 1, vcc
	v_lshl_or_b32 v20, v4, 16, v3
	v_cmp_gt_u32_e32 vcc, s3, v2
	v_mov_b64_e32 v[2:3], s[8:9]
	v_mov_b64_e32 v[8:9], s[14:15]
	;; [unrolled: 1-line block ×5, first 2 shown]
	s_mov_b64 s[26:27], 0
	v_mov_b64_e32 v[14:15], v[6:7]
	v_mov_b64_e32 v[12:13], v[4:5]
	;; [unrolled: 1-line block ×3, first 2 shown]
	v_mov_b32_e32 v52, v18
                                        ; implicit-def: $sgpr8_sgpr9
                                        ; implicit-def: $vgpr54
	s_and_saveexec_b64 s[24:25], vcc
	s_cbranch_execz .LBB109_121
; %bb.82:
	v_lshrrev_b32_e32 v2, 16, v47
	v_mov_b32_e32 v4, s76
	v_cmp_eq_u32_e32 vcc, v38, v39
	s_mov_b32 s8, 0
	v_or_b32_e32 v3, 5, v55
	v_cndmask_b32_e32 v2, v4, v2, vcc
	v_cmp_ne_u32_e32 vcc, v38, v39
	v_and_b32_e32 v2, 0xffff, v2
	s_mov_b32 s9, s8
	v_cndmask_b32_e64 v4, 0, 1, vcc
	v_lshl_or_b32 v19, v4, 16, v2
	v_cmp_gt_u32_e32 vcc, s3, v3
	s_mov_b32 s10, s8
	s_mov_b32 s11, s8
	;; [unrolled: 1-line block ×6, first 2 shown]
	v_mov_b64_e32 v[2:3], s[8:9]
	v_mov_b64_e32 v[8:9], s[14:15]
	;; [unrolled: 1-line block ×5, first 2 shown]
	v_mov_b32_e32 v18, s8
	s_mov_b64 s[28:29], 0
	v_mov_b32_e32 v52, 0
	v_mov_b64_e32 v[14:15], v[6:7]
	v_mov_b64_e32 v[12:13], v[4:5]
	;; [unrolled: 1-line block ×3, first 2 shown]
                                        ; implicit-def: $sgpr34_sgpr35
                                        ; implicit-def: $vgpr54
	s_and_saveexec_b64 s[26:27], vcc
	s_cbranch_execz .LBB109_120
; %bb.83:
	v_mov_b32_e32 v3, s76
	v_cmp_eq_u32_e32 vcc, v39, v40
	v_or_b32_e32 v2, 6, v55
	s_mov_b64 s[30:31], 0
	v_cndmask_b32_e32 v3, v3, v48, vcc
	v_cmp_ne_u32_e32 vcc, v39, v40
	v_and_b32_e32 v3, 0xffff, v3
	v_mov_b32_e32 v52, 0
	v_cndmask_b32_e64 v4, 0, 1, vcc
	v_lshl_or_b32 v18, v4, 16, v3
	v_cmp_gt_u32_e32 vcc, s3, v2
	v_mov_b64_e32 v[2:3], s[8:9]
	v_mov_b64_e32 v[8:9], s[14:15]
	;; [unrolled: 1-line block ×8, first 2 shown]
                                        ; implicit-def: $sgpr8_sgpr9
                                        ; implicit-def: $vgpr54
	s_and_saveexec_b64 s[28:29], vcc
	s_cbranch_execz .LBB109_119
; %bb.84:
	v_lshrrev_b32_e32 v2, 16, v48
	v_mov_b32_e32 v4, s76
	v_cmp_eq_u32_e32 vcc, v40, v41
	s_mov_b32 s8, 0
	v_or_b32_e32 v3, 7, v55
	v_cndmask_b32_e32 v2, v4, v2, vcc
	v_cmp_ne_u32_e32 vcc, v40, v41
	v_and_b32_e32 v2, 0xffff, v2
	s_mov_b32 s9, s8
	v_cndmask_b32_e64 v4, 0, 1, vcc
	v_lshl_or_b32 v52, v4, 16, v2
	v_cmp_gt_u32_e32 vcc, s3, v3
	s_mov_b32 s10, s8
	s_mov_b32 s11, s8
	;; [unrolled: 1-line block ×6, first 2 shown]
	v_mov_b64_e32 v[2:3], s[8:9]
	v_mov_b64_e32 v[8:9], s[14:15]
	;; [unrolled: 1-line block ×5, first 2 shown]
	s_mov_b64 s[34:35], 0
	v_mov_b64_e32 v[14:15], v[6:7]
	v_mov_b64_e32 v[12:13], v[4:5]
	;; [unrolled: 1-line block ×3, first 2 shown]
                                        ; implicit-def: $sgpr38_sgpr39
                                        ; implicit-def: $vgpr54
	s_and_saveexec_b64 s[30:31], vcc
	s_cbranch_execz .LBB109_118
; %bb.85:
	v_mov_b32_e32 v3, s76
	v_cmp_eq_u32_e32 vcc, v41, v34
	v_add_u32_e32 v2, 8, v55
	v_mov_b64_e32 v[16:17], s[14:15]
	v_cndmask_b32_e32 v3, v3, v49, vcc
	v_cmp_ne_u32_e32 vcc, v41, v34
	v_and_b32_e32 v3, 0xffff, v3
	s_mov_b64 s[36:37], 0
	v_cndmask_b32_e64 v4, 0, 1, vcc
	v_cmp_gt_u32_e32 vcc, s3, v2
	v_mov_b32_e32 v2, 0
	v_lshl_or_b32 v9, v4, 16, v3
	v_mov_b32_e32 v3, v2
	v_mov_b32_e32 v4, v2
	v_mov_b32_e32 v5, v2
	v_mov_b32_e32 v6, v2
	v_mov_b32_e32 v7, v2
	v_mov_b32_e32 v8, v2
	v_mov_b64_e32 v[14:15], s[12:13]
	v_mov_b64_e32 v[12:13], s[10:11]
	v_mov_b64_e32 v[10:11], s[8:9]
                                        ; implicit-def: $sgpr8_sgpr9
                                        ; implicit-def: $vgpr54
	s_and_saveexec_b64 s[34:35], vcc
	s_cbranch_execz .LBB109_117
; %bb.86:
	v_lshrrev_b32_e32 v3, 16, v49
	v_mov_b32_e32 v5, s76
	v_cmp_eq_u32_e32 vcc, v34, v35
	s_mov_b32 s8, 0
	s_mov_b32 s14, s8
	v_cndmask_b32_e32 v3, v5, v3, vcc
	v_cmp_ne_u32_e32 vcc, v34, v35
	s_mov_b32 s15, s8
	v_add_u32_e32 v4, 9, v55
	v_and_b32_e32 v3, 0xffff, v3
	v_cndmask_b32_e64 v5, 0, 1, vcc
	s_mov_b32 s9, s8
	s_mov_b32 s10, s8
	;; [unrolled: 1-line block ×5, first 2 shown]
	v_mov_b64_e32 v[16:17], s[14:15]
	v_lshl_or_b32 v8, v5, 16, v3
	v_cmp_gt_u32_e32 vcc, s3, v4
	v_mov_b32_e32 v3, v2
	v_mov_b32_e32 v4, v2
	;; [unrolled: 1-line block ×5, first 2 shown]
	s_mov_b64 s[38:39], 0
	v_mov_b64_e32 v[14:15], s[12:13]
	v_mov_b64_e32 v[12:13], s[10:11]
	;; [unrolled: 1-line block ×3, first 2 shown]
                                        ; implicit-def: $sgpr42_sgpr43
                                        ; implicit-def: $vgpr54
	s_and_saveexec_b64 s[36:37], vcc
	s_cbranch_execz .LBB109_116
; %bb.87:
	ds_read_b128 v[38:41], v42 offset:18
	v_mov_b32_e32 v3, s76
	v_cmp_eq_u32_e32 vcc, v35, v36
	v_add_u32_e32 v2, 10, v55
	v_mov_b64_e32 v[16:17], s[14:15]
	s_waitcnt lgkmcnt(0)
	v_cndmask_b32_e32 v3, v3, v38, vcc
	v_cmp_ne_u32_e32 vcc, v35, v36
	v_and_b32_e32 v3, 0xffff, v3
	s_mov_b64 s[40:41], 0
	v_cndmask_b32_e64 v4, 0, 1, vcc
	v_cmp_gt_u32_e32 vcc, s3, v2
	v_mov_b32_e32 v2, 0
	v_lshl_or_b32 v7, v4, 16, v3
	v_mov_b32_e32 v3, v2
	v_mov_b32_e32 v4, v2
	;; [unrolled: 1-line block ×4, first 2 shown]
	v_mov_b64_e32 v[14:15], s[12:13]
	v_mov_b64_e32 v[12:13], s[10:11]
	;; [unrolled: 1-line block ×3, first 2 shown]
                                        ; implicit-def: $sgpr8_sgpr9
                                        ; implicit-def: $vgpr54
	s_and_saveexec_b64 s[38:39], vcc
	s_cbranch_execz .LBB109_115
; %bb.88:
	v_lshrrev_b32_e32 v3, 16, v38
	v_mov_b32_e32 v5, s76
	v_cmp_eq_u32_e32 vcc, v36, v37
	s_mov_b32 s8, 0
	s_mov_b32 s14, s8
	v_cndmask_b32_e32 v3, v5, v3, vcc
	v_cmp_ne_u32_e32 vcc, v36, v37
	s_mov_b32 s15, s8
	v_add_u32_e32 v4, 11, v55
	v_and_b32_e32 v3, 0xffff, v3
	v_cndmask_b32_e64 v5, 0, 1, vcc
	s_mov_b32 s9, s8
	s_mov_b32 s10, s8
	;; [unrolled: 1-line block ×5, first 2 shown]
	v_mov_b64_e32 v[16:17], s[14:15]
	v_lshl_or_b32 v6, v5, 16, v3
	v_cmp_gt_u32_e32 vcc, s3, v4
	v_mov_b32_e32 v3, v2
	v_mov_b32_e32 v4, v2
	;; [unrolled: 1-line block ×3, first 2 shown]
	s_mov_b64 s[42:43], 0
	v_mov_b64_e32 v[14:15], s[12:13]
	v_mov_b64_e32 v[12:13], s[10:11]
	;; [unrolled: 1-line block ×3, first 2 shown]
                                        ; implicit-def: $sgpr46_sgpr47
                                        ; implicit-def: $vgpr54
	s_and_saveexec_b64 s[40:41], vcc
	s_cbranch_execz .LBB109_114
; %bb.89:
	v_mov_b32_e32 v3, s76
	v_cmp_eq_u32_e32 vcc, v37, v30
	v_add_u32_e32 v2, 12, v55
	v_mov_b64_e32 v[16:17], s[14:15]
	v_cndmask_b32_e32 v3, v3, v39, vcc
	v_cmp_ne_u32_e32 vcc, v37, v30
	v_and_b32_e32 v3, 0xffff, v3
	s_mov_b64 s[44:45], 0
	v_cndmask_b32_e64 v4, 0, 1, vcc
	v_cmp_gt_u32_e32 vcc, s3, v2
	v_mov_b32_e32 v2, 0
	v_lshl_or_b32 v5, v4, 16, v3
	v_mov_b32_e32 v3, v2
	v_mov_b32_e32 v4, v2
	v_mov_b64_e32 v[14:15], s[12:13]
	v_mov_b64_e32 v[12:13], s[10:11]
	;; [unrolled: 1-line block ×3, first 2 shown]
                                        ; implicit-def: $sgpr8_sgpr9
                                        ; implicit-def: $vgpr54
	s_and_saveexec_b64 s[42:43], vcc
	s_cbranch_execz .LBB109_113
; %bb.90:
	v_lshrrev_b32_e32 v3, 16, v39
	v_mov_b32_e32 v4, s76
	v_cmp_eq_u32_e32 vcc, v30, v31
	s_mov_b32 s8, 0
	v_add_u32_e32 v10, 13, v55
	v_cndmask_b32_e32 v3, v4, v3, vcc
	v_cmp_ne_u32_e32 vcc, v30, v31
	s_mov_b32 s14, s8
	s_mov_b32 s15, s8
	v_and_b32_e32 v3, 0xffff, v3
	v_cndmask_b32_e64 v4, 0, 1, vcc
	v_cmp_gt_u32_e32 vcc, s3, v10
	s_mov_b32 s9, s8
	s_mov_b32 s10, s8
	;; [unrolled: 1-line block ×5, first 2 shown]
	v_mov_b64_e32 v[16:17], s[14:15]
	v_lshl_or_b32 v4, v4, 16, v3
	v_mov_b32_e32 v3, v2
	s_mov_b64 s[46:47], 0
	v_mov_b64_e32 v[14:15], s[12:13]
	v_mov_b64_e32 v[12:13], s[10:11]
	;; [unrolled: 1-line block ×3, first 2 shown]
                                        ; implicit-def: $sgpr48_sgpr49
                                        ; implicit-def: $vgpr54
	s_and_saveexec_b64 s[44:45], vcc
	s_cbranch_execz .LBB109_112
; %bb.91:
	v_mov_b32_e32 v3, s76
	v_cmp_eq_u32_e32 vcc, v31, v32
	v_add_u32_e32 v2, 14, v55
                                        ; implicit-def: $vgpr54
	s_nop 0
	v_cndmask_b32_e32 v3, v3, v40, vcc
	v_cmp_ne_u32_e32 vcc, v31, v32
	v_and_b32_e32 v3, 0xffff, v3
	s_nop 0
	v_cndmask_b32_e64 v10, 0, 1, vcc
	v_lshl_or_b32 v3, v10, 16, v3
	v_mov_b64_e32 v[16:17], s[14:15]
	v_cmp_gt_u32_e32 vcc, s3, v2
	v_mov_b32_e32 v2, s8
	v_mov_b64_e32 v[14:15], s[12:13]
	v_mov_b64_e32 v[12:13], s[10:11]
	;; [unrolled: 1-line block ×3, first 2 shown]
                                        ; implicit-def: $sgpr10_sgpr11
	s_and_saveexec_b64 s[8:9], vcc
	s_cbranch_execz .LBB109_111
; %bb.92:
	v_lshrrev_b32_e32 v2, 16, v40
	v_mov_b32_e32 v11, s76
	v_cmp_eq_u32_e32 vcc, v32, v33
	s_mov_b32 s80, 0
	v_add_u32_e32 v10, 15, v55
	v_cndmask_b32_e32 v2, v11, v2, vcc
	v_cmp_ne_u32_e32 vcc, v32, v33
	v_and_b32_e32 v2, 0xffff, v2
	s_mov_b32 s81, s80
	v_cndmask_b32_e64 v11, 0, 1, vcc
	v_lshl_or_b32 v2, v11, 16, v2
	v_cmp_gt_u32_e32 vcc, s3, v10
	s_mov_b32 s82, s80
	s_mov_b32 s83, s80
	;; [unrolled: 1-line block ×6, first 2 shown]
	v_mov_b64_e32 v[10:11], s[80:81]
	s_mov_b64 s[12:13], 0
	v_mov_b64_e32 v[12:13], s[82:83]
	v_mov_b64_e32 v[14:15], s[84:85]
	;; [unrolled: 1-line block ×3, first 2 shown]
                                        ; implicit-def: $sgpr46_sgpr47
                                        ; implicit-def: $vgpr54
	s_and_saveexec_b64 s[10:11], vcc
	s_cbranch_execz .LBB109_110
; %bb.93:
	v_mov_b32_e32 v10, s76
	v_cmp_eq_u32_e32 vcc, v33, v26
	v_add_u32_e32 v11, 16, v55
	s_mov_b64 s[14:15], 0
	v_cndmask_b32_e32 v10, v10, v41, vcc
	v_cmp_ne_u32_e32 vcc, v33, v26
	v_and_b32_e32 v10, 0xffff, v10
                                        ; implicit-def: $sgpr48_sgpr49
                                        ; implicit-def: $vgpr54
	s_nop 0
	v_cndmask_b32_e64 v12, 0, 1, vcc
	v_lshl_or_b32 v10, v12, 16, v10
	v_mov_b32_e32 v12, 0
	v_cmp_gt_u32_e32 vcc, s3, v11
	v_mov_b32_e32 v11, v12
	v_mov_b32_e32 v13, v12
	v_mov_b32_e32 v14, v12
	v_mov_b32_e32 v15, v12
	v_mov_b32_e32 v16, v12
	v_mov_b32_e32 v17, v12
	s_and_saveexec_b64 s[12:13], vcc
	s_cbranch_execz .LBB109_109
; %bb.94:
	v_lshrrev_b32_e32 v11, 16, v41
	v_mov_b32_e32 v14, s76
	v_cmp_eq_u32_e32 vcc, v26, v27
	v_add_u32_e32 v13, 17, v55
	v_mov_b32_e32 v15, v12
	v_cndmask_b32_e32 v11, v14, v11, vcc
	v_cmp_ne_u32_e32 vcc, v26, v27
	v_and_b32_e32 v11, 0xffff, v11
	v_mov_b32_e32 v16, v12
	v_cndmask_b32_e64 v14, 0, 1, vcc
	v_lshl_or_b32 v11, v14, 16, v11
	v_cmp_gt_u32_e32 vcc, s3, v13
	v_mov_b32_e32 v13, v12
	v_mov_b32_e32 v14, v12
	v_mov_b32_e32 v17, v12
	s_mov_b64 s[46:47], 0
                                        ; implicit-def: $sgpr50_sgpr51
                                        ; implicit-def: $vgpr54
	s_and_saveexec_b64 s[14:15], vcc
	s_cbranch_execz .LBB109_108
; %bb.95:
	ds_read_b96 v[30:32], v42 offset:34
	v_mov_b32_e32 v12, s76
	v_cmp_eq_u32_e32 vcc, v27, v28
	v_add_u32_e32 v13, 18, v55
	s_mov_b64 s[48:49], 0
	s_waitcnt lgkmcnt(0)
	v_cndmask_b32_e32 v12, v12, v30, vcc
	v_cmp_ne_u32_e32 vcc, v27, v28
	v_and_b32_e32 v12, 0xffff, v12
                                        ; implicit-def: $sgpr52_sgpr53
                                        ; implicit-def: $vgpr54
	s_nop 0
	v_cndmask_b32_e64 v14, 0, 1, vcc
	v_lshl_or_b32 v12, v14, 16, v12
	v_mov_b32_e32 v14, 0
	v_cmp_gt_u32_e32 vcc, s3, v13
	v_mov_b32_e32 v13, v14
	v_mov_b32_e32 v15, v14
	;; [unrolled: 1-line block ×4, first 2 shown]
	s_and_saveexec_b64 s[46:47], vcc
	s_cbranch_execz .LBB109_107
; %bb.96:
	v_lshrrev_b32_e32 v13, 16, v30
	v_mov_b32_e32 v16, s76
	v_cmp_eq_u32_e32 vcc, v28, v29
	v_add_u32_e32 v15, 19, v55
	v_mov_b32_e32 v17, v14
	v_cndmask_b32_e32 v13, v16, v13, vcc
	v_cmp_ne_u32_e32 vcc, v28, v29
	v_and_b32_e32 v13, 0xffff, v13
	s_mov_b64 s[50:51], 0
	v_cndmask_b32_e64 v16, 0, 1, vcc
	v_lshl_or_b32 v13, v16, 16, v13
	v_cmp_gt_u32_e32 vcc, s3, v15
	v_mov_b32_e32 v15, v14
	v_mov_b32_e32 v16, v14
                                        ; implicit-def: $sgpr60_sgpr61
                                        ; implicit-def: $vgpr54
	s_and_saveexec_b64 s[48:49], vcc
	s_cbranch_execz .LBB109_106
; %bb.97:
	v_mov_b32_e32 v14, s76
	v_cmp_eq_u32_e32 vcc, v29, v22
	v_add_u32_e32 v15, 20, v55
	s_mov_b64 s[52:53], 0
	v_cndmask_b32_e32 v14, v14, v31, vcc
	v_cmp_ne_u32_e32 vcc, v29, v22
	v_and_b32_e32 v14, 0xffff, v14
                                        ; implicit-def: $sgpr62_sgpr63
                                        ; implicit-def: $vgpr54
	s_nop 0
	v_cndmask_b32_e64 v16, 0, 1, vcc
	v_lshl_or_b32 v14, v16, 16, v14
	v_mov_b32_e32 v16, 0
	v_cmp_gt_u32_e32 vcc, s3, v15
	v_mov_b32_e32 v15, v16
	v_mov_b32_e32 v17, v16
	s_and_saveexec_b64 s[50:51], vcc
	s_cbranch_execz .LBB109_105
; %bb.98:
	v_lshrrev_b32_e32 v15, 16, v31
	v_mov_b32_e32 v26, s76
	v_cmp_eq_u32_e32 vcc, v22, v23
	v_add_u32_e32 v17, 21, v55
	s_mov_b32 s5, 0
	v_cndmask_b32_e32 v15, v26, v15, vcc
	v_cmp_ne_u32_e32 vcc, v22, v23
	v_and_b32_e32 v15, 0xffff, v15
	s_mov_b64 s[60:61], 0
	v_cndmask_b32_e64 v22, 0, 1, vcc
	v_lshl_or_b32 v15, v22, 16, v15
	v_cmp_gt_u32_e32 vcc, s3, v17
	v_mov_b32_e32 v17, v16
                                        ; implicit-def: $sgpr72_sgpr73
                                        ; implicit-def: $vgpr54
	s_and_saveexec_b64 s[52:53], vcc
	s_cbranch_execz .LBB109_104
; %bb.99:
	v_mov_b32_e32 v16, s76
	v_cmp_eq_u32_e32 vcc, v23, v24
	v_add_u32_e32 v17, 22, v55
	s_mov_b64 s[62:63], 0
	v_cndmask_b32_e32 v16, v16, v32, vcc
	v_cmp_ne_u32_e32 vcc, v23, v24
	v_and_b32_e32 v16, 0xffff, v16
                                        ; implicit-def: $sgpr72_sgpr73
                                        ; implicit-def: $vgpr54
	s_nop 0
	v_cndmask_b32_e64 v22, 0, 1, vcc
	v_lshl_or_b32 v16, v22, 16, v16
	v_cmp_gt_u32_e32 vcc, s3, v17
	v_mov_b32_e32 v17, s5
	s_and_saveexec_b64 s[60:61], vcc
	s_cbranch_execz .LBB109_103
; %bb.100:
	v_lshrrev_b32_e32 v17, 16, v32
	v_mov_b32_e32 v23, s76
	v_cmp_eq_u32_e32 vcc, v24, v25
	v_add_u32_e32 v22, 23, v55
                                        ; implicit-def: $sgpr72_sgpr73
                                        ; implicit-def: $vgpr54
	s_nop 0
	v_cndmask_b32_e32 v17, v23, v17, vcc
	v_cmp_ne_u32_e32 vcc, v24, v25
	v_and_b32_e32 v17, 0xffff, v17
	s_nop 0
	v_cndmask_b32_e64 v23, 0, 1, vcc
	v_lshl_or_b32 v17, v23, 16, v17
	v_cmp_gt_u32_e32 vcc, s3, v22
	s_and_saveexec_b64 s[74:75], vcc
	s_xor_b64 s[74:75], exec, s[74:75]
	s_cbranch_execz .LBB109_102
; %bb.101:
	ds_read_u16 v22, v42 offset:46
	v_mov_b32_e32 v23, s76
	v_cmp_ne_u32_e32 vcc, v25, v53
	s_mov_b64 s[62:63], exec
	s_and_b64 s[72:73], vcc, exec
	s_waitcnt lgkmcnt(0)
	v_cndmask_b32_e32 v54, v22, v23, vcc
.LBB109_102:
	s_or_b64 exec, exec, s[74:75]
	s_and_b64 s[72:73], s[72:73], exec
	s_and_b64 s[62:63], s[62:63], exec
.LBB109_103:
	s_or_b64 exec, exec, s[60:61]
	s_and_b64 s[72:73], s[72:73], exec
	s_and_b64 s[60:61], s[62:63], exec
.LBB109_104:
	s_or_b64 exec, exec, s[52:53]
	s_and_b64 s[62:63], s[72:73], exec
	s_and_b64 s[52:53], s[60:61], exec
.LBB109_105:
	s_or_b64 exec, exec, s[50:51]
	s_and_b64 s[60:61], s[62:63], exec
	s_and_b64 s[50:51], s[52:53], exec
.LBB109_106:
	s_or_b64 exec, exec, s[48:49]
	s_and_b64 s[52:53], s[60:61], exec
	s_and_b64 s[48:49], s[50:51], exec
.LBB109_107:
	s_or_b64 exec, exec, s[46:47]
	s_and_b64 s[50:51], s[52:53], exec
	s_and_b64 s[46:47], s[48:49], exec
.LBB109_108:
	s_or_b64 exec, exec, s[14:15]
	s_and_b64 s[48:49], s[50:51], exec
	s_and_b64 s[14:15], s[46:47], exec
.LBB109_109:
	s_or_b64 exec, exec, s[12:13]
	s_and_b64 s[46:47], s[48:49], exec
	s_and_b64 s[12:13], s[14:15], exec
.LBB109_110:
	s_or_b64 exec, exec, s[10:11]
	s_and_b64 s[10:11], s[46:47], exec
	s_and_b64 s[46:47], s[12:13], exec
.LBB109_111:
	s_or_b64 exec, exec, s[8:9]
	s_and_b64 s[48:49], s[10:11], exec
	s_and_b64 s[46:47], s[46:47], exec
.LBB109_112:
	s_or_b64 exec, exec, s[44:45]
	s_and_b64 s[8:9], s[48:49], exec
	s_and_b64 s[44:45], s[46:47], exec
.LBB109_113:
	s_or_b64 exec, exec, s[42:43]
	s_and_b64 s[46:47], s[8:9], exec
	s_and_b64 s[42:43], s[44:45], exec
.LBB109_114:
	s_or_b64 exec, exec, s[40:41]
	s_and_b64 s[8:9], s[46:47], exec
	s_and_b64 s[40:41], s[42:43], exec
.LBB109_115:
	s_or_b64 exec, exec, s[38:39]
	s_and_b64 s[42:43], s[8:9], exec
	s_and_b64 s[38:39], s[40:41], exec
.LBB109_116:
	s_or_b64 exec, exec, s[36:37]
	s_and_b64 s[8:9], s[42:43], exec
	s_and_b64 s[36:37], s[38:39], exec
.LBB109_117:
	s_or_b64 exec, exec, s[34:35]
	s_and_b64 s[38:39], s[8:9], exec
	s_and_b64 s[34:35], s[36:37], exec
.LBB109_118:
	s_or_b64 exec, exec, s[30:31]
	s_and_b64 s[8:9], s[38:39], exec
	s_and_b64 s[30:31], s[34:35], exec
.LBB109_119:
	s_or_b64 exec, exec, s[28:29]
	s_and_b64 s[34:35], s[8:9], exec
	s_and_b64 s[28:29], s[30:31], exec
.LBB109_120:
	s_or_b64 exec, exec, s[26:27]
	s_and_b64 s[8:9], s[34:35], exec
	s_and_b64 s[26:27], s[28:29], exec
.LBB109_121:
	s_or_b64 exec, exec, s[24:25]
	s_and_b64 s[28:29], s[8:9], exec
	s_and_b64 s[24:25], s[26:27], exec
.LBB109_122:
	s_or_b64 exec, exec, s[18:19]
	s_and_b64 s[8:9], s[28:29], exec
	s_and_b64 s[24:25], s[24:25], exec
.LBB109_123:
	s_or_b64 exec, exec, s[16:17]
	s_and_b64 s[26:27], s[8:9], exec
	s_and_b64 s[24:25], s[24:25], exec
.LBB109_124:
	s_or_b64 exec, exec, s[22:23]
	s_and_b64 s[8:9], s[26:27], exec
	s_and_b64 s[10:11], s[24:25], exec
.LBB109_125:
	s_or_b64 exec, exec, s[6:7]
	s_and_b64 vcc, exec, s[20:21]
	s_cbranch_vccnz .LBB109_127
	s_branch .LBB109_132
.LBB109_126:
	s_mov_b64 s[10:11], 0
                                        ; implicit-def: $sgpr8_sgpr9
                                        ; implicit-def: $vgpr18_vgpr19_vgpr20_vgpr21
                                        ; implicit-def: $vgpr2_vgpr3_vgpr4_vgpr5_vgpr6_vgpr7_vgpr8_vgpr9
                                        ; implicit-def: $vgpr10_vgpr11_vgpr12_vgpr13_vgpr14_vgpr15_vgpr16_vgpr17
                                        ; implicit-def: $vgpr54
                                        ; implicit-def: $vgpr1
                                        ; implicit-def: $vgpr51
                                        ; implicit-def: $vgpr52
                                        ; implicit-def: $sgpr4
	s_and_b64 vcc, exec, s[20:21]
	s_cbranch_vccz .LBB109_132
.LBB109_127:
	v_mov_b32_e32 v7, 0
	v_mov_b32_e32 v51, v7
	v_lshl_add_u64 v[2:3], s[70:71], 0, v[50:51]
	v_add_co_u32_e32 v4, vcc, 0x1000, v2
	global_load_dword v6, v50, s[70:71]
	global_load_dword v10, v50, s[70:71] offset:1024
	global_load_dword v11, v50, s[70:71] offset:2048
	;; [unrolled: 1-line block ×3, first 2 shown]
	v_addc_co_u32_e32 v5, vcc, 0, v3, vcc
	v_add_co_u32_e32 v8, vcc, 0x2000, v2
	s_movk_i32 s4, 0x5c
	s_nop 0
	v_addc_co_u32_e32 v9, vcc, 0, v3, vcc
	global_load_dword v13, v[4:5], off
	global_load_dword v14, v[4:5], off offset:1024
	global_load_dword v15, v[4:5], off offset:2048
	;; [unrolled: 1-line block ×3, first 2 shown]
	global_load_dword v17, v[8:9], off
	global_load_dword v18, v[8:9], off offset:1024
	global_load_dword v19, v[8:9], off offset:2048
	;; [unrolled: 1-line block ×3, first 2 shown]
	v_add_co_u32_e32 v4, vcc, 0x3000, v2
	v_mad_u32_u24 v40, v0, s4, v50
	s_nop 0
	v_addc_co_u32_e32 v5, vcc, 0, v3, vcc
	v_add_co_u32_e32 v8, vcc, 0x4000, v2
	s_movk_i32 s5, 0xffa4
	s_nop 0
	v_addc_co_u32_e32 v9, vcc, 0, v3, vcc
	v_add_co_u32_e32 v2, vcc, 0x5000, v2
	global_load_dword v21, v[4:5], off
	global_load_dword v22, v[4:5], off offset:1024
	global_load_dword v23, v[4:5], off offset:2048
	;; [unrolled: 1-line block ×3, first 2 shown]
	global_load_dword v25, v[8:9], off
	global_load_dword v26, v[8:9], off offset:1024
	global_load_dword v27, v[8:9], off offset:2048
	global_load_dword v28, v[8:9], off offset:3072
	v_addc_co_u32_e32 v3, vcc, 0, v3, vcc
	global_load_dword v4, v[2:3], off
	global_load_dword v5, v[2:3], off offset:1024
	global_load_dword v8, v[2:3], off offset:2048
	;; [unrolled: 1-line block ×3, first 2 shown]
	s_movk_i32 s7, 0xff
	s_movk_i32 s6, 0x1000
	;; [unrolled: 1-line block ×3, first 2 shown]
	v_cmp_ne_u32_e32 vcc, s7, v0
	v_mad_i32_i24 v1, v0, s5, v40
	s_waitcnt vmcnt(22)
	ds_write2st64_b32 v50, v6, v10 offset1:4
	s_waitcnt vmcnt(20)
	ds_write2st64_b32 v50, v11, v12 offset0:8 offset1:12
	s_waitcnt vmcnt(18)
	ds_write2st64_b32 v50, v13, v14 offset0:16 offset1:20
	;; [unrolled: 2-line block ×11, first 2 shown]
	s_waitcnt lgkmcnt(0)
	s_barrier
	ds_read2_b32 v[22:23], v40 offset0:6 offset1:23
	ds_read_b64 v[18:19], v40
	ds_read2_b64 v[2:5], v40 offset0:1 offset1:2
	ds_read2_b32 v[32:33], v40 offset0:13 offset1:14
	ds_read2_b32 v[34:35], v40 offset0:11 offset1:12
	;; [unrolled: 1-line block ×8, first 2 shown]
	s_load_dword s4, s[70:71], 0x6000
	s_waitcnt lgkmcnt(0)
	ds_write_b32 v1, v18 offset:25600
	s_waitcnt lgkmcnt(0)
	s_barrier
	v_mov_b32_e32 v40, s4
	s_and_saveexec_b64 s[4:5], vcc
	s_cbranch_execz .LBB109_129
; %bb.128:
	ds_read_b32 v40, v50 offset:25604
.LBB109_129:
	s_or_b64 exec, exec, s[4:5]
	v_lshlrev_b32_e32 v6, 1, v0
	v_lshl_add_u64 v[8:9], s[68:69], 0, v[6:7]
	v_add_co_u32_e32 v10, vcc, s6, v8
	s_waitcnt lgkmcnt(0)
	s_nop 0
	v_addc_co_u32_e32 v11, vcc, 0, v9, vcc
	v_add_co_u32_e32 v8, vcc, s3, v8
	s_barrier
	global_load_ushort v7, v6, s[68:69]
	v_addc_co_u32_e32 v9, vcc, 0, v9, vcc
	global_load_ushort v12, v6, s[68:69] offset:512
	global_load_ushort v13, v6, s[68:69] offset:1024
	;; [unrolled: 1-line block ×7, first 2 shown]
	global_load_ushort v21, v[8:9], off offset:-4096
	global_load_ushort v41, v[10:11], off offset:512
	global_load_ushort v42, v[10:11], off offset:1024
	;; [unrolled: 1-line block ×7, first 2 shown]
                                        ; kill: killed $sgpr68 killed $sgpr69
                                        ; kill: killed $vgpr10 killed $vgpr11
	s_nop 0
	global_load_ushort v10, v[8:9], off
	global_load_ushort v11, v[8:9], off offset:512
	global_load_ushort v48, v[8:9], off offset:1024
	;; [unrolled: 1-line block ×7, first 2 shown]
	v_sub_u32_e32 v1, v1, v6
	v_mad_u32_u24 v55, v0, 46, v1
	v_cmp_eq_u32_e32 vcc, v18, v19
	v_mov_b32_e32 v18, s76
	s_waitcnt vmcnt(23)
	ds_write_b16 v1, v7
	s_waitcnt vmcnt(22)
	ds_write_b16 v1, v12 offset:512
	s_waitcnt vmcnt(21)
	ds_write_b16 v1, v13 offset:1024
	;; [unrolled: 2-line block ×23, first 2 shown]
	s_waitcnt lgkmcnt(0)
	s_barrier
	ds_read_b96 v[14:16], v55 offset:2
	ds_read_b128 v[6:9], v55 offset:14
	ds_read_b128 v[10:13], v55 offset:30
	ds_read_u16 v41, v55 offset:46
	v_mov_b32_e32 v17, 0x10000
	s_and_saveexec_b64 s[4:5], vcc
	s_cbranch_execz .LBB109_131
; %bb.130:
	v_mul_u32_u24_e32 v17, 46, v0
	v_add_u32_e32 v1, v1, v17
	ds_read_u16 v18, v1
	v_mov_b32_e32 v17, 0
.LBB109_131:
	s_or_b64 exec, exec, s[4:5]
	v_mov_b32_e32 v47, s76
	v_cmp_eq_u32_e32 vcc, v19, v2
	s_waitcnt lgkmcnt(3)
	v_lshrrev_b32_e32 v21, 16, v14
	s_waitcnt lgkmcnt(0)
	v_or_b32_sdwa v1, v17, v18 dst_sel:DWORD dst_unused:UNUSED_PAD src0_sel:DWORD src1_sel:WORD_0
	v_cndmask_b32_e32 v14, v47, v14, vcc
	v_cmp_ne_u32_e32 vcc, v19, v2
	v_and_b32_e32 v14, 0xffff, v14
	v_lshrrev_b32_e32 v20, 16, v15
	v_cndmask_b32_e64 v17, 0, 1, vcc
	v_cmp_eq_u32_e32 vcc, v2, v3
	v_lshl_or_b32 v51, v17, 16, v14
	v_lshrrev_b32_e32 v42, 16, v16
	v_cndmask_b32_e32 v14, v47, v21, vcc
	v_cmp_eq_u32_e32 vcc, v4, v5
	v_and_b32_e32 v14, 0xffff, v14
	v_lshrrev_b32_e32 v46, 16, v6
	v_cndmask_b32_e32 v17, v47, v20, vcc
	v_cmp_eq_u32_e32 vcc, v3, v4
	v_and_b32_e32 v17, 0xffff, v17
	v_lshrrev_b32_e32 v45, 16, v7
	v_cndmask_b32_e32 v15, v47, v15, vcc
	v_cmp_eq_u32_e32 vcc, v5, v22
	v_and_b32_e32 v15, 0xffff, v15
	v_lshrrev_b32_e32 v44, 16, v8
	v_cndmask_b32_e32 v16, v47, v16, vcc
	v_cmp_ne_u32_e32 vcc, v3, v4
	v_lshrrev_b32_e32 v43, 16, v9
	v_and_b32_e32 v16, 0xffff, v16
	v_cndmask_b32_e64 v18, 0, 1, vcc
	v_cmp_ne_u32_e32 vcc, v5, v22
	v_lshl_or_b32 v20, v18, 16, v15
	v_cmp_ne_u32_e64 s[8:9], v23, v40
	v_cndmask_b32_e64 v15, 0, 1, vcc
	v_cmp_ne_u32_e32 vcc, v2, v3
	v_lshl_or_b32 v18, v15, 16, v16
	v_lshrrev_b32_e32 v16, 16, v11
	v_cndmask_b32_e64 v2, 0, 1, vcc
	v_cmp_ne_u32_e32 vcc, v4, v5
	v_lshl_or_b32 v21, v2, 16, v14
	v_cndmask_b32_e64 v54, v41, v47, s[8:9]
	v_cndmask_b32_e64 v2, 0, 1, vcc
	v_cmp_eq_u32_e32 vcc, v22, v38
	v_lshl_or_b32 v19, v2, 16, v17
	v_lshrrev_b32_e32 v17, 16, v10
	v_cndmask_b32_e32 v2, v47, v42, vcc
	v_cmp_ne_u32_e32 vcc, v22, v38
	v_and_b32_e32 v2, 0xffff, v2
	s_mov_b64 s[10:11], -1
	v_cndmask_b32_e64 v3, 0, 1, vcc
	v_cmp_eq_u32_e32 vcc, v39, v36
	v_lshl_or_b32 v52, v3, 16, v2
                                        ; implicit-def: $sgpr4
	s_nop 0
	v_cndmask_b32_e32 v2, v47, v46, vcc
	v_cmp_eq_u32_e32 vcc, v37, v34
	v_and_b32_e32 v2, 0xffff, v2
	s_nop 0
	v_cndmask_b32_e32 v3, v47, v45, vcc
	v_cmp_eq_u32_e32 vcc, v35, v32
	v_and_b32_e32 v15, 0xffff, v3
	s_nop 0
	v_cndmask_b32_e32 v4, v47, v44, vcc
	v_cmp_eq_u32_e32 vcc, v33, v26
	v_and_b32_e32 v4, 0xffff, v4
	s_nop 0
	v_cndmask_b32_e32 v5, v47, v43, vcc
	v_cmp_eq_u32_e32 vcc, v38, v39
	v_and_b32_e32 v14, 0xffff, v5
	s_nop 0
	v_cndmask_b32_e32 v6, v47, v6, vcc
	v_cmp_eq_u32_e32 vcc, v36, v37
	v_and_b32_e32 v6, 0xffff, v6
	s_nop 0
	v_cndmask_b32_e32 v7, v47, v7, vcc
	v_cmp_eq_u32_e32 vcc, v34, v35
	v_and_b32_e32 v7, 0xffff, v7
	s_nop 0
	v_cndmask_b32_e32 v8, v47, v8, vcc
	v_cmp_eq_u32_e32 vcc, v32, v33
	v_and_b32_e32 v5, 0xffff, v8
	s_nop 0
	v_cndmask_b32_e32 v9, v47, v9, vcc
	v_cmp_ne_u32_e32 vcc, v38, v39
	v_and_b32_e32 v3, 0xffff, v9
	s_nop 0
	v_cndmask_b32_e64 v8, 0, 1, vcc
	v_cmp_ne_u32_e32 vcc, v36, v37
	v_lshl_or_b32 v9, v8, 16, v6
	s_nop 0
	v_cndmask_b32_e64 v6, 0, 1, vcc
	v_cmp_ne_u32_e32 vcc, v34, v35
	v_lshl_or_b32 v7, v6, 16, v7
	;; [unrolled: 4-line block ×6, first 2 shown]
	v_lshrrev_b32_e32 v15, 16, v12
	v_cndmask_b32_e64 v2, 0, 1, vcc
	v_cmp_ne_u32_e32 vcc, v33, v26
	v_lshl_or_b32 v4, v2, 16, v4
	s_nop 0
	v_cndmask_b32_e64 v2, 0, 1, vcc
	v_lshl_or_b32 v2, v2, 16, v14
	v_lshrrev_b32_e32 v14, 16, v13
	v_cmp_eq_u32_e32 vcc, v31, v23
	s_nop 1
	v_cndmask_b32_e32 v14, v47, v14, vcc
	v_cmp_eq_u32_e32 vcc, v29, v30
	s_nop 1
	v_cndmask_b32_e32 v15, v47, v15, vcc
	v_cmp_eq_u32_e32 vcc, v25, v28
	v_and_b32_e32 v15, 0xffff, v15
	s_nop 0
	v_cndmask_b32_e32 v16, v47, v16, vcc
	v_cmp_eq_u32_e32 vcc, v27, v24
	v_and_b32_e32 v32, 0xffff, v16
	;; [unrolled: 4-line block ×3, first 2 shown]
	v_and_b32_e32 v17, 0xffff, v14
	v_cndmask_b32_e32 v13, v47, v13, vcc
	v_cmp_eq_u32_e32 vcc, v28, v29
	v_and_b32_e32 v13, 0xffff, v13
	s_nop 0
	v_cndmask_b32_e32 v12, v47, v12, vcc
	v_cmp_eq_u32_e32 vcc, v24, v25
	v_and_b32_e32 v12, 0xffff, v12
	s_nop 0
	;; [unrolled: 4-line block ×3, first 2 shown]
	v_cndmask_b32_e32 v10, v47, v10, vcc
	v_cmp_ne_u32_e32 vcc, v30, v31
	v_and_b32_e32 v10, 0xffff, v10
	s_nop 0
	v_cndmask_b32_e64 v14, 0, 1, vcc
	v_cmp_ne_u32_e32 vcc, v28, v29
	v_lshl_or_b32 v16, v14, 16, v13
	s_nop 0
	v_cndmask_b32_e64 v13, 0, 1, vcc
	v_cmp_ne_u32_e32 vcc, v24, v25
	v_lshl_or_b32 v14, v13, 16, v12
	;; [unrolled: 4-line block ×7, first 2 shown]
	s_nop 0
	v_cndmask_b32_e64 v11, 0, 1, vcc
	v_lshl_or_b32 v11, v11, 16, v22
.LBB109_132:
	v_mov_b32_e32 v33, s4
	s_and_saveexec_b64 s[4:5], s[10:11]
; %bb.133:
	v_mov_b32_e32 v22, 0x10000
	v_cndmask_b32_e64 v22, 0, v22, s[8:9]
	v_or_b32_sdwa v33, v22, v54 dst_sel:DWORD dst_unused:UNUSED_PAD src0_sel:DWORD src1_sel:WORD_0
; %bb.134:
	s_or_b64 exec, exec, s[4:5]
	s_cmp_lg_u32 s2, 0
	v_max_i16_e32 v34, v1, v51
	v_mbcnt_lo_u32_b32 v32, -1, 0
	s_barrier
	s_cbranch_scc0 .LBB109_223
; %bb.135:
	s_mov_b32 s3, 0x10000
	v_cmp_gt_u32_e64 s[4:5], s3, v51
	v_cmp_gt_u32_e64 s[6:7], s3, v21
	v_cmp_gt_u32_e64 s[8:9], s3, v20
	v_cndmask_b32_e64 v22, v51, v34, s[4:5]
	v_max_i16_e32 v22, v22, v21
	v_cndmask_b32_e64 v22, v21, v22, s[6:7]
	v_max_i16_e32 v22, v22, v20
	v_cndmask_b32_e64 v22, v20, v22, s[8:9]
	v_max_i16_e32 v22, v22, v19
	v_cmp_gt_u32_e64 s[10:11], s3, v19
	v_cmp_gt_u32_e64 s[12:13], s3, v18
	v_cmp_gt_u32_e64 s[14:15], s3, v52
	v_cndmask_b32_e64 v22, v19, v22, s[10:11]
	v_max_i16_e32 v22, v22, v18
	v_cndmask_b32_e64 v22, v18, v22, s[12:13]
	v_max_i16_e32 v22, v22, v52
	v_cndmask_b32_e64 v22, v52, v22, s[14:15]
	v_max_i16_e32 v22, v22, v9
	;; [unrolled: 9-line block ×5, first 2 shown]
	v_cmp_gt_u32_e64 s[36:37], s3, v11
	v_cmp_gt_u32_e64 s[38:39], s3, v12
	v_or3_b32 v24, v33, v17, v16
	v_cndmask_b32_e64 v22, v11, v22, s[36:37]
	v_max_i16_e32 v22, v22, v12
	v_cndmask_b32_e64 v22, v12, v22, s[38:39]
	v_max_i16_e32 v22, v22, v13
	v_cmp_gt_u32_e64 s[40:41], s3, v13
	v_or3_b32 v24, v24, v15, v14
	v_or3_b32 v24, v24, v13, v12
	v_cndmask_b32_e64 v22, v13, v22, s[40:41]
	v_max_i16_e32 v22, v22, v14
	v_cmp_gt_u32_e64 s[42:43], s3, v14
	v_or3_b32 v24, v24, v11, v10
	v_or3_b32 v24, v24, v2, v3
	;; [unrolled: 5-line block ×5, first 2 shown]
	v_cndmask_b32_e64 v22, v17, v22, s[48:49]
	v_max_i16_e32 v22, v22, v33
	v_cmp_gt_u32_e32 vcc, s3, v33
	v_and_b32_e32 v24, 0x10000, v24
	v_and_b32_e32 v23, 0x10000, v1
	v_cndmask_b32_e32 v22, v33, v22, vcc
	v_mov_b32_e32 v25, 0x10000
	v_cmp_ne_u32_e32 vcc, 0, v24
	s_nop 1
	v_cndmask_b32_e32 v26, v23, v25, vcc
	v_mbcnt_hi_u32_b32 v25, -1, v32
	v_and_b32_e32 v28, 15, v25
	v_or_b32_sdwa v24, v26, v22 dst_sel:DWORD dst_unused:UNUSED_PAD src0_sel:DWORD src1_sel:WORD_0
	v_lshrrev_b32_e32 v23, 16, v26
	v_cmp_ne_u32_e32 vcc, 0, v28
	v_mov_b32_dpp v27, v24 row_shr:1 row_mask:0xf bank_mask:0xf
	s_and_saveexec_b64 s[50:51], vcc
; %bb.136:
	v_and_b32_e32 v23, 0x10000, v26
	v_mov_b32_e32 v24, 1
	v_and_b32_sdwa v24, v27, v24 dst_sel:DWORD dst_unused:UNUSED_PAD src0_sel:WORD_1 src1_sel:DWORD
	v_cmp_ne_u32_e32 vcc, 0, v23
	s_nop 1
	v_cndmask_b32_e64 v23, v24, 1, vcc
	v_max_i16_e32 v24, v27, v22
	v_cmp_eq_u32_e32 vcc, 0, v26
	s_nop 1
	v_cndmask_b32_e32 v22, v22, v24, vcc
	v_lshlrev_b32_e32 v24, 16, v23
	v_or_b32_sdwa v24, v24, v22 dst_sel:DWORD dst_unused:UNUSED_PAD src0_sel:DWORD src1_sel:WORD_0
; %bb.137:
	s_or_b64 exec, exec, s[50:51]
	v_lshrrev_b32_e32 v27, 16, v24
	v_mov_b32_dpp v29, v24 row_shr:2 row_mask:0xf bank_mask:0xf
	v_cmp_lt_u32_e32 vcc, 1, v28
	v_mov_b32_e32 v26, v24
	s_and_saveexec_b64 s[50:51], vcc
	s_cbranch_execz .LBB109_139
; %bb.138:
	v_and_b32_e32 v22, 0x10000, v24
	v_mov_b32_e32 v23, 1
	v_and_b32_sdwa v23, v29, v23 dst_sel:DWORD dst_unused:UNUSED_PAD src0_sel:WORD_1 src1_sel:DWORD
	v_cmp_ne_u32_e32 vcc, 0, v22
	v_max_i16_e32 v22, v29, v24
	s_nop 0
	v_cndmask_b32_e64 v23, v23, 1, vcc
	v_cmp_gt_u32_e32 vcc, s3, v24
	v_mov_b32_e32 v27, v23
	s_nop 0
	v_cndmask_b32_e32 v22, v24, v22, vcc
	v_lshlrev_b32_e32 v24, 16, v23
	v_or_b32_sdwa v24, v24, v22 dst_sel:DWORD dst_unused:UNUSED_PAD src0_sel:DWORD src1_sel:WORD_0
	v_mov_b32_e32 v26, v22
.LBB109_139:
	s_or_b64 exec, exec, s[50:51]
	v_mov_b32_dpp v29, v24 row_shr:4 row_mask:0xf bank_mask:0xf
	v_cmp_lt_u32_e32 vcc, 3, v28
	s_and_saveexec_b64 s[50:51], vcc
	s_cbranch_execz .LBB109_141
; %bb.140:
	v_and_b32_e32 v22, 1, v27
	v_mov_b32_e32 v23, 1
	v_and_b32_sdwa v23, v29, v23 dst_sel:DWORD dst_unused:UNUSED_PAD src0_sel:WORD_1 src1_sel:DWORD
	v_cmp_eq_u32_e32 vcc, 1, v22
	v_max_i16_e32 v22, v29, v26
	s_nop 0
	v_cndmask_b32_e64 v23, v23, 1, vcc
	v_cmp_eq_u16_e32 vcc, 0, v27
	v_lshlrev_b32_e32 v24, 16, v23
	v_mov_b32_e32 v27, v23
	v_cndmask_b32_e32 v22, v26, v22, vcc
	v_or_b32_sdwa v24, v24, v22 dst_sel:DWORD dst_unused:UNUSED_PAD src0_sel:DWORD src1_sel:WORD_0
	v_mov_b32_e32 v26, v22
.LBB109_141:
	s_or_b64 exec, exec, s[50:51]
	v_mov_b32_dpp v29, v24 row_shr:8 row_mask:0xf bank_mask:0xf
	v_cmp_lt_u32_e32 vcc, 7, v28
	s_and_saveexec_b64 s[50:51], vcc
	s_cbranch_execz .LBB109_143
; %bb.142:
	v_and_b32_e32 v22, 1, v27
	v_mov_b32_e32 v23, 1
	v_and_b32_sdwa v23, v29, v23 dst_sel:DWORD dst_unused:UNUSED_PAD src0_sel:WORD_1 src1_sel:DWORD
	v_cmp_eq_u32_e32 vcc, 1, v22
	v_max_i16_e32 v22, v29, v26
	s_nop 0
	v_cndmask_b32_e64 v23, v23, 1, vcc
	v_cmp_eq_u16_e32 vcc, 0, v27
	v_lshlrev_b32_e32 v24, 16, v23
	v_mov_b32_e32 v27, v23
	v_cndmask_b32_e32 v22, v26, v22, vcc
	v_or_b32_sdwa v24, v24, v22 dst_sel:DWORD dst_unused:UNUSED_PAD src0_sel:DWORD src1_sel:WORD_0
	v_mov_b32_e32 v26, v22
.LBB109_143:
	s_or_b64 exec, exec, s[50:51]
	v_and_b32_e32 v29, 16, v25
	v_mov_b32_dpp v28, v24 row_bcast:15 row_mask:0xf bank_mask:0xf
	v_cmp_ne_u32_e32 vcc, 0, v29
	s_and_saveexec_b64 s[50:51], vcc
	s_cbranch_execz .LBB109_145
; %bb.144:
	v_and_b32_e32 v22, 1, v27
	v_mov_b32_e32 v23, 1
	v_and_b32_sdwa v23, v28, v23 dst_sel:DWORD dst_unused:UNUSED_PAD src0_sel:WORD_1 src1_sel:DWORD
	v_cmp_eq_u32_e32 vcc, 1, v22
	v_max_i16_e32 v22, v28, v26
	s_nop 0
	v_cndmask_b32_e64 v23, v23, 1, vcc
	v_cmp_eq_u16_e32 vcc, 0, v27
	v_lshlrev_b32_e32 v24, 16, v23
	v_mov_b32_e32 v27, v23
	v_cndmask_b32_e32 v22, v26, v22, vcc
	v_or_b32_sdwa v24, v24, v22 dst_sel:DWORD dst_unused:UNUSED_PAD src0_sel:DWORD src1_sel:WORD_0
	v_mov_b32_e32 v26, v22
.LBB109_145:
	s_or_b64 exec, exec, s[50:51]
	v_mov_b32_dpp v24, v24 row_bcast:31 row_mask:0xf bank_mask:0xf
	v_cmp_lt_u32_e32 vcc, 31, v25
	s_and_saveexec_b64 s[50:51], vcc
; %bb.146:
	v_and_b32_e32 v22, 1, v27
	v_mov_b32_e32 v23, 1
	v_and_b32_sdwa v23, v24, v23 dst_sel:DWORD dst_unused:UNUSED_PAD src0_sel:WORD_1 src1_sel:DWORD
	v_cmp_eq_u32_e32 vcc, 1, v22
	v_max_i16_e32 v22, v24, v26
	s_nop 0
	v_cndmask_b32_e64 v23, v23, 1, vcc
	v_cmp_eq_u16_e32 vcc, 0, v27
	s_nop 1
	v_cndmask_b32_e32 v22, v26, v22, vcc
; %bb.147:
	s_or_b64 exec, exec, s[50:51]
	v_or_b32_e32 v26, 63, v0
	v_lshrrev_b32_e32 v24, 6, v0
	v_cmp_eq_u32_e32 vcc, v26, v0
	s_and_saveexec_b64 s[50:51], vcc
	s_cbranch_execz .LBB109_149
; %bb.148:
	v_lshlrev_b32_e32 v26, 2, v24
	ds_write_b16 v26, v22
	ds_write_b8 v26, v23 offset:2
.LBB109_149:
	s_or_b64 exec, exec, s[50:51]
	v_cmp_gt_u32_e32 vcc, 4, v0
	s_waitcnt lgkmcnt(0)
	s_barrier
	s_and_saveexec_b64 s[50:51], vcc
	s_cbranch_execz .LBB109_155
; %bb.150:
	ds_read_b32 v26, v50
	v_and_b32_e32 v28, 3, v25
	v_cmp_ne_u32_e32 vcc, 0, v28
	s_waitcnt lgkmcnt(0)
	v_lshrrev_b32_e32 v27, 16, v26
	v_mov_b32_dpp v30, v26 row_shr:1 row_mask:0xf bank_mask:0xf
	v_mov_b32_e32 v29, v26
	s_and_saveexec_b64 s[52:53], vcc
	s_cbranch_execz .LBB109_152
; %bb.151:
	v_and_b32_e32 v29, 0x10000, v26
	v_mov_b32_e32 v35, 1
	v_and_b32_sdwa v35, v30, v35 dst_sel:DWORD dst_unused:UNUSED_PAD src0_sel:WORD_1 src1_sel:DWORD
	v_cmp_ne_u32_e32 vcc, 0, v29
	v_mov_b32_e32 v29, 0
	v_max_i16_e32 v30, v30, v26
	v_cndmask_b32_e64 v35, v35, 1, vcc
	v_cmp_eq_u16_sdwa vcc, v27, v29 src0_sel:BYTE_0 src1_sel:DWORD
	v_and_b32_e32 v31, 0xff000000, v26
	s_nop 0
	v_cndmask_b32_e32 v29, v26, v30, vcc
	v_lshlrev_b32_e32 v26, 16, v35
	v_and_b32_e32 v27, 0xffff, v29
	v_or3_b32 v26, v26, v31, v27
	v_mov_b32_e32 v27, v35
.LBB109_152:
	s_or_b64 exec, exec, s[52:53]
	v_mov_b32_dpp v30, v26 row_shr:2 row_mask:0xf bank_mask:0xf
	v_cmp_lt_u32_e32 vcc, 1, v28
	s_and_saveexec_b64 s[52:53], vcc
; %bb.153:
	v_and_b32_e32 v27, 0x10000, v26
	v_mov_b32_e32 v28, 1
	v_and_b32_sdwa v28, v30, v28 dst_sel:DWORD dst_unused:UNUSED_PAD src0_sel:WORD_1 src1_sel:DWORD
	v_cmp_eq_u32_e32 vcc, 0, v27
	v_max_i16_e32 v29, v30, v26
	s_nop 0
	v_cndmask_b32_e32 v27, 1, v28, vcc
	v_and_b32_e32 v28, 0xff0000, v26
	v_cmp_eq_u32_e32 vcc, 0, v28
	s_nop 1
	v_cndmask_b32_e32 v29, v26, v29, vcc
; %bb.154:
	s_or_b64 exec, exec, s[52:53]
	ds_write_b16 v50, v29
	ds_write_b8 v50, v27 offset:2
.LBB109_155:
	s_or_b64 exec, exec, s[50:51]
	v_cmp_gt_u32_e32 vcc, 64, v0
	v_cmp_lt_u32_e64 s[50:51], 63, v0
	v_mov_b32_e32 v35, 0
	v_mov_b32_e32 v36, 0
	s_waitcnt lgkmcnt(0)
	s_barrier
	s_and_saveexec_b64 s[52:53], s[50:51]
	s_cbranch_execz .LBB109_157
; %bb.156:
	v_lshl_add_u32 v24, v24, 2, -4
	ds_read_u16 v35, v24
	ds_read_u8 v36, v24 offset:2
	v_and_b32_e32 v26, 1, v23
	v_cmp_eq_u16_e64 s[50:51], 0, v23
	s_waitcnt lgkmcnt(1)
	v_max_i16_e32 v24, v35, v22
	v_cndmask_b32_e64 v22, v22, v24, s[50:51]
	v_cmp_eq_u32_e64 s[50:51], 1, v26
	s_waitcnt lgkmcnt(0)
	s_nop 0
	v_cndmask_b32_e64 v23, v36, 1, s[50:51]
.LBB109_157:
	s_or_b64 exec, exec, s[52:53]
	v_and_b32_e32 v23, 0xff, v23
	v_and_b32_e32 v22, 0xffff, v22
	v_lshl_or_b32 v22, v23, 16, v22
	v_add_u32_e32 v23, -1, v25
	v_and_b32_e32 v24, 64, v25
	v_cmp_lt_i32_e64 s[50:51], v23, v24
	s_nop 1
	v_cndmask_b32_e64 v23, v23, v25, s[50:51]
	v_lshlrev_b32_e32 v23, 2, v23
	ds_bpermute_b32 v37, v23, v22
	v_cmp_eq_u32_e64 s[50:51], 0, v25
	s_and_saveexec_b64 s[52:53], vcc
	s_cbranch_execz .LBB109_200
; %bb.158:
	v_mov_b32_e32 v29, 0
	ds_read_b32 v22, v29 offset:12
	s_and_saveexec_b64 s[60:61], s[50:51]
	s_cbranch_execz .LBB109_160
; %bb.159:
	s_add_i32 s62, s2, 64
	s_mov_b32 s63, 0
	s_lshl_b64 s[62:63], s[62:63], 3
	s_add_u32 s62, s56, s62
	s_addc_u32 s63, s57, s63
	v_mov_b32_e32 v23, 1
	s_waitcnt lgkmcnt(0)
	global_store_dwordx2 v29, v[22:23], s[62:63] sc1
.LBB109_160:
	s_or_b64 exec, exec, s[60:61]
	v_xad_u32 v24, v25, -1, s2
	v_add_u32_e32 v28, 64, v24
	v_lshl_add_u64 v[30:31], v[28:29], 3, s[56:57]
	global_load_dwordx2 v[26:27], v[30:31], off sc1
	s_waitcnt vmcnt(0)
	v_cmp_eq_u16_sdwa s[62:63], v27, v29 src0_sel:BYTE_0 src1_sel:DWORD
	s_and_saveexec_b64 s[60:61], s[62:63]
	s_cbranch_execz .LBB109_164
; %bb.161:
	s_mov_b64 s[62:63], 0
	v_mov_b32_e32 v23, 0
.LBB109_162:                            ; =>This Inner Loop Header: Depth=1
	global_load_dwordx2 v[26:27], v[30:31], off sc1
	s_waitcnt vmcnt(0)
	v_cmp_ne_u16_sdwa s[68:69], v27, v23 src0_sel:BYTE_0 src1_sel:DWORD
	s_or_b64 s[62:63], s[68:69], s[62:63]
	s_andn2_b64 exec, exec, s[62:63]
	s_cbranch_execnz .LBB109_162
; %bb.163:
	s_or_b64 exec, exec, s[62:63]
.LBB109_164:
	s_or_b64 exec, exec, s[60:61]
	v_mov_b32_e32 v23, 2
	v_cmp_eq_u16_sdwa s[60:61], v27, v23 src0_sel:BYTE_0 src1_sel:DWORD
	v_lshlrev_b64 v[28:29], v25, -1
	v_and_b32_e32 v31, 63, v25
	v_and_b32_e32 v23, s61, v29
	v_or_b32_e32 v23, 0x80000000, v23
	v_and_b32_e32 v30, s60, v28
	v_ffbl_b32_e32 v23, v23
	v_add_u32_e32 v23, 32, v23
	v_ffbl_b32_e32 v30, v30
	v_cmp_ne_u32_e32 vcc, 63, v31
	v_min_u32_e32 v30, v30, v23
	v_and_b32_e32 v49, 0xffffff, v26
	v_addc_co_u32_e32 v23, vcc, 0, v25, vcc
	v_lshlrev_b32_e32 v23, 2, v23
	ds_bpermute_b32 v39, v23, v49
	v_add_u32_e32 v38, 1, v25
	v_lshrrev_b32_e32 v56, 16, v26
	v_cmp_le_u32_e32 vcc, v38, v30
	v_bfe_u32 v47, v26, 16, 8
	s_and_saveexec_b64 s[60:61], vcc
	s_cbranch_execz .LBB109_166
; %bb.165:
	v_and_b32_e32 v40, 0xff0000, v26
	s_waitcnt lgkmcnt(0)
	v_max_i16_e32 v41, v39, v26
	v_cmp_eq_u32_e32 vcc, 0, v40
	v_and_b32_e32 v40, 0x10000, v40
	s_nop 0
	v_cndmask_b32_e32 v26, v26, v41, vcc
	v_mov_b32_e32 v41, 1
	v_and_b32_sdwa v39, v39, v41 dst_sel:DWORD dst_unused:UNUSED_PAD src0_sel:WORD_1 src1_sel:DWORD
	v_cmp_ne_u32_e32 vcc, 0, v40
	s_nop 1
	v_cndmask_b32_e64 v56, v39, 1, vcc
	v_lshlrev_b32_e32 v39, 16, v56
	v_or_b32_sdwa v49, v39, v26 dst_sel:DWORD dst_unused:UNUSED_PAD src0_sel:DWORD src1_sel:WORD_0
	v_mov_b32_e32 v47, v56
.LBB109_166:
	s_or_b64 exec, exec, s[60:61]
	v_cmp_gt_u32_e32 vcc, 62, v31
	v_add_u32_e32 v40, 2, v25
	s_waitcnt lgkmcnt(0)
	v_cndmask_b32_e64 v39, 0, 1, vcc
	v_lshlrev_b32_e32 v39, 1, v39
	v_add_lshl_u32 v39, v39, v25, 2
	ds_bpermute_b32 v41, v39, v49
	v_cmp_le_u32_e32 vcc, v40, v30
	s_and_saveexec_b64 s[60:61], vcc
	s_cbranch_execz .LBB109_168
; %bb.167:
	s_waitcnt lgkmcnt(0)
	v_max_i16_e32 v42, v41, v26
	v_cmp_eq_u16_e32 vcc, 0, v47
	v_mov_b32_e32 v43, 1
	v_and_b32_sdwa v41, v41, v43 dst_sel:DWORD dst_unused:UNUSED_PAD src0_sel:WORD_1 src1_sel:DWORD
	v_cndmask_b32_e32 v26, v26, v42, vcc
	v_and_b32_e32 v42, 1, v47
	v_cmp_eq_u32_e32 vcc, 1, v42
	s_nop 1
	v_cndmask_b32_e64 v56, v41, 1, vcc
	v_lshlrev_b32_e32 v41, 16, v56
	v_or_b32_sdwa v49, v41, v26 dst_sel:DWORD dst_unused:UNUSED_PAD src0_sel:DWORD src1_sel:WORD_0
	v_mov_b32_e32 v47, v56
.LBB109_168:
	s_or_b64 exec, exec, s[60:61]
	v_cmp_gt_u32_e32 vcc, 60, v31
	v_add_u32_e32 v42, 4, v25
	s_waitcnt lgkmcnt(0)
	v_cndmask_b32_e64 v41, 0, 1, vcc
	v_lshlrev_b32_e32 v41, 2, v41
	v_add_lshl_u32 v41, v41, v25, 2
	ds_bpermute_b32 v43, v41, v49
	v_cmp_le_u32_e32 vcc, v42, v30
	s_and_saveexec_b64 s[60:61], vcc
	s_cbranch_execz .LBB109_170
; %bb.169:
	s_waitcnt lgkmcnt(0)
	v_max_i16_e32 v44, v43, v26
	v_cmp_eq_u16_e32 vcc, 0, v47
	v_mov_b32_e32 v45, 1
	v_and_b32_sdwa v43, v43, v45 dst_sel:DWORD dst_unused:UNUSED_PAD src0_sel:WORD_1 src1_sel:DWORD
	v_cndmask_b32_e32 v26, v26, v44, vcc
	v_and_b32_e32 v44, 1, v47
	v_cmp_eq_u32_e32 vcc, 1, v44
	s_nop 1
	v_cndmask_b32_e64 v56, v43, 1, vcc
	v_lshlrev_b32_e32 v43, 16, v56
	v_or_b32_sdwa v49, v43, v26 dst_sel:DWORD dst_unused:UNUSED_PAD src0_sel:DWORD src1_sel:WORD_0
	v_mov_b32_e32 v47, v56
.LBB109_170:
	s_or_b64 exec, exec, s[60:61]
	v_cmp_gt_u32_e32 vcc, 56, v31
	v_add_u32_e32 v44, 8, v25
	s_waitcnt lgkmcnt(0)
	v_cndmask_b32_e64 v43, 0, 1, vcc
	v_lshlrev_b32_e32 v43, 3, v43
	v_add_lshl_u32 v43, v43, v25, 2
	ds_bpermute_b32 v45, v43, v49
	v_cmp_le_u32_e32 vcc, v44, v30
	s_and_saveexec_b64 s[60:61], vcc
	s_cbranch_execz .LBB109_172
; %bb.171:
	s_waitcnt lgkmcnt(0)
	v_max_i16_e32 v46, v45, v26
	v_cmp_eq_u16_e32 vcc, 0, v47
	s_nop 1
	v_cndmask_b32_e32 v26, v26, v46, vcc
	v_and_b32_e32 v46, 1, v47
	v_mov_b32_e32 v47, 1
	v_and_b32_sdwa v45, v45, v47 dst_sel:DWORD dst_unused:UNUSED_PAD src0_sel:WORD_1 src1_sel:DWORD
	v_cmp_eq_u32_e32 vcc, 1, v46
	s_nop 1
	v_cndmask_b32_e64 v56, v45, 1, vcc
	v_lshlrev_b32_e32 v45, 16, v56
	v_or_b32_sdwa v49, v45, v26 dst_sel:DWORD dst_unused:UNUSED_PAD src0_sel:DWORD src1_sel:WORD_0
	v_mov_b32_e32 v47, v56
.LBB109_172:
	s_or_b64 exec, exec, s[60:61]
	v_cmp_gt_u32_e32 vcc, 48, v31
	v_add_u32_e32 v46, 16, v25
	s_waitcnt lgkmcnt(0)
	v_cndmask_b32_e64 v45, 0, 1, vcc
	v_lshlrev_b32_e32 v45, 4, v45
	v_add_lshl_u32 v45, v45, v25, 2
	ds_bpermute_b32 v48, v45, v49
	v_cmp_le_u32_e32 vcc, v46, v30
	s_and_saveexec_b64 s[60:61], vcc
	s_cbranch_execz .LBB109_174
; %bb.173:
	s_waitcnt lgkmcnt(0)
	v_max_i16_e32 v49, v48, v26
	v_cmp_eq_u16_e32 vcc, 0, v47
	v_and_b32_e32 v47, 1, v47
	s_nop 0
	v_cndmask_b32_e32 v26, v26, v49, vcc
	v_mov_b32_e32 v49, 1
	v_and_b32_sdwa v48, v48, v49 dst_sel:DWORD dst_unused:UNUSED_PAD src0_sel:WORD_1 src1_sel:DWORD
	v_cmp_eq_u32_e32 vcc, 1, v47
	s_nop 1
	v_cndmask_b32_e64 v56, v48, 1, vcc
	v_lshlrev_b32_e32 v47, 16, v56
	v_or_b32_sdwa v49, v47, v26 dst_sel:DWORD dst_unused:UNUSED_PAD src0_sel:DWORD src1_sel:WORD_0
	v_mov_b32_e32 v47, v56
.LBB109_174:
	s_or_b64 exec, exec, s[60:61]
	v_cmp_gt_u32_e32 vcc, 32, v31
	s_nop 1
	v_cndmask_b32_e64 v31, 0, 1, vcc
	v_lshlrev_b32_e32 v31, 5, v31
	s_waitcnt lgkmcnt(0)
	v_add_lshl_u32 v48, v31, v25, 2
	ds_bpermute_b32 v31, v48, v49
	v_add_u32_e32 v49, 32, v25
	v_cmp_le_u32_e32 vcc, v49, v30
	s_and_saveexec_b64 s[60:61], vcc
	s_cbranch_execz .LBB109_176
; %bb.175:
	s_waitcnt lgkmcnt(0)
	v_max_i16_e32 v25, v31, v26
	v_cmp_eq_u16_e32 vcc, 0, v47
	v_mov_b32_e32 v30, 1
	v_and_b32_sdwa v30, v31, v30 dst_sel:DWORD dst_unused:UNUSED_PAD src0_sel:WORD_1 src1_sel:DWORD
	v_cndmask_b32_e32 v26, v26, v25, vcc
	v_and_b32_e32 v25, 1, v47
	v_cmp_eq_u32_e32 vcc, 1, v25
	s_nop 1
	v_cndmask_b32_e64 v56, v30, 1, vcc
.LBB109_176:
	s_or_b64 exec, exec, s[60:61]
	v_mov_b32_e32 v25, 0
	v_mov_b32_e32 v54, 2
	;; [unrolled: 1-line block ×3, first 2 shown]
	s_branch .LBB109_178
.LBB109_177:                            ;   in Loop: Header=BB109_178 Depth=1
	s_or_b64 exec, exec, s[60:61]
	v_max_i16_e32 v26, v26, v53
	v_cmp_eq_u16_sdwa vcc, v47, v25 src0_sel:BYTE_0 src1_sel:DWORD
	v_and_b32_e32 v30, 1, v47
	v_and_b32_e32 v31, 1, v31
	v_cndmask_b32_e32 v26, v53, v26, vcc
	v_cmp_eq_u32_e32 vcc, 1, v30
	v_subrev_u32_e32 v24, 64, v24
	s_nop 0
	v_cndmask_b32_e64 v56, v31, 1, vcc
.LBB109_178:                            ; =>This Loop Header: Depth=1
                                        ;     Child Loop BB109_181 Depth 2
	v_cmp_ne_u16_sdwa s[60:61], v27, v54 src0_sel:BYTE_0 src1_sel:DWORD
	v_mov_b32_e32 v47, v56
	v_mov_b32_e32 v53, v26
	v_cndmask_b32_e64 v27, 0, 1, s[60:61]
	;;#ASMSTART
	;;#ASMEND
	s_nop 0
	v_cmp_ne_u32_e32 vcc, 0, v27
	s_cmp_lg_u64 vcc, exec
	s_cbranch_scc1 .LBB109_195
; %bb.179:                              ;   in Loop: Header=BB109_178 Depth=1
	s_waitcnt lgkmcnt(0)
	v_lshl_add_u64 v[30:31], v[24:25], 3, s[56:57]
	global_load_dwordx2 v[26:27], v[30:31], off sc1
	s_waitcnt vmcnt(0)
	v_cmp_eq_u16_sdwa s[62:63], v27, v25 src0_sel:BYTE_0 src1_sel:DWORD
	s_and_saveexec_b64 s[60:61], s[62:63]
	s_cbranch_execz .LBB109_183
; %bb.180:                              ;   in Loop: Header=BB109_178 Depth=1
	s_mov_b64 s[62:63], 0
.LBB109_181:                            ;   Parent Loop BB109_178 Depth=1
                                        ; =>  This Inner Loop Header: Depth=2
	global_load_dwordx2 v[26:27], v[30:31], off sc1
	s_waitcnt vmcnt(0)
	v_cmp_ne_u16_sdwa s[68:69], v27, v25 src0_sel:BYTE_0 src1_sel:DWORD
	s_or_b64 s[62:63], s[68:69], s[62:63]
	s_andn2_b64 exec, exec, s[62:63]
	s_cbranch_execnz .LBB109_181
; %bb.182:                              ;   in Loop: Header=BB109_178 Depth=1
	s_or_b64 exec, exec, s[62:63]
.LBB109_183:                            ;   in Loop: Header=BB109_178 Depth=1
	s_or_b64 exec, exec, s[60:61]
	v_cmp_eq_u16_sdwa s[60:61], v27, v54 src0_sel:BYTE_0 src1_sel:DWORD
	v_and_b32_e32 v57, 0xffffff, v26
	ds_bpermute_b32 v58, v23, v57
	v_and_b32_e32 v30, s61, v29
	v_or_b32_e32 v30, 0x80000000, v30
	v_and_b32_e32 v31, s60, v28
	v_ffbl_b32_e32 v30, v30
	v_add_u32_e32 v30, 32, v30
	v_ffbl_b32_e32 v31, v31
	v_min_u32_e32 v30, v31, v30
	v_lshrrev_b32_e32 v31, 16, v26
	v_cmp_le_u32_e32 vcc, v38, v30
	v_bfe_u32 v56, v26, 16, 8
	s_and_saveexec_b64 s[60:61], vcc
	s_cbranch_execz .LBB109_185
; %bb.184:                              ;   in Loop: Header=BB109_178 Depth=1
	v_and_b32_e32 v31, 0xff0000, v26
	s_waitcnt lgkmcnt(0)
	v_max_i16_e32 v56, v58, v26
	v_cmp_eq_u32_e32 vcc, 0, v31
	v_and_b32_e32 v31, 0x10000, v31
	s_nop 0
	v_cndmask_b32_e32 v26, v26, v56, vcc
	v_and_b32_sdwa v56, v58, v55 dst_sel:DWORD dst_unused:UNUSED_PAD src0_sel:WORD_1 src1_sel:DWORD
	v_cmp_ne_u32_e32 vcc, 0, v31
	s_nop 1
	v_cndmask_b32_e64 v31, v56, 1, vcc
	v_lshlrev_b32_e32 v56, 16, v31
	v_or_b32_sdwa v57, v56, v26 dst_sel:DWORD dst_unused:UNUSED_PAD src0_sel:DWORD src1_sel:WORD_0
	v_mov_b32_e32 v56, v31
.LBB109_185:                            ;   in Loop: Header=BB109_178 Depth=1
	s_or_b64 exec, exec, s[60:61]
	s_waitcnt lgkmcnt(0)
	ds_bpermute_b32 v58, v39, v57
	v_cmp_le_u32_e32 vcc, v40, v30
	s_and_saveexec_b64 s[60:61], vcc
	s_cbranch_execz .LBB109_187
; %bb.186:                              ;   in Loop: Header=BB109_178 Depth=1
	s_waitcnt lgkmcnt(0)
	v_max_i16_e32 v31, v58, v26
	v_cmp_eq_u16_e32 vcc, 0, v56
	s_nop 1
	v_cndmask_b32_e32 v26, v26, v31, vcc
	v_and_b32_e32 v31, 1, v56
	v_and_b32_sdwa v56, v58, v55 dst_sel:DWORD dst_unused:UNUSED_PAD src0_sel:WORD_1 src1_sel:DWORD
	v_cmp_eq_u32_e32 vcc, 1, v31
	s_nop 1
	v_cndmask_b32_e64 v31, v56, 1, vcc
	v_lshlrev_b32_e32 v56, 16, v31
	v_or_b32_sdwa v57, v56, v26 dst_sel:DWORD dst_unused:UNUSED_PAD src0_sel:DWORD src1_sel:WORD_0
	v_mov_b32_e32 v56, v31
.LBB109_187:                            ;   in Loop: Header=BB109_178 Depth=1
	s_or_b64 exec, exec, s[60:61]
	s_waitcnt lgkmcnt(0)
	ds_bpermute_b32 v58, v41, v57
	v_cmp_le_u32_e32 vcc, v42, v30
	s_and_saveexec_b64 s[60:61], vcc
	s_cbranch_execz .LBB109_189
; %bb.188:                              ;   in Loop: Header=BB109_178 Depth=1
	s_waitcnt lgkmcnt(0)
	v_max_i16_e32 v31, v58, v26
	v_cmp_eq_u16_e32 vcc, 0, v56
	s_nop 1
	v_cndmask_b32_e32 v26, v26, v31, vcc
	v_and_b32_e32 v31, 1, v56
	v_and_b32_sdwa v56, v58, v55 dst_sel:DWORD dst_unused:UNUSED_PAD src0_sel:WORD_1 src1_sel:DWORD
	v_cmp_eq_u32_e32 vcc, 1, v31
	s_nop 1
	v_cndmask_b32_e64 v31, v56, 1, vcc
	v_lshlrev_b32_e32 v56, 16, v31
	v_or_b32_sdwa v57, v56, v26 dst_sel:DWORD dst_unused:UNUSED_PAD src0_sel:DWORD src1_sel:WORD_0
	v_mov_b32_e32 v56, v31
.LBB109_189:                            ;   in Loop: Header=BB109_178 Depth=1
	;; [unrolled: 21-line block ×4, first 2 shown]
	s_or_b64 exec, exec, s[60:61]
	ds_bpermute_b32 v57, v48, v57
	v_cmp_le_u32_e32 vcc, v49, v30
	s_and_saveexec_b64 s[60:61], vcc
	s_cbranch_execz .LBB109_177
; %bb.194:                              ;   in Loop: Header=BB109_178 Depth=1
	s_waitcnt lgkmcnt(0)
	v_max_i16_e32 v30, v57, v26
	v_cmp_eq_u16_e32 vcc, 0, v56
	v_lshrrev_b32_e32 v31, 16, v57
	s_nop 0
	v_cndmask_b32_e32 v26, v26, v30, vcc
	v_and_b32_e32 v30, 1, v56
	v_cmp_eq_u32_e32 vcc, 1, v30
	s_nop 1
	v_cndmask_b32_e64 v31, v31, 1, vcc
	s_branch .LBB109_177
.LBB109_195:                            ;   in Loop: Header=BB109_178 Depth=1
                                        ; implicit-def: $vgpr56
                                        ; implicit-def: $vgpr26
	s_cbranch_execz .LBB109_178
; %bb.196:
	s_and_saveexec_b64 s[60:61], s[50:51]
	s_cbranch_execz .LBB109_198
; %bb.197:
	v_and_b32_e32 v23, 0xff0000, v22
	v_max_i16_e32 v24, v53, v22
	v_cmp_eq_u32_e32 vcc, 0, v23
	s_mov_b32 s3, 0
	s_add_i32 s2, s2, 64
	v_cndmask_b32_e32 v23, v22, v24, vcc
	v_and_b32_e32 v22, 0x10000, v22
	v_mov_b32_e32 v24, 1
	v_and_b32_sdwa v24, v47, v24 dst_sel:WORD_1 dst_unused:UNUSED_PAD src0_sel:DWORD src1_sel:DWORD
	v_mov_b32_e32 v25, 0x10000
	v_cmp_eq_u32_e32 vcc, 0, v22
	s_lshl_b64 s[2:3], s[2:3], 3
	s_add_u32 s2, s56, s2
	v_cndmask_b32_e32 v22, v25, v24, vcc
	s_addc_u32 s3, s57, s3
	v_mov_b32_e32 v24, 0
	v_or_b32_sdwa v22, v22, v23 dst_sel:DWORD dst_unused:UNUSED_PAD src0_sel:DWORD src1_sel:WORD_0
	v_mov_b32_e32 v23, 2
	global_store_dwordx2 v24, v[22:23], s[2:3] sc1
.LBB109_198:
	s_or_b64 exec, exec, s[60:61]
	v_cmp_eq_u32_e32 vcc, 0, v0
	s_and_b64 exec, exec, vcc
	s_cbranch_execz .LBB109_200
; %bb.199:
	v_mov_b32_e32 v22, 0
	ds_write_b16 v22, v53 offset:12
	ds_write_b8 v22, v47 offset:14
.LBB109_200:
	s_or_b64 exec, exec, s[52:53]
	v_mov_b32_e32 v22, 0
	s_waitcnt lgkmcnt(0)
	s_barrier
	ds_read_b32 v23, v22 offset:12
	v_lshrrev_b32_e32 v24, 16, v37
	v_cndmask_b32_e64 v24, v24, v36, s[50:51]
	v_cndmask_b32_e64 v25, v37, v35, s[50:51]
	v_cmp_eq_u16_sdwa vcc, v24, v22 src0_sel:BYTE_0 src1_sel:DWORD
	s_waitcnt lgkmcnt(0)
	v_max_i16_e32 v26, v23, v25
	v_cndmask_b32_e32 v22, v25, v26, vcc
	v_cmp_eq_u32_e32 vcc, 0, v0
	s_nop 1
	v_cndmask_b32_e32 v24, v22, v23, vcc
	v_and_b32_e32 v22, 0xff0000, v1
	v_max_i16_e32 v23, v24, v1
	v_cmp_eq_u32_e32 vcc, 0, v22
	s_nop 1
	v_cndmask_b32_e32 v22, v1, v23, vcc
	v_max_i16_e32 v23, v22, v51
	v_cndmask_b32_e64 v23, v51, v23, s[4:5]
	v_max_i16_e32 v25, v23, v21
	v_cndmask_b32_e64 v25, v21, v25, s[6:7]
	;; [unrolled: 2-line block ×22, first 2 shown]
	s_branch .LBB109_251
.LBB109_201:
	s_or_b64 exec, exec, s[60:61]
                                        ; implicit-def: $vgpr6
	s_and_saveexec_b64 s[4:5], s[6:7]
	s_cbranch_execz .LBB109_53
.LBB109_202:
	global_load_ushort v6, v[4:5], off offset:512
	s_or_b64 exec, exec, s[4:5]
                                        ; implicit-def: $vgpr7
	s_and_saveexec_b64 s[4:5], s[8:9]
	s_cbranch_execnz .LBB109_54
.LBB109_203:
	s_or_b64 exec, exec, s[4:5]
                                        ; implicit-def: $vgpr8
	s_and_saveexec_b64 s[4:5], s[10:11]
	s_cbranch_execz .LBB109_55
.LBB109_204:
	global_load_ushort v8, v[4:5], off offset:1536
	s_or_b64 exec, exec, s[4:5]
                                        ; implicit-def: $vgpr9
	s_and_saveexec_b64 s[4:5], s[12:13]
	s_cbranch_execnz .LBB109_56
.LBB109_205:
	s_or_b64 exec, exec, s[4:5]
                                        ; implicit-def: $vgpr10
	s_and_saveexec_b64 s[4:5], s[14:15]
	s_cbranch_execz .LBB109_57
.LBB109_206:
	global_load_ushort v10, v[4:5], off offset:2560
	s_or_b64 exec, exec, s[4:5]
                                        ; implicit-def: $vgpr11
	s_and_saveexec_b64 s[4:5], s[16:17]
	s_cbranch_execnz .LBB109_58
.LBB109_207:
	s_or_b64 exec, exec, s[4:5]
                                        ; implicit-def: $vgpr12
	s_and_saveexec_b64 s[4:5], s[18:19]
	s_cbranch_execz .LBB109_59
.LBB109_208:
	global_load_ushort v12, v[4:5], off offset:3584
	s_or_b64 exec, exec, s[4:5]
                                        ; implicit-def: $vgpr13
	s_and_saveexec_b64 s[4:5], s[20:21]
	s_cbranch_execnz .LBB109_60
.LBB109_209:
	s_or_b64 exec, exec, s[4:5]
                                        ; implicit-def: $vgpr14
	s_and_saveexec_b64 s[4:5], s[22:23]
	s_cbranch_execz .LBB109_61
.LBB109_210:
	v_add_co_u32_e32 v14, vcc, 0x1000, v4
	s_nop 1
	v_addc_co_u32_e32 v15, vcc, 0, v5, vcc
	global_load_ushort v14, v[14:15], off offset:512
	s_or_b64 exec, exec, s[4:5]
                                        ; implicit-def: $vgpr15
	s_and_saveexec_b64 s[4:5], s[24:25]
	s_cbranch_execnz .LBB109_62
.LBB109_211:
	s_or_b64 exec, exec, s[4:5]
                                        ; implicit-def: $vgpr16
	s_and_saveexec_b64 s[4:5], s[26:27]
	s_cbranch_execz .LBB109_63
.LBB109_212:
	v_add_co_u32_e32 v16, vcc, 0x1000, v4
	s_nop 1
	v_addc_co_u32_e32 v17, vcc, 0, v5, vcc
	global_load_ushort v16, v[16:17], off offset:1536
	s_or_b64 exec, exec, s[4:5]
                                        ; implicit-def: $vgpr17
	s_and_saveexec_b64 s[4:5], s[28:29]
	s_cbranch_execnz .LBB109_64
.LBB109_213:
	s_or_b64 exec, exec, s[4:5]
                                        ; implicit-def: $vgpr18
	s_and_saveexec_b64 s[4:5], s[30:31]
	s_cbranch_execz .LBB109_65
.LBB109_214:
	v_add_co_u32_e32 v18, vcc, 0x1000, v4
	s_nop 1
	v_addc_co_u32_e32 v19, vcc, 0, v5, vcc
	global_load_ushort v18, v[18:19], off offset:2560
	s_or_b64 exec, exec, s[4:5]
                                        ; implicit-def: $vgpr19
	s_and_saveexec_b64 s[4:5], s[34:35]
	s_cbranch_execnz .LBB109_66
.LBB109_215:
	s_or_b64 exec, exec, s[4:5]
                                        ; implicit-def: $vgpr20
	s_and_saveexec_b64 s[4:5], s[36:37]
	s_cbranch_execz .LBB109_67
.LBB109_216:
	v_add_co_u32_e32 v20, vcc, 0x1000, v4
	s_nop 1
	v_addc_co_u32_e32 v21, vcc, 0, v5, vcc
	global_load_ushort v20, v[20:21], off offset:3584
	s_or_b64 exec, exec, s[4:5]
                                        ; implicit-def: $vgpr21
	s_and_saveexec_b64 s[4:5], s[38:39]
	s_cbranch_execnz .LBB109_68
.LBB109_217:
	s_or_b64 exec, exec, s[4:5]
                                        ; implicit-def: $vgpr46
	s_and_saveexec_b64 s[4:5], s[40:41]
	s_cbranch_execz .LBB109_69
.LBB109_218:
	v_add_co_u32_e32 v46, vcc, 0x2000, v4
	s_nop 1
	v_addc_co_u32_e32 v47, vcc, 0, v5, vcc
	global_load_ushort v46, v[46:47], off offset:512
	s_or_b64 exec, exec, s[4:5]
                                        ; implicit-def: $vgpr47
	s_and_saveexec_b64 s[4:5], s[42:43]
	s_cbranch_execnz .LBB109_70
.LBB109_219:
	s_or_b64 exec, exec, s[4:5]
                                        ; implicit-def: $vgpr49
	s_and_saveexec_b64 s[4:5], s[44:45]
	s_cbranch_execz .LBB109_71
.LBB109_220:
	v_add_co_u32_e32 v48, vcc, 0x2000, v4
	s_nop 1
	v_addc_co_u32_e32 v49, vcc, 0, v5, vcc
	global_load_ushort v49, v[48:49], off offset:1536
	s_or_b64 exec, exec, s[4:5]
                                        ; implicit-def: $vgpr51
	s_and_saveexec_b64 s[4:5], s[46:47]
	s_cbranch_execnz .LBB109_72
.LBB109_221:
	s_or_b64 exec, exec, s[4:5]
                                        ; implicit-def: $vgpr52
	s_and_saveexec_b64 s[4:5], s[48:49]
	s_cbranch_execz .LBB109_73
.LBB109_222:
	v_add_co_u32_e32 v54, vcc, 0x2000, v4
	s_nop 1
	v_addc_co_u32_e32 v55, vcc, 0, v5, vcc
	global_load_ushort v52, v[54:55], off offset:2560
	s_or_b64 exec, exec, s[4:5]
                                        ; implicit-def: $vgpr54
	s_and_saveexec_b64 s[4:5], s[50:51]
	s_cbranch_execz .LBB109_75
	s_branch .LBB109_74
.LBB109_223:
                                        ; implicit-def: $vgpr24
                                        ; implicit-def: $vgpr22
                                        ; implicit-def: $vgpr23
                                        ; implicit-def: $vgpr25
                                        ; implicit-def: $vgpr26
                                        ; implicit-def: $vgpr27
                                        ; implicit-def: $vgpr29
                                        ; implicit-def: $vgpr31
                                        ; implicit-def: $vgpr28
                                        ; implicit-def: $vgpr30
                                        ; implicit-def: $vgpr35
                                        ; implicit-def: $vgpr36
                                        ; implicit-def: $vgpr37
                                        ; implicit-def: $vgpr38
                                        ; implicit-def: $vgpr40
                                        ; implicit-def: $vgpr42
                                        ; implicit-def: $vgpr39
                                        ; implicit-def: $vgpr41
                                        ; implicit-def: $vgpr43
                                        ; implicit-def: $vgpr44
                                        ; implicit-def: $vgpr45
                                        ; implicit-def: $vgpr46
                                        ; implicit-def: $vgpr47
                                        ; implicit-def: $vgpr48
	s_cbranch_execz .LBB109_251
; %bb.224:
	s_cmp_eq_u64 s[66:67], 0
	v_mov_b32_e32 v48, s76
	s_cbranch_scc1 .LBB109_226
; %bb.225:
	v_mov_b32_e32 v22, 0
	global_load_ushort v48, v22, s[66:67]
.LBB109_226:
	s_mov_b32 s2, 0x10000
	v_cmp_gt_u32_e32 vcc, s2, v51
	v_cmp_gt_u32_e64 s[4:5], s2, v21
	v_cmp_gt_u32_e64 s[6:7], s2, v20
	v_cndmask_b32_e32 v22, v51, v34, vcc
	v_max_i16_e32 v22, v22, v21
	v_cndmask_b32_e64 v22, v21, v22, s[4:5]
	v_max_i16_e32 v22, v22, v20
	v_cndmask_b32_e64 v22, v20, v22, s[6:7]
	v_max_i16_e32 v22, v22, v19
	v_cmp_gt_u32_e64 s[8:9], s2, v19
	v_cmp_gt_u32_e64 s[10:11], s2, v18
	v_cmp_gt_u32_e64 s[12:13], s2, v52
	v_cndmask_b32_e64 v22, v19, v22, s[8:9]
	v_max_i16_e32 v22, v22, v18
	v_cndmask_b32_e64 v22, v18, v22, s[10:11]
	v_max_i16_e32 v22, v22, v52
	v_cndmask_b32_e64 v22, v52, v22, s[12:13]
	v_max_i16_e32 v22, v22, v9
	v_cmp_gt_u32_e64 s[14:15], s2, v9
	v_cmp_gt_u32_e64 s[18:19], s2, v8
	v_cmp_gt_u32_e64 s[20:21], s2, v7
	v_cndmask_b32_e64 v22, v9, v22, s[14:15]
	v_max_i16_e32 v22, v22, v8
	v_cndmask_b32_e64 v22, v8, v22, s[18:19]
	v_max_i16_e32 v22, v22, v7
	v_cndmask_b32_e64 v22, v7, v22, s[20:21]
	v_max_i16_e32 v22, v22, v6
	v_cmp_gt_u32_e64 s[22:23], s2, v6
	v_cmp_gt_u32_e64 s[24:25], s2, v5
	v_cmp_gt_u32_e64 s[26:27], s2, v4
	v_cndmask_b32_e64 v22, v6, v22, s[22:23]
	v_max_i16_e32 v22, v22, v5
	v_cndmask_b32_e64 v22, v5, v22, s[24:25]
	v_max_i16_e32 v22, v22, v4
	v_cndmask_b32_e64 v22, v4, v22, s[26:27]
	v_max_i16_e32 v22, v22, v3
	v_cmp_gt_u32_e64 s[28:29], s2, v3
	v_cmp_gt_u32_e64 s[30:31], s2, v2
	v_cmp_gt_u32_e64 s[34:35], s2, v10
	v_cndmask_b32_e64 v22, v3, v22, s[28:29]
	v_max_i16_e32 v22, v22, v2
	v_cndmask_b32_e64 v22, v2, v22, s[30:31]
	v_max_i16_e32 v22, v22, v10
	v_cndmask_b32_e64 v22, v10, v22, s[34:35]
	v_max_i16_e32 v22, v22, v11
	v_cmp_gt_u32_e64 s[36:37], s2, v11
	v_cmp_gt_u32_e64 s[38:39], s2, v12
	v_cmp_gt_u32_e64 s[40:41], s2, v13
	v_cndmask_b32_e64 v22, v11, v22, s[36:37]
	v_max_i16_e32 v22, v22, v12
	v_cndmask_b32_e64 v22, v12, v22, s[38:39]
	v_max_i16_e32 v22, v22, v13
	v_cndmask_b32_e64 v22, v13, v22, s[40:41]
	v_max_i16_e32 v22, v22, v14
	v_cmp_gt_u32_e64 s[42:43], s2, v14
	v_and_b32_e32 v23, 0x10000, v51
	v_cmp_gt_u32_e64 s[44:45], s2, v15
	v_cndmask_b32_e64 v22, v14, v22, s[42:43]
	v_max_i16_e32 v22, v22, v15
	v_cmp_ne_u32_e64 s[48:49], 0, v23
	v_bfe_u32 v23, v19, 16, 1
	v_mov_b32_e32 v25, 1
	v_cndmask_b32_e64 v22, v15, v22, s[44:45]
	v_lshlrev_b16_e32 v23, 1, v23
	v_and_b32_sdwa v27, v18, v25 dst_sel:DWORD dst_unused:UNUSED_PAD src0_sel:WORD_1 src1_sel:DWORD
	v_max_i16_e32 v22, v22, v16
	v_cmp_gt_u32_e64 s[46:47], s2, v16
	v_or_b32_e32 v23, v27, v23
	v_bfe_u32 v27, v21, 16, 1
	v_and_b32_sdwa v28, v20, v25 dst_sel:DWORD dst_unused:UNUSED_PAD src0_sel:WORD_1 src1_sel:DWORD
	v_cndmask_b32_e64 v22, v16, v22, s[46:47]
	v_lshlrev_b16_e32 v27, 3, v27
	v_lshlrev_b16_e32 v28, 2, v28
	v_max_i16_e32 v22, v22, v17
	v_cmp_gt_u32_e64 s[16:17], s2, v17
	v_or_b32_e32 v27, v27, v28
	v_or_b32_e32 v27, v23, v27
	v_cndmask_b32_e64 v22, v17, v22, s[16:17]
	v_and_b32_e32 v23, 0x10000, v52
	v_max_i16_e32 v22, v22, v33
	v_cmp_gt_u32_e64 s[2:3], s2, v33
	v_cmp_ne_u32_e64 s[50:51], 0, v23
	v_or_b32_e32 v28, v17, v9
	v_cndmask_b32_e64 v23, v33, v22, s[2:3]
	v_and_b32_e32 v22, 0x10000, v33
	v_cmp_ne_u32_e64 s[2:3], 0, v22
	v_or_b32_e32 v22, v16, v8
	v_or_b32_e32 v30, v15, v7
	;; [unrolled: 1-line block ×6, first 2 shown]
	v_bfe_u32 v30, v30, 16, 1
	v_bfe_u32 v28, v28, 16, 1
	v_and_b32_sdwa v22, v22, v25 dst_sel:DWORD dst_unused:UNUSED_PAD src0_sel:WORD_1 src1_sel:DWORD
	v_or_b32_e32 v34, v10, v2
	v_bfe_u32 v35, v35, 16, 1
	v_bfe_u32 v33, v33, 16, 1
	v_and_b32_sdwa v31, v31, v25 dst_sel:DWORD dst_unused:UNUSED_PAD src0_sel:WORD_1 src1_sel:DWORD
	v_lshlrev_b16_e32 v30, 1, v30
	v_and_b32_sdwa v29, v29, v25 dst_sel:DWORD dst_unused:UNUSED_PAD src0_sel:WORD_1 src1_sel:DWORD
	v_lshlrev_b16_e32 v28, 3, v28
	v_lshlrev_b16_e32 v22, 2, v22
	;; [unrolled: 1-line block ×3, first 2 shown]
	v_and_b32_sdwa v34, v34, v25 dst_sel:DWORD dst_unused:UNUSED_PAD src0_sel:WORD_1 src1_sel:DWORD
	v_lshlrev_b16_e32 v33, 3, v33
	v_lshlrev_b16_e32 v31, 2, v31
	v_or_b32_e32 v29, v29, v30
	v_or_b32_e32 v22, v28, v22
	v_or_b32_e32 v34, v34, v35
	v_or_b32_e32 v31, v33, v31
	v_or_b32_e32 v22, v29, v22
	v_or_b32_e32 v31, v34, v31
	v_lshlrev_b16_e32 v22, 4, v22
	v_or_b32_e32 v22, v31, v22
	v_or_b32_e32 v22, v22, v27
	v_mov_b32_e32 v27, 0
	v_cmp_ne_u16_sdwa s[52:53], v22, v27 src0_sel:BYTE_0 src1_sel:DWORD
	s_or_b64 s[2:3], s[2:3], s[52:53]
	s_or_b64 s[2:3], s[2:3], s[50:51]
	v_mov_b32_e32 v24, 0x10000
	v_and_b32_e32 v26, 0x10000, v1
	s_or_b64 s[2:3], s[2:3], s[48:49]
	v_cndmask_b32_e64 v27, v26, v24, s[2:3]
	v_mbcnt_hi_u32_b32 v22, -1, v32
	v_and_b32_e32 v28, 15, v22
	v_or_b32_sdwa v26, v27, v23 dst_sel:DWORD dst_unused:UNUSED_PAD src0_sel:DWORD src1_sel:WORD_0
	v_lshrrev_b32_e32 v24, 16, v27
	v_cmp_ne_u32_e64 s[2:3], 0, v28
	v_mov_b32_dpp v29, v26 row_shr:1 row_mask:0xf bank_mask:0xf
	s_and_saveexec_b64 s[48:49], s[2:3]
; %bb.227:
	v_and_b32_e32 v24, 0x10000, v27
	v_and_b32_sdwa v25, v29, v25 dst_sel:DWORD dst_unused:UNUSED_PAD src0_sel:WORD_1 src1_sel:DWORD
	v_cmp_ne_u32_e64 s[2:3], 0, v24
	s_nop 1
	v_cndmask_b32_e64 v24, v25, 1, s[2:3]
	v_max_i16_e32 v25, v29, v23
	v_cmp_eq_u32_e64 s[2:3], 0, v27
	s_nop 1
	v_cndmask_b32_e64 v23, v23, v25, s[2:3]
	v_lshlrev_b32_e32 v25, 16, v24
	v_or_b32_sdwa v26, v25, v23 dst_sel:DWORD dst_unused:UNUSED_PAD src0_sel:DWORD src1_sel:WORD_0
; %bb.228:
	s_or_b64 exec, exec, s[48:49]
	v_lshrrev_b32_e32 v27, 16, v26
	v_mov_b32_dpp v29, v26 row_shr:2 row_mask:0xf bank_mask:0xf
	v_cmp_lt_u32_e64 s[2:3], 1, v28
	v_mov_b32_e32 v25, v26
	s_and_saveexec_b64 s[48:49], s[2:3]
	s_cbranch_execz .LBB109_230
; %bb.229:
	v_and_b32_e32 v23, 0x10000, v26
	v_mov_b32_e32 v24, 1
	v_and_b32_sdwa v24, v29, v24 dst_sel:DWORD dst_unused:UNUSED_PAD src0_sel:WORD_1 src1_sel:DWORD
	v_cmp_ne_u32_e64 s[2:3], 0, v23
	v_max_i16_e32 v23, v29, v26
	s_nop 0
	v_cndmask_b32_e64 v24, v24, 1, s[2:3]
	s_mov_b32 s2, 0x10000
	v_cmp_gt_u32_e64 s[2:3], s2, v26
	v_lshlrev_b32_e32 v25, 16, v24
	v_mov_b32_e32 v27, v24
	v_cndmask_b32_e64 v23, v26, v23, s[2:3]
	v_or_b32_sdwa v26, v25, v23 dst_sel:DWORD dst_unused:UNUSED_PAD src0_sel:DWORD src1_sel:WORD_0
	v_mov_b32_e32 v25, v23
.LBB109_230:
	s_or_b64 exec, exec, s[48:49]
	v_mov_b32_dpp v29, v26 row_shr:4 row_mask:0xf bank_mask:0xf
	v_cmp_lt_u32_e64 s[2:3], 3, v28
	s_and_saveexec_b64 s[48:49], s[2:3]
	s_cbranch_execz .LBB109_232
; %bb.231:
	v_and_b32_e32 v23, 1, v27
	v_mov_b32_e32 v24, 1
	v_and_b32_sdwa v24, v29, v24 dst_sel:DWORD dst_unused:UNUSED_PAD src0_sel:WORD_1 src1_sel:DWORD
	v_cmp_eq_u32_e64 s[2:3], 1, v23
	v_max_i16_e32 v23, v29, v25
	s_nop 0
	v_cndmask_b32_e64 v24, v24, 1, s[2:3]
	v_cmp_eq_u16_e64 s[2:3], 0, v27
	v_mov_b32_e32 v27, v24
	s_nop 0
	v_cndmask_b32_e64 v23, v25, v23, s[2:3]
	v_lshlrev_b32_e32 v25, 16, v24
	v_or_b32_sdwa v26, v25, v23 dst_sel:DWORD dst_unused:UNUSED_PAD src0_sel:DWORD src1_sel:WORD_0
	v_mov_b32_e32 v25, v23
.LBB109_232:
	s_or_b64 exec, exec, s[48:49]
	v_mov_b32_dpp v29, v26 row_shr:8 row_mask:0xf bank_mask:0xf
	v_cmp_lt_u32_e64 s[2:3], 7, v28
	s_and_saveexec_b64 s[48:49], s[2:3]
	s_cbranch_execz .LBB109_234
; %bb.233:
	v_and_b32_e32 v23, 1, v27
	v_mov_b32_e32 v24, 1
	v_and_b32_sdwa v24, v29, v24 dst_sel:DWORD dst_unused:UNUSED_PAD src0_sel:WORD_1 src1_sel:DWORD
	v_cmp_eq_u32_e64 s[2:3], 1, v23
	v_max_i16_e32 v23, v29, v25
	s_nop 0
	v_cndmask_b32_e64 v24, v24, 1, s[2:3]
	v_cmp_eq_u16_e64 s[2:3], 0, v27
	v_mov_b32_e32 v27, v24
	s_nop 0
	v_cndmask_b32_e64 v23, v25, v23, s[2:3]
	v_lshlrev_b32_e32 v25, 16, v24
	v_or_b32_sdwa v26, v25, v23 dst_sel:DWORD dst_unused:UNUSED_PAD src0_sel:DWORD src1_sel:WORD_0
	v_mov_b32_e32 v25, v23
.LBB109_234:
	s_or_b64 exec, exec, s[48:49]
	v_and_b32_e32 v29, 16, v22
	v_mov_b32_dpp v28, v26 row_bcast:15 row_mask:0xf bank_mask:0xf
	v_cmp_ne_u32_e64 s[2:3], 0, v29
	s_and_saveexec_b64 s[48:49], s[2:3]
	s_cbranch_execz .LBB109_236
; %bb.235:
	v_and_b32_e32 v23, 1, v27
	v_mov_b32_e32 v24, 1
	v_and_b32_sdwa v24, v28, v24 dst_sel:DWORD dst_unused:UNUSED_PAD src0_sel:WORD_1 src1_sel:DWORD
	v_cmp_eq_u32_e64 s[2:3], 1, v23
	v_max_i16_e32 v23, v28, v25
	s_nop 0
	v_cndmask_b32_e64 v24, v24, 1, s[2:3]
	v_cmp_eq_u16_e64 s[2:3], 0, v27
	v_mov_b32_e32 v27, v24
	s_nop 0
	v_cndmask_b32_e64 v23, v25, v23, s[2:3]
	v_lshlrev_b32_e32 v25, 16, v24
	v_or_b32_sdwa v26, v25, v23 dst_sel:DWORD dst_unused:UNUSED_PAD src0_sel:DWORD src1_sel:WORD_0
	v_mov_b32_e32 v25, v23
.LBB109_236:
	s_or_b64 exec, exec, s[48:49]
	v_mov_b32_dpp v26, v26 row_bcast:31 row_mask:0xf bank_mask:0xf
	v_cmp_lt_u32_e64 s[2:3], 31, v22
	s_and_saveexec_b64 s[48:49], s[2:3]
; %bb.237:
	v_and_b32_e32 v23, 1, v27
	v_mov_b32_e32 v24, 1
	v_and_b32_sdwa v24, v26, v24 dst_sel:DWORD dst_unused:UNUSED_PAD src0_sel:WORD_1 src1_sel:DWORD
	v_cmp_eq_u32_e64 s[2:3], 1, v23
	v_max_i16_e32 v23, v26, v25
	s_nop 0
	v_cndmask_b32_e64 v24, v24, 1, s[2:3]
	v_cmp_eq_u16_e64 s[2:3], 0, v27
	s_nop 1
	v_cndmask_b32_e64 v23, v25, v23, s[2:3]
; %bb.238:
	s_or_b64 exec, exec, s[48:49]
	v_or_b32_e32 v26, 63, v0
	v_lshrrev_b32_e32 v25, 6, v0
	v_cmp_eq_u32_e64 s[2:3], v26, v0
	s_and_saveexec_b64 s[48:49], s[2:3]
	s_cbranch_execz .LBB109_240
; %bb.239:
	v_lshlrev_b32_e32 v26, 2, v25
	ds_write_b16 v26, v23
	ds_write_b8 v26, v24 offset:2
.LBB109_240:
	s_or_b64 exec, exec, s[48:49]
	v_cmp_gt_u32_e64 s[2:3], 4, v0
	s_waitcnt lgkmcnt(0)
	s_barrier
	s_and_saveexec_b64 s[48:49], s[2:3]
	s_cbranch_execz .LBB109_246
; %bb.241:
	ds_read_b32 v26, v50
	v_and_b32_e32 v28, 3, v22
	v_cmp_ne_u32_e64 s[2:3], 0, v28
	s_waitcnt lgkmcnt(0)
	v_lshrrev_b32_e32 v27, 16, v26
	v_mov_b32_dpp v30, v26 row_shr:1 row_mask:0xf bank_mask:0xf
	v_mov_b32_e32 v29, v26
	s_and_saveexec_b64 s[50:51], s[2:3]
	s_cbranch_execz .LBB109_243
; %bb.242:
	v_and_b32_e32 v29, 0x10000, v26
	v_mov_b32_e32 v32, 1
	v_and_b32_sdwa v32, v30, v32 dst_sel:DWORD dst_unused:UNUSED_PAD src0_sel:WORD_1 src1_sel:DWORD
	v_cmp_ne_u32_e64 s[2:3], 0, v29
	v_mov_b32_e32 v29, 0
	v_max_i16_e32 v30, v30, v26
	v_cndmask_b32_e64 v32, v32, 1, s[2:3]
	v_cmp_eq_u16_sdwa s[2:3], v27, v29 src0_sel:BYTE_0 src1_sel:DWORD
	v_and_b32_e32 v31, 0xff000000, v26
	s_nop 0
	v_cndmask_b32_e64 v29, v26, v30, s[2:3]
	v_lshlrev_b32_e32 v26, 16, v32
	v_and_b32_e32 v27, 0xffff, v29
	v_or3_b32 v26, v26, v31, v27
	v_mov_b32_e32 v27, v32
.LBB109_243:
	s_or_b64 exec, exec, s[50:51]
	v_mov_b32_dpp v30, v26 row_shr:2 row_mask:0xf bank_mask:0xf
	v_cmp_lt_u32_e64 s[2:3], 1, v28
	s_and_saveexec_b64 s[50:51], s[2:3]
; %bb.244:
	v_and_b32_e32 v27, 0x10000, v26
	v_mov_b32_e32 v28, 1
	v_and_b32_sdwa v28, v30, v28 dst_sel:DWORD dst_unused:UNUSED_PAD src0_sel:WORD_1 src1_sel:DWORD
	v_cmp_eq_u32_e64 s[2:3], 0, v27
	v_max_i16_e32 v29, v30, v26
	s_nop 0
	v_cndmask_b32_e64 v27, 1, v28, s[2:3]
	v_and_b32_e32 v28, 0xff0000, v26
	v_cmp_eq_u32_e64 s[2:3], 0, v28
	s_nop 1
	v_cndmask_b32_e64 v29, v26, v29, s[2:3]
; %bb.245:
	s_or_b64 exec, exec, s[50:51]
	ds_write_b16 v50, v29
	ds_write_b8 v50, v27 offset:2
.LBB109_246:
	s_or_b64 exec, exec, s[48:49]
	v_cmp_lt_u32_e64 s[2:3], 63, v0
	v_mov_b32_e32 v27, 0
	s_waitcnt vmcnt(0)
	v_mov_b32_e32 v26, v48
	s_waitcnt lgkmcnt(0)
	s_barrier
	s_and_saveexec_b64 s[48:49], s[2:3]
	s_cbranch_execz .LBB109_248
; %bb.247:
	v_lshl_add_u32 v25, v25, 2, -4
	ds_read_u16 v26, v25
	ds_read_u8 v27, v25 offset:2
	s_waitcnt lgkmcnt(1)
	v_max_i16_e32 v25, v48, v26
	s_waitcnt lgkmcnt(0)
	v_cmp_eq_u16_e64 s[2:3], 0, v27
	s_nop 1
	v_cndmask_b32_e64 v26, v26, v25, s[2:3]
.LBB109_248:
	s_or_b64 exec, exec, s[48:49]
	v_max_i16_e32 v25, v26, v23
	v_cmp_eq_u16_e64 s[2:3], 0, v24
	v_and_b32_e32 v24, 1, v24
	s_nop 0
	v_cndmask_b32_e64 v23, v23, v25, s[2:3]
	v_lshlrev_b32_e32 v25, 16, v27
	v_mov_b32_e32 v27, 0x10000
	v_cmp_eq_u32_e64 s[2:3], 1, v24
	s_nop 1
	v_cndmask_b32_e64 v24, v25, v27, s[2:3]
	v_or_b32_sdwa v23, v24, v23 dst_sel:DWORD dst_unused:UNUSED_PAD src0_sel:DWORD src1_sel:WORD_0
	v_add_u32_e32 v24, -1, v22
	v_and_b32_e32 v25, 64, v22
	v_cmp_lt_i32_e64 s[2:3], v24, v25
	s_nop 1
	v_cndmask_b32_e64 v24, v24, v22, s[2:3]
	v_lshlrev_b32_e32 v24, 2, v24
	ds_bpermute_b32 v23, v24, v23
	v_cmp_eq_u32_e64 s[2:3], 0, v22
	s_waitcnt lgkmcnt(0)
	s_nop 0
	v_cndmask_b32_e64 v24, v23, v26, s[2:3]
	v_cmp_eq_u32_e64 s[2:3], 0, v0
	v_and_b32_e32 v23, 0xff0000, v1
	v_cmp_eq_u32_e64 s[48:49], 0, v23
	v_cndmask_b32_e64 v22, v24, v48, s[2:3]
	v_max_i16_e32 v22, v22, v1
	v_cndmask_b32_e64 v22, v1, v22, s[48:49]
	v_max_i16_e32 v1, v22, v51
	v_cndmask_b32_e32 v23, v51, v1, vcc
	v_max_i16_e32 v1, v23, v21
	v_cndmask_b32_e64 v25, v21, v1, s[4:5]
	v_max_i16_e32 v1, v25, v20
	v_cndmask_b32_e64 v26, v20, v1, s[6:7]
	;; [unrolled: 2-line block ×20, first 2 shown]
	v_max_i16_e32 v1, v47, v17
	s_and_saveexec_b64 s[4:5], s[2:3]
	s_cbranch_execz .LBB109_250
; %bb.249:
	v_mov_b32_e32 v4, 0
	ds_read_u8 v2, v4 offset:14
	ds_read_u16 v5, v4 offset:12
	v_mov_b32_e32 v3, 2
	v_mov_b32_e32 v24, v48
	s_waitcnt lgkmcnt(1)
	v_cmp_eq_u32_e32 vcc, 0, v2
	s_waitcnt lgkmcnt(0)
	v_max_i16_e32 v7, v48, v5
	v_lshlrev_b32_e32 v6, 16, v2
	v_cndmask_b32_e32 v2, v5, v7, vcc
	v_or_b32_sdwa v2, v6, v2 dst_sel:DWORD dst_unused:UNUSED_PAD src0_sel:DWORD src1_sel:WORD_0
	global_store_dwordx2 v4, v[2:3], s[56:57] offset:512 sc1
.LBB109_250:
	s_or_b64 exec, exec, s[4:5]
	v_cndmask_b32_e64 v48, v17, v1, s[16:17]
.LBB109_251:
	s_load_dwordx2 s[0:1], s[0:1], 0x18
	v_mul_u32_u24_e32 v1, 24, v0
	v_lshlrev_b32_e32 v5, 1, v1
	s_waitcnt lgkmcnt(0)
	s_add_u32 s0, s0, s64
	s_addc_u32 s1, s1, s65
	s_and_b64 vcc, exec, s[54:55]
	s_cbranch_vccz .LBB109_299
; %bb.252:
	s_mov_b32 s2, 0x5040100
	v_perm_b32 v9, v31, v29, s2
	v_perm_b32 v8, v27, v26, s2
	;; [unrolled: 1-line block ×4, first 2 shown]
	s_barrier
	ds_write_b128 v5, v[6:9]
	v_perm_b32 v9, v42, v40, s2
	v_perm_b32 v8, v38, v37, s2
	;; [unrolled: 1-line block ×4, first 2 shown]
	ds_write_b128 v5, v[6:9] offset:16
	v_perm_b32 v9, v48, v47, s2
	v_perm_b32 v8, v46, v45, s2
	v_perm_b32 v7, v44, v43, s2
	v_perm_b32 v6, v41, v39, s2
	s_movk_i32 s2, 0xffd2
	v_mad_i32_i24 v2, v0, s2, v5
	ds_write_b128 v5, v[6:9] offset:32
	s_waitcnt lgkmcnt(0)
	s_barrier
	ds_read_u16 v52, v2 offset:512
	ds_read_u16 v49, v2 offset:1024
	;; [unrolled: 1-line block ×23, first 2 shown]
	s_add_i32 s33, s33, s58
	v_mov_b32_e32 v51, 0
	v_lshl_add_u64 v[2:3], s[0:1], 0, v[50:51]
	v_cmp_gt_u32_e32 vcc, s33, v0
	s_and_saveexec_b64 s[2:3], vcc
	s_cbranch_execz .LBB109_254
; %bb.253:
	v_mul_i32_i24_e32 v53, 0xffffffd2, v0
	v_add_u32_e32 v53, v5, v53
	ds_read_i16 v53, v53
	s_waitcnt lgkmcnt(0)
	v_cvt_f32_i32_e32 v53, v53
	global_store_dword v[2:3], v53, off
.LBB109_254:
	s_or_b64 exec, exec, s[2:3]
	v_or_b32_e32 v53, 0x100, v0
	v_cmp_gt_u32_e32 vcc, s33, v53
	s_and_saveexec_b64 s[2:3], vcc
	s_cbranch_execz .LBB109_256
; %bb.255:
	s_waitcnt lgkmcnt(14)
	v_cvt_f32_i32_sdwa v52, sext(v52) dst_sel:DWORD dst_unused:UNUSED_PAD src0_sel:WORD_0
	global_store_dword v[2:3], v52, off offset:1024
.LBB109_256:
	s_or_b64 exec, exec, s[2:3]
	s_waitcnt lgkmcnt(14)
	v_or_b32_e32 v52, 0x200, v0
	v_cmp_gt_u32_e32 vcc, s33, v52
	s_and_saveexec_b64 s[2:3], vcc
	s_cbranch_execz .LBB109_258
; %bb.257:
	v_cvt_f32_i32_sdwa v49, sext(v49) dst_sel:DWORD dst_unused:UNUSED_PAD src0_sel:WORD_0
	global_store_dword v[2:3], v49, off offset:2048
.LBB109_258:
	s_or_b64 exec, exec, s[2:3]
	v_or_b32_e32 v49, 0x300, v0
	v_cmp_gt_u32_e32 vcc, s33, v49
	s_and_saveexec_b64 s[2:3], vcc
	s_cbranch_execz .LBB109_260
; %bb.259:
	v_cvt_f32_i32_sdwa v34, sext(v34) dst_sel:DWORD dst_unused:UNUSED_PAD src0_sel:WORD_0
	global_store_dword v[2:3], v34, off offset:3072
.LBB109_260:
	s_or_b64 exec, exec, s[2:3]
	v_or_b32_e32 v34, 0x400, v0
	v_cmp_gt_u32_e32 vcc, s33, v34
	s_and_saveexec_b64 s[2:3], vcc
	s_cbranch_execz .LBB109_262
; %bb.261:
	v_cvt_f32_i32_sdwa v33, sext(v33) dst_sel:DWORD dst_unused:UNUSED_PAD src0_sel:WORD_0
	v_add_co_u32_e32 v52, vcc, 0x1000, v2
	s_nop 1
	v_addc_co_u32_e32 v53, vcc, 0, v3, vcc
	global_store_dword v[52:53], v33, off
.LBB109_262:
	s_or_b64 exec, exec, s[2:3]
	v_or_b32_e32 v33, 0x500, v0
	v_cmp_gt_u32_e32 vcc, s33, v33
	s_and_saveexec_b64 s[2:3], vcc
	s_cbranch_execz .LBB109_264
; %bb.263:
	v_cvt_f32_i32_sdwa v34, sext(v32) dst_sel:DWORD dst_unused:UNUSED_PAD src0_sel:WORD_0
	v_add_co_u32_e32 v32, vcc, 0x1000, v2
	s_nop 1
	v_addc_co_u32_e32 v33, vcc, 0, v3, vcc
	global_store_dword v[32:33], v34, off offset:1024
.LBB109_264:
	s_or_b64 exec, exec, s[2:3]
	v_or_b32_e32 v32, 0x600, v0
	v_cmp_gt_u32_e32 vcc, s33, v32
	s_and_saveexec_b64 s[2:3], vcc
	s_cbranch_execz .LBB109_266
; %bb.265:
	v_cvt_f32_i32_sdwa v21, sext(v21) dst_sel:DWORD dst_unused:UNUSED_PAD src0_sel:WORD_0
	v_add_co_u32_e32 v32, vcc, 0x1000, v2
	s_nop 1
	v_addc_co_u32_e32 v33, vcc, 0, v3, vcc
	global_store_dword v[32:33], v21, off offset:2048
.LBB109_266:
	;; [unrolled: 12-line block ×3, first 2 shown]
	s_or_b64 exec, exec, s[2:3]
	v_or_b32_e32 v20, 0x800, v0
	v_cmp_gt_u32_e32 vcc, s33, v20
	s_and_saveexec_b64 s[2:3], vcc
	s_cbranch_execz .LBB109_270
; %bb.269:
	v_cvt_f32_i32_sdwa v19, sext(v19) dst_sel:DWORD dst_unused:UNUSED_PAD src0_sel:WORD_0
	v_add_co_u32_e32 v20, vcc, 0x2000, v2
	s_nop 1
	v_addc_co_u32_e32 v21, vcc, 0, v3, vcc
	global_store_dword v[20:21], v19, off
.LBB109_270:
	s_or_b64 exec, exec, s[2:3]
	v_or_b32_e32 v19, 0x900, v0
	v_cmp_gt_u32_e32 vcc, s33, v19
	s_and_saveexec_b64 s[2:3], vcc
	s_cbranch_execz .LBB109_272
; %bb.271:
	v_cvt_f32_i32_sdwa v20, sext(v18) dst_sel:DWORD dst_unused:UNUSED_PAD src0_sel:WORD_0
	v_add_co_u32_e32 v18, vcc, 0x2000, v2
	s_nop 1
	v_addc_co_u32_e32 v19, vcc, 0, v3, vcc
	global_store_dword v[18:19], v20, off offset:1024
.LBB109_272:
	s_or_b64 exec, exec, s[2:3]
	v_or_b32_e32 v18, 0xa00, v0
	v_cmp_gt_u32_e32 vcc, s33, v18
	s_and_saveexec_b64 s[2:3], vcc
	s_cbranch_execz .LBB109_274
; %bb.273:
	s_waitcnt lgkmcnt(13)
	v_cvt_f32_i32_sdwa v17, sext(v17) dst_sel:DWORD dst_unused:UNUSED_PAD src0_sel:WORD_0
	v_add_co_u32_e32 v18, vcc, 0x2000, v2
	s_nop 1
	v_addc_co_u32_e32 v19, vcc, 0, v3, vcc
	global_store_dword v[18:19], v17, off offset:2048
.LBB109_274:
	s_or_b64 exec, exec, s[2:3]
	s_waitcnt lgkmcnt(13)
	v_or_b32_e32 v17, 0xb00, v0
	v_cmp_gt_u32_e32 vcc, s33, v17
	s_and_saveexec_b64 s[2:3], vcc
	s_cbranch_execz .LBB109_276
; %bb.275:
	s_waitcnt lgkmcnt(12)
	v_cvt_f32_i32_sdwa v18, sext(v16) dst_sel:DWORD dst_unused:UNUSED_PAD src0_sel:WORD_0
	v_add_co_u32_e32 v16, vcc, 0x2000, v2
	s_nop 1
	v_addc_co_u32_e32 v17, vcc, 0, v3, vcc
	global_store_dword v[16:17], v18, off offset:3072
.LBB109_276:
	s_or_b64 exec, exec, s[2:3]
	s_waitcnt lgkmcnt(12)
	v_or_b32_e32 v16, 0xc00, v0
	v_cmp_gt_u32_e32 vcc, s33, v16
	s_and_saveexec_b64 s[2:3], vcc
	s_cbranch_execz .LBB109_278
; %bb.277:
	s_waitcnt lgkmcnt(11)
	v_cvt_f32_i32_sdwa v15, sext(v15) dst_sel:DWORD dst_unused:UNUSED_PAD src0_sel:WORD_0
	v_add_co_u32_e32 v16, vcc, 0x3000, v2
	s_nop 1
	v_addc_co_u32_e32 v17, vcc, 0, v3, vcc
	global_store_dword v[16:17], v15, off
.LBB109_278:
	s_or_b64 exec, exec, s[2:3]
	s_waitcnt lgkmcnt(11)
	v_or_b32_e32 v15, 0xd00, v0
	v_cmp_gt_u32_e32 vcc, s33, v15
	s_and_saveexec_b64 s[2:3], vcc
	s_cbranch_execz .LBB109_280
; %bb.279:
	s_waitcnt lgkmcnt(10)
	v_cvt_f32_i32_sdwa v16, sext(v14) dst_sel:DWORD dst_unused:UNUSED_PAD src0_sel:WORD_0
	v_add_co_u32_e32 v14, vcc, 0x3000, v2
	s_nop 1
	v_addc_co_u32_e32 v15, vcc, 0, v3, vcc
	global_store_dword v[14:15], v16, off offset:1024
.LBB109_280:
	s_or_b64 exec, exec, s[2:3]
	s_waitcnt lgkmcnt(10)
	v_or_b32_e32 v14, 0xe00, v0
	v_cmp_gt_u32_e32 vcc, s33, v14
	s_and_saveexec_b64 s[2:3], vcc
	s_cbranch_execz .LBB109_282
; %bb.281:
	s_waitcnt lgkmcnt(9)
	v_cvt_f32_i32_sdwa v13, sext(v13) dst_sel:DWORD dst_unused:UNUSED_PAD src0_sel:WORD_0
	v_add_co_u32_e32 v14, vcc, 0x3000, v2
	s_nop 1
	v_addc_co_u32_e32 v15, vcc, 0, v3, vcc
	global_store_dword v[14:15], v13, off offset:2048
.LBB109_282:
	s_or_b64 exec, exec, s[2:3]
	s_waitcnt lgkmcnt(9)
	v_or_b32_e32 v13, 0xf00, v0
	v_cmp_gt_u32_e32 vcc, s33, v13
	s_and_saveexec_b64 s[2:3], vcc
	s_cbranch_execz .LBB109_284
; %bb.283:
	s_waitcnt lgkmcnt(8)
	v_cvt_f32_i32_sdwa v14, sext(v12) dst_sel:DWORD dst_unused:UNUSED_PAD src0_sel:WORD_0
	v_add_co_u32_e32 v12, vcc, 0x3000, v2
	s_nop 1
	v_addc_co_u32_e32 v13, vcc, 0, v3, vcc
	global_store_dword v[12:13], v14, off offset:3072
.LBB109_284:
	s_or_b64 exec, exec, s[2:3]
	s_waitcnt lgkmcnt(8)
	v_or_b32_e32 v12, 0x1000, v0
	v_cmp_gt_u32_e32 vcc, s33, v12
	s_and_saveexec_b64 s[2:3], vcc
	s_cbranch_execz .LBB109_286
; %bb.285:
	s_waitcnt lgkmcnt(7)
	v_cvt_f32_i32_sdwa v11, sext(v11) dst_sel:DWORD dst_unused:UNUSED_PAD src0_sel:WORD_0
	v_add_co_u32_e32 v12, vcc, 0x4000, v2
	s_nop 1
	v_addc_co_u32_e32 v13, vcc, 0, v3, vcc
	global_store_dword v[12:13], v11, off
.LBB109_286:
	s_or_b64 exec, exec, s[2:3]
	s_waitcnt lgkmcnt(7)
	v_or_b32_e32 v11, 0x1100, v0
	v_cmp_gt_u32_e32 vcc, s33, v11
	s_and_saveexec_b64 s[2:3], vcc
	s_cbranch_execz .LBB109_288
; %bb.287:
	s_waitcnt lgkmcnt(6)
	v_cvt_f32_i32_sdwa v12, sext(v10) dst_sel:DWORD dst_unused:UNUSED_PAD src0_sel:WORD_0
	v_add_co_u32_e32 v10, vcc, 0x4000, v2
	s_nop 1
	v_addc_co_u32_e32 v11, vcc, 0, v3, vcc
	global_store_dword v[10:11], v12, off offset:1024
.LBB109_288:
	s_or_b64 exec, exec, s[2:3]
	s_waitcnt lgkmcnt(6)
	;; [unrolled: 56-line block ×3, first 2 shown]
	v_or_b32_e32 v6, 0x1600, v0
	v_cmp_gt_u32_e32 vcc, s33, v6
	s_and_saveexec_b64 s[2:3], vcc
	s_cbranch_execz .LBB109_298
; %bb.297:
	s_waitcnt lgkmcnt(1)
	v_cvt_f32_i32_sdwa v1, sext(v1) dst_sel:DWORD dst_unused:UNUSED_PAD src0_sel:WORD_0
	v_add_co_u32_e32 v2, vcc, 0x5000, v2
	s_nop 1
	v_addc_co_u32_e32 v3, vcc, 0, v3, vcc
	global_store_dword v[2:3], v1, off offset:2048
.LBB109_298:
	s_or_b64 exec, exec, s[2:3]
	v_or_b32_e32 v2, 0x1700, v0
	s_waitcnt lgkmcnt(1)
	v_mov_b32_e32 v1, v51
	v_cmp_gt_u32_e64 s[2:3], s33, v2
	s_branch .LBB109_301
.LBB109_299:
	s_mov_b64 s[2:3], 0
                                        ; implicit-def: $vgpr4
	s_cbranch_execz .LBB109_301
; %bb.300:
	s_mov_b32 s4, 0x5040100
	v_perm_b32 v9, v31, v29, s4
	v_perm_b32 v8, v27, v26, s4
	;; [unrolled: 1-line block ×4, first 2 shown]
	s_waitcnt lgkmcnt(0)
	s_barrier
	ds_write_b128 v5, v[6:9]
	v_perm_b32 v9, v42, v40, s4
	v_perm_b32 v8, v38, v37, s4
	;; [unrolled: 1-line block ×4, first 2 shown]
	ds_write_b128 v5, v[6:9] offset:16
	v_perm_b32 v9, v48, v47, s4
	v_perm_b32 v8, v46, v45, s4
	;; [unrolled: 1-line block ×4, first 2 shown]
	s_movk_i32 s4, 0xffd2
	v_mad_i32_i24 v2, v0, s4, v5
	ds_write_b128 v5, v[6:9] offset:32
	s_waitcnt lgkmcnt(0)
	s_barrier
	ds_read_i16 v5, v2
	ds_read_i16 v6, v2 offset:512
	ds_read_i16 v7, v2 offset:1024
	;; [unrolled: 1-line block ×22, first 2 shown]
	ds_read_u16 v4, v2 offset:11776
	s_waitcnt lgkmcnt(14)
	v_cvt_f32_i32_e32 v5, v5
	v_mov_b32_e32 v1, 0
	v_cvt_f32_i32_e32 v6, v6
	v_mov_b32_e32 v51, v1
	v_cvt_f32_i32_e32 v7, v7
	v_lshl_add_u64 v[2:3], s[0:1], 0, v[50:51]
	v_cvt_f32_i32_e32 v8, v8
	s_movk_i32 s4, 0x1000
	global_store_dword v50, v5, s[0:1]
	global_store_dword v50, v6, s[0:1] offset:1024
	global_store_dword v50, v7, s[0:1] offset:2048
	;; [unrolled: 1-line block ×3, first 2 shown]
	v_cvt_f32_i32_e32 v5, v9
	v_add_co_u32_e32 v6, vcc, s4, v2
	s_movk_i32 s4, 0x2000
	s_nop 0
	v_addc_co_u32_e32 v7, vcc, 0, v3, vcc
	v_cvt_f32_i32_e32 v10, v10
	v_add_co_u32_e32 v8, vcc, s4, v2
	v_cvt_f32_i32_e32 v11, v11
	s_nop 0
	v_addc_co_u32_e32 v9, vcc, 0, v3, vcc
	v_cvt_f32_i32_e32 v12, v12
	global_store_dword v[8:9], v5, off offset:-4096
	global_store_dword v[6:7], v10, off offset:1024
	global_store_dword v[6:7], v11, off offset:2048
	;; [unrolled: 1-line block ×3, first 2 shown]
	v_cvt_f32_i32_e32 v5, v13
	v_cvt_f32_i32_e32 v6, v14
	s_waitcnt lgkmcnt(13)
	v_cvt_f32_i32_e32 v7, v15
	s_waitcnt lgkmcnt(12)
	v_cvt_f32_i32_e32 v10, v16
	s_movk_i32 s4, 0x3000
	global_store_dword v[8:9], v5, off
	global_store_dword v[8:9], v6, off offset:1024
	global_store_dword v[8:9], v7, off offset:2048
	;; [unrolled: 1-line block ×3, first 2 shown]
	s_waitcnt lgkmcnt(11)
	v_cvt_f32_i32_e32 v5, v17
	v_add_co_u32_e32 v6, vcc, s4, v2
	s_movk_i32 s4, 0x4000
	s_nop 0
	v_addc_co_u32_e32 v7, vcc, 0, v3, vcc
	s_waitcnt lgkmcnt(10)
	v_cvt_f32_i32_e32 v10, v18
	v_add_co_u32_e32 v8, vcc, s4, v2
	s_waitcnt lgkmcnt(9)
	v_cvt_f32_i32_e32 v11, v19
	v_addc_co_u32_e32 v9, vcc, 0, v3, vcc
	s_waitcnt lgkmcnt(8)
	v_cvt_f32_i32_e32 v12, v20
	global_store_dword v[8:9], v5, off offset:-4096
	global_store_dword v[6:7], v10, off offset:1024
	global_store_dword v[6:7], v11, off offset:2048
	;; [unrolled: 1-line block ×3, first 2 shown]
	s_waitcnt lgkmcnt(7)
	v_cvt_f32_i32_e32 v5, v21
	s_waitcnt lgkmcnt(6)
	v_cvt_f32_i32_e32 v6, v22
	;; [unrolled: 2-line block ×4, first 2 shown]
	global_store_dword v[8:9], v5, off
	global_store_dword v[8:9], v6, off offset:1024
	global_store_dword v[8:9], v7, off offset:2048
	global_store_dword v[8:9], v10, off offset:3072
	s_waitcnt lgkmcnt(3)
	v_cvt_f32_i32_e32 v5, v25
	s_waitcnt lgkmcnt(2)
	v_cvt_f32_i32_e32 v6, v26
	v_add_co_u32_e32 v2, vcc, 0x5000, v2
	s_waitcnt lgkmcnt(1)
	v_cvt_f32_i32_e32 v7, v27
	v_addc_co_u32_e32 v3, vcc, 0, v3, vcc
	s_or_b64 s[2:3], s[2:3], exec
	global_store_dword v[2:3], v5, off
	global_store_dword v[2:3], v6, off offset:1024
	global_store_dword v[2:3], v7, off offset:2048
.LBB109_301:
	s_and_saveexec_b64 s[4:5], s[2:3]
	s_cbranch_execz .LBB109_303
; %bb.302:
	s_waitcnt lgkmcnt(0)
	v_cvt_f32_i32_sdwa v2, sext(v4) dst_sel:DWORD dst_unused:UNUSED_PAD src0_sel:WORD_0
	v_lshl_add_u64 v[0:1], v[0:1], 2, s[0:1]
	v_add_co_u32_e32 v0, vcc, 0x5000, v0
	s_nop 1
	v_addc_co_u32_e32 v1, vcc, 0, v1, vcc
	global_store_dword v[0:1], v2, off offset:3072
	s_endpgm
.LBB109_303:
	s_endpgm
	.section	.rodata,"a",@progbits
	.p2align	6, 0x0
	.amdhsa_kernel _ZN7rocprim6detail25device_scan_by_key_kernelILNS0_25lookback_scan_determinismE0ELb1ENS0_26wrapped_scan_by_key_configINS_14default_configEisEEPiN6hipcub22TransformInputIteratorIsNS7_6CastOpIsEEPslEEPfsNS7_8EqualityENS7_3MaxENS0_19lookback_scan_stateINS_5tupleIJsbEEELb0ELb1EEEsEEvT2_T3_T4_T5_T6_T7_T8_mmmPKNSH_IJT9_bEEE
		.amdhsa_group_segment_fixed_size 26624
		.amdhsa_private_segment_fixed_size 0
		.amdhsa_kernarg_size 80
		.amdhsa_user_sgpr_count 2
		.amdhsa_user_sgpr_dispatch_ptr 0
		.amdhsa_user_sgpr_queue_ptr 0
		.amdhsa_user_sgpr_kernarg_segment_ptr 1
		.amdhsa_user_sgpr_dispatch_id 0
		.amdhsa_user_sgpr_kernarg_preload_length 0
		.amdhsa_user_sgpr_kernarg_preload_offset 0
		.amdhsa_user_sgpr_private_segment_size 0
		.amdhsa_uses_dynamic_stack 0
		.amdhsa_enable_private_segment 0
		.amdhsa_system_sgpr_workgroup_id_x 1
		.amdhsa_system_sgpr_workgroup_id_y 0
		.amdhsa_system_sgpr_workgroup_id_z 0
		.amdhsa_system_sgpr_workgroup_info 0
		.amdhsa_system_vgpr_workitem_id 0
		.amdhsa_next_free_vgpr 59
		.amdhsa_next_free_sgpr 88
		.amdhsa_accum_offset 60
		.amdhsa_reserve_vcc 1
		.amdhsa_float_round_mode_32 0
		.amdhsa_float_round_mode_16_64 0
		.amdhsa_float_denorm_mode_32 3
		.amdhsa_float_denorm_mode_16_64 3
		.amdhsa_dx10_clamp 1
		.amdhsa_ieee_mode 1
		.amdhsa_fp16_overflow 0
		.amdhsa_tg_split 0
		.amdhsa_exception_fp_ieee_invalid_op 0
		.amdhsa_exception_fp_denorm_src 0
		.amdhsa_exception_fp_ieee_div_zero 0
		.amdhsa_exception_fp_ieee_overflow 0
		.amdhsa_exception_fp_ieee_underflow 0
		.amdhsa_exception_fp_ieee_inexact 0
		.amdhsa_exception_int_div_zero 0
	.end_amdhsa_kernel
	.section	.text._ZN7rocprim6detail25device_scan_by_key_kernelILNS0_25lookback_scan_determinismE0ELb1ENS0_26wrapped_scan_by_key_configINS_14default_configEisEEPiN6hipcub22TransformInputIteratorIsNS7_6CastOpIsEEPslEEPfsNS7_8EqualityENS7_3MaxENS0_19lookback_scan_stateINS_5tupleIJsbEEELb0ELb1EEEsEEvT2_T3_T4_T5_T6_T7_T8_mmmPKNSH_IJT9_bEEE,"axG",@progbits,_ZN7rocprim6detail25device_scan_by_key_kernelILNS0_25lookback_scan_determinismE0ELb1ENS0_26wrapped_scan_by_key_configINS_14default_configEisEEPiN6hipcub22TransformInputIteratorIsNS7_6CastOpIsEEPslEEPfsNS7_8EqualityENS7_3MaxENS0_19lookback_scan_stateINS_5tupleIJsbEEELb0ELb1EEEsEEvT2_T3_T4_T5_T6_T7_T8_mmmPKNSH_IJT9_bEEE,comdat
.Lfunc_end109:
	.size	_ZN7rocprim6detail25device_scan_by_key_kernelILNS0_25lookback_scan_determinismE0ELb1ENS0_26wrapped_scan_by_key_configINS_14default_configEisEEPiN6hipcub22TransformInputIteratorIsNS7_6CastOpIsEEPslEEPfsNS7_8EqualityENS7_3MaxENS0_19lookback_scan_stateINS_5tupleIJsbEEELb0ELb1EEEsEEvT2_T3_T4_T5_T6_T7_T8_mmmPKNSH_IJT9_bEEE, .Lfunc_end109-_ZN7rocprim6detail25device_scan_by_key_kernelILNS0_25lookback_scan_determinismE0ELb1ENS0_26wrapped_scan_by_key_configINS_14default_configEisEEPiN6hipcub22TransformInputIteratorIsNS7_6CastOpIsEEPslEEPfsNS7_8EqualityENS7_3MaxENS0_19lookback_scan_stateINS_5tupleIJsbEEELb0ELb1EEEsEEvT2_T3_T4_T5_T6_T7_T8_mmmPKNSH_IJT9_bEEE
                                        ; -- End function
	.section	.AMDGPU.csdata,"",@progbits
; Kernel info:
; codeLenInByte = 16932
; NumSgprs: 94
; NumVgprs: 59
; NumAgprs: 0
; TotalNumVgprs: 59
; ScratchSize: 0
; MemoryBound: 0
; FloatMode: 240
; IeeeMode: 1
; LDSByteSize: 26624 bytes/workgroup (compile time only)
; SGPRBlocks: 11
; VGPRBlocks: 7
; NumSGPRsForWavesPerEU: 94
; NumVGPRsForWavesPerEU: 59
; AccumOffset: 60
; Occupancy: 2
; WaveLimiterHint : 1
; COMPUTE_PGM_RSRC2:SCRATCH_EN: 0
; COMPUTE_PGM_RSRC2:USER_SGPR: 2
; COMPUTE_PGM_RSRC2:TRAP_HANDLER: 0
; COMPUTE_PGM_RSRC2:TGID_X_EN: 1
; COMPUTE_PGM_RSRC2:TGID_Y_EN: 0
; COMPUTE_PGM_RSRC2:TGID_Z_EN: 0
; COMPUTE_PGM_RSRC2:TIDIG_COMP_CNT: 0
; COMPUTE_PGM_RSRC3_GFX90A:ACCUM_OFFSET: 14
; COMPUTE_PGM_RSRC3_GFX90A:TG_SPLIT: 0
	.section	.text._ZN7rocprim6detail25device_scan_by_key_kernelILNS0_25lookback_scan_determinismE0ELb1ENS0_26wrapped_scan_by_key_configINS_14default_configEimEEPiN6hipcub22TransformInputIteratorImNS7_6CastOpImEEPmlEESB_mNS7_8EqualityENS7_3SumENS0_19lookback_scan_stateINS_5tupleIJmbEEELb1ELb0EEEmEEvT2_T3_T4_T5_T6_T7_T8_mmmPKNSG_IJT9_bEEE,"axG",@progbits,_ZN7rocprim6detail25device_scan_by_key_kernelILNS0_25lookback_scan_determinismE0ELb1ENS0_26wrapped_scan_by_key_configINS_14default_configEimEEPiN6hipcub22TransformInputIteratorImNS7_6CastOpImEEPmlEESB_mNS7_8EqualityENS7_3SumENS0_19lookback_scan_stateINS_5tupleIJmbEEELb1ELb0EEEmEEvT2_T3_T4_T5_T6_T7_T8_mmmPKNSG_IJT9_bEEE,comdat
	.protected	_ZN7rocprim6detail25device_scan_by_key_kernelILNS0_25lookback_scan_determinismE0ELb1ENS0_26wrapped_scan_by_key_configINS_14default_configEimEEPiN6hipcub22TransformInputIteratorImNS7_6CastOpImEEPmlEESB_mNS7_8EqualityENS7_3SumENS0_19lookback_scan_stateINS_5tupleIJmbEEELb1ELb0EEEmEEvT2_T3_T4_T5_T6_T7_T8_mmmPKNSG_IJT9_bEEE ; -- Begin function _ZN7rocprim6detail25device_scan_by_key_kernelILNS0_25lookback_scan_determinismE0ELb1ENS0_26wrapped_scan_by_key_configINS_14default_configEimEEPiN6hipcub22TransformInputIteratorImNS7_6CastOpImEEPmlEESB_mNS7_8EqualityENS7_3SumENS0_19lookback_scan_stateINS_5tupleIJmbEEELb1ELb0EEEmEEvT2_T3_T4_T5_T6_T7_T8_mmmPKNSG_IJT9_bEEE
	.globl	_ZN7rocprim6detail25device_scan_by_key_kernelILNS0_25lookback_scan_determinismE0ELb1ENS0_26wrapped_scan_by_key_configINS_14default_configEimEEPiN6hipcub22TransformInputIteratorImNS7_6CastOpImEEPmlEESB_mNS7_8EqualityENS7_3SumENS0_19lookback_scan_stateINS_5tupleIJmbEEELb1ELb0EEEmEEvT2_T3_T4_T5_T6_T7_T8_mmmPKNSG_IJT9_bEEE
	.p2align	8
	.type	_ZN7rocprim6detail25device_scan_by_key_kernelILNS0_25lookback_scan_determinismE0ELb1ENS0_26wrapped_scan_by_key_configINS_14default_configEimEEPiN6hipcub22TransformInputIteratorImNS7_6CastOpImEEPmlEESB_mNS7_8EqualityENS7_3SumENS0_19lookback_scan_stateINS_5tupleIJmbEEELb1ELb0EEEmEEvT2_T3_T4_T5_T6_T7_T8_mmmPKNSG_IJT9_bEEE,@function
_ZN7rocprim6detail25device_scan_by_key_kernelILNS0_25lookback_scan_determinismE0ELb1ENS0_26wrapped_scan_by_key_configINS_14default_configEimEEPiN6hipcub22TransformInputIteratorImNS7_6CastOpImEEPmlEESB_mNS7_8EqualityENS7_3SumENS0_19lookback_scan_stateINS_5tupleIJmbEEELb1ELb0EEEmEEvT2_T3_T4_T5_T6_T7_T8_mmmPKNSG_IJT9_bEEE: ; @_ZN7rocprim6detail25device_scan_by_key_kernelILNS0_25lookback_scan_determinismE0ELb1ENS0_26wrapped_scan_by_key_configINS_14default_configEimEEPiN6hipcub22TransformInputIteratorImNS7_6CastOpImEEPmlEESB_mNS7_8EqualityENS7_3SumENS0_19lookback_scan_stateINS_5tupleIJmbEEELb1ELb0EEEmEEvT2_T3_T4_T5_T6_T7_T8_mmmPKNSG_IJT9_bEEE
; %bb.0:
	s_endpgm
	.section	.rodata,"a",@progbits
	.p2align	6, 0x0
	.amdhsa_kernel _ZN7rocprim6detail25device_scan_by_key_kernelILNS0_25lookback_scan_determinismE0ELb1ENS0_26wrapped_scan_by_key_configINS_14default_configEimEEPiN6hipcub22TransformInputIteratorImNS7_6CastOpImEEPmlEESB_mNS7_8EqualityENS7_3SumENS0_19lookback_scan_stateINS_5tupleIJmbEEELb1ELb0EEEmEEvT2_T3_T4_T5_T6_T7_T8_mmmPKNSG_IJT9_bEEE
		.amdhsa_group_segment_fixed_size 0
		.amdhsa_private_segment_fixed_size 0
		.amdhsa_kernarg_size 104
		.amdhsa_user_sgpr_count 2
		.amdhsa_user_sgpr_dispatch_ptr 0
		.amdhsa_user_sgpr_queue_ptr 0
		.amdhsa_user_sgpr_kernarg_segment_ptr 1
		.amdhsa_user_sgpr_dispatch_id 0
		.amdhsa_user_sgpr_kernarg_preload_length 0
		.amdhsa_user_sgpr_kernarg_preload_offset 0
		.amdhsa_user_sgpr_private_segment_size 0
		.amdhsa_uses_dynamic_stack 0
		.amdhsa_enable_private_segment 0
		.amdhsa_system_sgpr_workgroup_id_x 1
		.amdhsa_system_sgpr_workgroup_id_y 0
		.amdhsa_system_sgpr_workgroup_id_z 0
		.amdhsa_system_sgpr_workgroup_info 0
		.amdhsa_system_vgpr_workitem_id 0
		.amdhsa_next_free_vgpr 1
		.amdhsa_next_free_sgpr 0
		.amdhsa_accum_offset 4
		.amdhsa_reserve_vcc 0
		.amdhsa_float_round_mode_32 0
		.amdhsa_float_round_mode_16_64 0
		.amdhsa_float_denorm_mode_32 3
		.amdhsa_float_denorm_mode_16_64 3
		.amdhsa_dx10_clamp 1
		.amdhsa_ieee_mode 1
		.amdhsa_fp16_overflow 0
		.amdhsa_tg_split 0
		.amdhsa_exception_fp_ieee_invalid_op 0
		.amdhsa_exception_fp_denorm_src 0
		.amdhsa_exception_fp_ieee_div_zero 0
		.amdhsa_exception_fp_ieee_overflow 0
		.amdhsa_exception_fp_ieee_underflow 0
		.amdhsa_exception_fp_ieee_inexact 0
		.amdhsa_exception_int_div_zero 0
	.end_amdhsa_kernel
	.section	.text._ZN7rocprim6detail25device_scan_by_key_kernelILNS0_25lookback_scan_determinismE0ELb1ENS0_26wrapped_scan_by_key_configINS_14default_configEimEEPiN6hipcub22TransformInputIteratorImNS7_6CastOpImEEPmlEESB_mNS7_8EqualityENS7_3SumENS0_19lookback_scan_stateINS_5tupleIJmbEEELb1ELb0EEEmEEvT2_T3_T4_T5_T6_T7_T8_mmmPKNSG_IJT9_bEEE,"axG",@progbits,_ZN7rocprim6detail25device_scan_by_key_kernelILNS0_25lookback_scan_determinismE0ELb1ENS0_26wrapped_scan_by_key_configINS_14default_configEimEEPiN6hipcub22TransformInputIteratorImNS7_6CastOpImEEPmlEESB_mNS7_8EqualityENS7_3SumENS0_19lookback_scan_stateINS_5tupleIJmbEEELb1ELb0EEEmEEvT2_T3_T4_T5_T6_T7_T8_mmmPKNSG_IJT9_bEEE,comdat
.Lfunc_end110:
	.size	_ZN7rocprim6detail25device_scan_by_key_kernelILNS0_25lookback_scan_determinismE0ELb1ENS0_26wrapped_scan_by_key_configINS_14default_configEimEEPiN6hipcub22TransformInputIteratorImNS7_6CastOpImEEPmlEESB_mNS7_8EqualityENS7_3SumENS0_19lookback_scan_stateINS_5tupleIJmbEEELb1ELb0EEEmEEvT2_T3_T4_T5_T6_T7_T8_mmmPKNSG_IJT9_bEEE, .Lfunc_end110-_ZN7rocprim6detail25device_scan_by_key_kernelILNS0_25lookback_scan_determinismE0ELb1ENS0_26wrapped_scan_by_key_configINS_14default_configEimEEPiN6hipcub22TransformInputIteratorImNS7_6CastOpImEEPmlEESB_mNS7_8EqualityENS7_3SumENS0_19lookback_scan_stateINS_5tupleIJmbEEELb1ELb0EEEmEEvT2_T3_T4_T5_T6_T7_T8_mmmPKNSG_IJT9_bEEE
                                        ; -- End function
	.section	.AMDGPU.csdata,"",@progbits
; Kernel info:
; codeLenInByte = 4
; NumSgprs: 6
; NumVgprs: 0
; NumAgprs: 0
; TotalNumVgprs: 0
; ScratchSize: 0
; MemoryBound: 0
; FloatMode: 240
; IeeeMode: 1
; LDSByteSize: 0 bytes/workgroup (compile time only)
; SGPRBlocks: 0
; VGPRBlocks: 0
; NumSGPRsForWavesPerEU: 6
; NumVGPRsForWavesPerEU: 1
; AccumOffset: 4
; Occupancy: 8
; WaveLimiterHint : 0
; COMPUTE_PGM_RSRC2:SCRATCH_EN: 0
; COMPUTE_PGM_RSRC2:USER_SGPR: 2
; COMPUTE_PGM_RSRC2:TRAP_HANDLER: 0
; COMPUTE_PGM_RSRC2:TGID_X_EN: 1
; COMPUTE_PGM_RSRC2:TGID_Y_EN: 0
; COMPUTE_PGM_RSRC2:TGID_Z_EN: 0
; COMPUTE_PGM_RSRC2:TIDIG_COMP_CNT: 0
; COMPUTE_PGM_RSRC3_GFX90A:ACCUM_OFFSET: 0
; COMPUTE_PGM_RSRC3_GFX90A:TG_SPLIT: 0
	.section	.text._ZN7rocprim6detail25device_scan_by_key_kernelILNS0_25lookback_scan_determinismE0ELb1ENS0_26wrapped_scan_by_key_configINS_14default_configEimEEPiN6hipcub22TransformInputIteratorImNS7_6CastOpImEEPmlEESB_mNS7_8EqualityENS7_3SumENS0_19lookback_scan_stateINS_5tupleIJmbEEELb0ELb0EEEmEEvT2_T3_T4_T5_T6_T7_T8_mmmPKNSG_IJT9_bEEE,"axG",@progbits,_ZN7rocprim6detail25device_scan_by_key_kernelILNS0_25lookback_scan_determinismE0ELb1ENS0_26wrapped_scan_by_key_configINS_14default_configEimEEPiN6hipcub22TransformInputIteratorImNS7_6CastOpImEEPmlEESB_mNS7_8EqualityENS7_3SumENS0_19lookback_scan_stateINS_5tupleIJmbEEELb0ELb0EEEmEEvT2_T3_T4_T5_T6_T7_T8_mmmPKNSG_IJT9_bEEE,comdat
	.protected	_ZN7rocprim6detail25device_scan_by_key_kernelILNS0_25lookback_scan_determinismE0ELb1ENS0_26wrapped_scan_by_key_configINS_14default_configEimEEPiN6hipcub22TransformInputIteratorImNS7_6CastOpImEEPmlEESB_mNS7_8EqualityENS7_3SumENS0_19lookback_scan_stateINS_5tupleIJmbEEELb0ELb0EEEmEEvT2_T3_T4_T5_T6_T7_T8_mmmPKNSG_IJT9_bEEE ; -- Begin function _ZN7rocprim6detail25device_scan_by_key_kernelILNS0_25lookback_scan_determinismE0ELb1ENS0_26wrapped_scan_by_key_configINS_14default_configEimEEPiN6hipcub22TransformInputIteratorImNS7_6CastOpImEEPmlEESB_mNS7_8EqualityENS7_3SumENS0_19lookback_scan_stateINS_5tupleIJmbEEELb0ELb0EEEmEEvT2_T3_T4_T5_T6_T7_T8_mmmPKNSG_IJT9_bEEE
	.globl	_ZN7rocprim6detail25device_scan_by_key_kernelILNS0_25lookback_scan_determinismE0ELb1ENS0_26wrapped_scan_by_key_configINS_14default_configEimEEPiN6hipcub22TransformInputIteratorImNS7_6CastOpImEEPmlEESB_mNS7_8EqualityENS7_3SumENS0_19lookback_scan_stateINS_5tupleIJmbEEELb0ELb0EEEmEEvT2_T3_T4_T5_T6_T7_T8_mmmPKNSG_IJT9_bEEE
	.p2align	8
	.type	_ZN7rocprim6detail25device_scan_by_key_kernelILNS0_25lookback_scan_determinismE0ELb1ENS0_26wrapped_scan_by_key_configINS_14default_configEimEEPiN6hipcub22TransformInputIteratorImNS7_6CastOpImEEPmlEESB_mNS7_8EqualityENS7_3SumENS0_19lookback_scan_stateINS_5tupleIJmbEEELb0ELb0EEEmEEvT2_T3_T4_T5_T6_T7_T8_mmmPKNSG_IJT9_bEEE,@function
_ZN7rocprim6detail25device_scan_by_key_kernelILNS0_25lookback_scan_determinismE0ELb1ENS0_26wrapped_scan_by_key_configINS_14default_configEimEEPiN6hipcub22TransformInputIteratorImNS7_6CastOpImEEPmlEESB_mNS7_8EqualityENS7_3SumENS0_19lookback_scan_stateINS_5tupleIJmbEEELb0ELb0EEEmEEvT2_T3_T4_T5_T6_T7_T8_mmmPKNSG_IJT9_bEEE: ; @_ZN7rocprim6detail25device_scan_by_key_kernelILNS0_25lookback_scan_determinismE0ELb1ENS0_26wrapped_scan_by_key_configINS_14default_configEimEEPiN6hipcub22TransformInputIteratorImNS7_6CastOpImEEPmlEESB_mNS7_8EqualityENS7_3SumENS0_19lookback_scan_stateINS_5tupleIJmbEEELb0ELb0EEEmEEvT2_T3_T4_T5_T6_T7_T8_mmmPKNSG_IJT9_bEEE
; %bb.0:
	s_load_dwordx4 s[4:7], s[0:1], 0x0
	s_load_dwordx4 s[56:59], s[0:1], 0x18
	s_load_dwordx8 s[48:55], s[0:1], 0x30
	s_load_dwordx2 s[62:63], s[0:1], 0x60
	s_load_dwordx4 s[8:11], s[0:1], 0x50
	s_mul_i32 s0, s2, 0x1500
	s_mov_b32 s1, 0
	s_lshl_b64 s[12:13], s[0:1], 2
	s_waitcnt lgkmcnt(0)
	s_add_u32 s66, s4, s12
	s_addc_u32 s67, s5, s13
	s_lshl_b64 s[60:61], s[0:1], 3
	s_add_u32 s64, s6, s60
	s_addc_u32 s65, s7, s61
	s_add_u32 s0, s2, s8
	s_addc_u32 s1, 0, s9
	s_add_u32 s6, s10, -1
	s_addc_u32 s7, s11, -1
	v_mov_b64_e32 v[2:3], s[6:7]
	v_cmp_ge_u64_e64 s[0:1], s[0:1], v[2:3]
	s_mov_b64 s[4:5], -1
	s_and_b64 vcc, exec, s[0:1]
	s_mul_i32 s33, s6, 0xffffeb00
	v_lshlrev_b32_e32 v6, 2, v0
	s_cbranch_vccz .LBB111_65
; %bb.1:
	s_load_dword s3, s[66:67], 0x0
	s_add_i32 s55, s33, s54
	v_mov_b32_e32 v7, 0
	v_lshl_add_u64 v[2:3], s[66:67], 0, v[6:7]
	v_cmp_gt_u32_e64 s[46:47], s55, v0
	s_waitcnt lgkmcnt(0)
	v_mov_b32_e32 v1, s3
	s_and_saveexec_b64 s[4:5], s[46:47]
	s_cbranch_execz .LBB111_3
; %bb.2:
	global_load_dword v1, v[2:3], off
.LBB111_3:
	s_or_b64 exec, exec, s[4:5]
	v_or_b32_e32 v4, 0x100, v0
	v_cmp_gt_u32_e64 s[6:7], s55, v4
	v_mov_b32_e32 v4, s3
	s_and_saveexec_b64 s[4:5], s[6:7]
	s_cbranch_execz .LBB111_5
; %bb.4:
	global_load_dword v4, v[2:3], off offset:1024
.LBB111_5:
	s_or_b64 exec, exec, s[4:5]
	v_or_b32_e32 v5, 0x200, v0
	v_cmp_gt_u32_e64 s[12:13], s55, v5
	v_mov_b32_e32 v5, s3
	s_and_saveexec_b64 s[4:5], s[12:13]
	s_cbranch_execz .LBB111_7
; %bb.6:
	global_load_dword v5, v[2:3], off offset:2048
.LBB111_7:
	;; [unrolled: 9-line block ×3, first 2 shown]
	s_or_b64 exec, exec, s[4:5]
	v_or_b32_e32 v8, 0x400, v0
	v_cmp_gt_u32_e64 s[4:5], s55, v8
	v_mov_b32_e32 v8, s3
	s_and_saveexec_b64 s[10:11], s[4:5]
	s_cbranch_execz .LBB111_11
; %bb.10:
	v_add_co_u32_e32 v8, vcc, 0x1000, v2
	s_nop 1
	v_addc_co_u32_e32 v9, vcc, 0, v3, vcc
	global_load_dword v8, v[8:9], off
.LBB111_11:
	s_or_b64 exec, exec, s[10:11]
	v_or_b32_e32 v9, 0x500, v0
	v_cmp_gt_u32_e64 s[10:11], s55, v9
	v_mov_b32_e32 v9, s3
	s_and_saveexec_b64 s[14:15], s[10:11]
	s_cbranch_execz .LBB111_13
; %bb.12:
	v_add_co_u32_e32 v10, vcc, 0x1000, v2
	s_nop 1
	v_addc_co_u32_e32 v11, vcc, 0, v3, vcc
	global_load_dword v9, v[10:11], off offset:1024
.LBB111_13:
	s_or_b64 exec, exec, s[14:15]
	v_or_b32_e32 v10, 0x600, v0
	v_cmp_gt_u32_e64 s[14:15], s55, v10
	v_mov_b32_e32 v10, s3
	s_and_saveexec_b64 s[16:17], s[14:15]
	s_cbranch_execz .LBB111_15
; %bb.14:
	v_add_co_u32_e32 v10, vcc, 0x1000, v2
	s_nop 1
	v_addc_co_u32_e32 v11, vcc, 0, v3, vcc
	global_load_dword v10, v[10:11], off offset:2048
.LBB111_15:
	s_or_b64 exec, exec, s[16:17]
	v_or_b32_e32 v11, 0x700, v0
	v_cmp_gt_u32_e64 s[16:17], s55, v11
	v_mov_b32_e32 v11, s3
	s_and_saveexec_b64 s[18:19], s[16:17]
	s_cbranch_execz .LBB111_17
; %bb.16:
	v_add_co_u32_e32 v12, vcc, 0x1000, v2
	s_nop 1
	v_addc_co_u32_e32 v13, vcc, 0, v3, vcc
	global_load_dword v11, v[12:13], off offset:3072
.LBB111_17:
	s_or_b64 exec, exec, s[18:19]
	v_or_b32_e32 v12, 0x800, v0
	v_cmp_gt_u32_e64 s[18:19], s55, v12
	v_mov_b32_e32 v12, s3
	s_and_saveexec_b64 s[20:21], s[18:19]
	s_cbranch_execz .LBB111_19
; %bb.18:
	v_add_co_u32_e32 v12, vcc, 0x2000, v2
	s_nop 1
	v_addc_co_u32_e32 v13, vcc, 0, v3, vcc
	global_load_dword v12, v[12:13], off
.LBB111_19:
	s_or_b64 exec, exec, s[20:21]
	v_or_b32_e32 v13, 0x900, v0
	v_cmp_gt_u32_e64 s[20:21], s55, v13
	v_mov_b32_e32 v13, s3
	s_and_saveexec_b64 s[22:23], s[20:21]
	s_cbranch_execz .LBB111_21
; %bb.20:
	v_add_co_u32_e32 v14, vcc, 0x2000, v2
	s_nop 1
	v_addc_co_u32_e32 v15, vcc, 0, v3, vcc
	global_load_dword v13, v[14:15], off offset:1024
.LBB111_21:
	s_or_b64 exec, exec, s[22:23]
	v_or_b32_e32 v14, 0xa00, v0
	v_cmp_gt_u32_e64 s[22:23], s55, v14
	v_mov_b32_e32 v14, s3
	s_and_saveexec_b64 s[24:25], s[22:23]
	s_cbranch_execz .LBB111_23
; %bb.22:
	v_add_co_u32_e32 v14, vcc, 0x2000, v2
	s_nop 1
	v_addc_co_u32_e32 v15, vcc, 0, v3, vcc
	global_load_dword v14, v[14:15], off offset:2048
.LBB111_23:
	s_or_b64 exec, exec, s[24:25]
	v_or_b32_e32 v15, 0xb00, v0
	v_cmp_gt_u32_e64 s[24:25], s55, v15
	v_mov_b32_e32 v15, s3
	s_and_saveexec_b64 s[26:27], s[24:25]
	s_cbranch_execz .LBB111_25
; %bb.24:
	v_add_co_u32_e32 v16, vcc, 0x2000, v2
	s_nop 1
	v_addc_co_u32_e32 v17, vcc, 0, v3, vcc
	global_load_dword v15, v[16:17], off offset:3072
.LBB111_25:
	;; [unrolled: 48-line block ×4, first 2 shown]
	s_or_b64 exec, exec, s[44:45]
	v_or_b32_e32 v24, 0x1400, v0
	v_cmp_gt_u32_e64 s[44:45], s55, v24
	v_mov_b32_e32 v24, s3
	s_and_saveexec_b64 s[68:69], s[44:45]
	s_cbranch_execz .LBB111_43
; %bb.42:
	v_add_co_u32_e32 v2, vcc, 0x5000, v2
	s_nop 1
	v_addc_co_u32_e32 v3, vcc, 0, v3, vcc
	global_load_dword v24, v[2:3], off
.LBB111_43:
	s_or_b64 exec, exec, s[68:69]
	s_movk_i32 s3, 0x50
	s_waitcnt vmcnt(0)
	ds_write2st64_b32 v6, v1, v4 offset1:4
	ds_write2st64_b32 v6, v5, v7 offset0:8 offset1:12
	ds_write2st64_b32 v6, v8, v9 offset0:16 offset1:20
	;; [unrolled: 1-line block ×9, first 2 shown]
	ds_write_b32 v6, v24 offset:20480
	v_mad_u32_u24 v1, v0, s3, v6
	s_waitcnt lgkmcnt(0)
	s_barrier
	ds_read_b32 v81, v1
	ds_read2_b32 v[26:27], v1 offset0:1 offset1:2
	ds_read2_b32 v[24:25], v1 offset0:3 offset1:4
	;; [unrolled: 1-line block ×10, first 2 shown]
	s_load_dword s3, s[66:67], 0x0
	s_movk_i32 s68, 0xffb0
	v_mad_i32_i24 v1, v0, s68, v1
	s_movk_i32 s68, 0xff
	v_cmp_ne_u32_e32 vcc, s68, v0
	s_waitcnt lgkmcnt(0)
	v_mov_b32_e32 v7, s3
	ds_write_b32 v1, v81 offset:22528
	s_waitcnt lgkmcnt(0)
	s_barrier
	s_and_saveexec_b64 s[68:69], vcc
	s_cbranch_execz .LBB111_45
; %bb.44:
	ds_read_b32 v7, v6 offset:22532
.LBB111_45:
	s_or_b64 exec, exec, s[68:69]
	v_lshlrev_b32_e32 v2, 3, v0
	v_mov_b32_e32 v3, 0
	v_lshl_add_u64 v[4:5], s[64:65], 0, v[2:3]
	s_waitcnt lgkmcnt(0)
	s_barrier
	s_waitcnt lgkmcnt(0)
                                        ; implicit-def: $vgpr2_vgpr3
	s_and_saveexec_b64 s[68:69], s[46:47]
	s_cbranch_execz .LBB111_66
; %bb.46:
	global_load_dwordx2 v[2:3], v[4:5], off
	s_or_b64 exec, exec, s[68:69]
                                        ; implicit-def: $vgpr28_vgpr29
	s_and_saveexec_b64 s[46:47], s[6:7]
	s_cbranch_execnz .LBB111_67
.LBB111_47:
	s_or_b64 exec, exec, s[46:47]
                                        ; implicit-def: $vgpr30_vgpr31
	s_and_saveexec_b64 s[6:7], s[12:13]
	s_cbranch_execz .LBB111_68
.LBB111_48:
	v_add_co_u32_e32 v30, vcc, 0x1000, v4
	s_nop 1
	v_addc_co_u32_e32 v31, vcc, 0, v5, vcc
	global_load_dwordx2 v[30:31], v[30:31], off
	s_or_b64 exec, exec, s[6:7]
                                        ; implicit-def: $vgpr32_vgpr33
	s_and_saveexec_b64 s[6:7], s[8:9]
	s_cbranch_execnz .LBB111_69
.LBB111_49:
	s_or_b64 exec, exec, s[6:7]
                                        ; implicit-def: $vgpr34_vgpr35
	s_and_saveexec_b64 s[6:7], s[4:5]
	s_cbranch_execz .LBB111_70
.LBB111_50:
	v_add_co_u32_e32 v34, vcc, 0x2000, v4
	s_nop 1
	v_addc_co_u32_e32 v35, vcc, 0, v5, vcc
	global_load_dwordx2 v[34:35], v[34:35], off
	s_or_b64 exec, exec, s[6:7]
                                        ; implicit-def: $vgpr36_vgpr37
	s_and_saveexec_b64 s[4:5], s[10:11]
	s_cbranch_execnz .LBB111_71
.LBB111_51:
	s_or_b64 exec, exec, s[4:5]
                                        ; implicit-def: $vgpr38_vgpr39
	s_and_saveexec_b64 s[4:5], s[14:15]
	s_cbranch_execz .LBB111_72
.LBB111_52:
	v_add_co_u32_e32 v38, vcc, 0x3000, v4
	s_nop 1
	v_addc_co_u32_e32 v39, vcc, 0, v5, vcc
	global_load_dwordx2 v[38:39], v[38:39], off
	s_or_b64 exec, exec, s[4:5]
                                        ; implicit-def: $vgpr40_vgpr41
	s_and_saveexec_b64 s[4:5], s[16:17]
	s_cbranch_execnz .LBB111_73
.LBB111_53:
	s_or_b64 exec, exec, s[4:5]
                                        ; implicit-def: $vgpr42_vgpr43
	s_and_saveexec_b64 s[4:5], s[18:19]
	s_cbranch_execz .LBB111_74
.LBB111_54:
	v_add_co_u32_e32 v42, vcc, 0x4000, v4
	s_nop 1
	v_addc_co_u32_e32 v43, vcc, 0, v5, vcc
	global_load_dwordx2 v[42:43], v[42:43], off
	s_or_b64 exec, exec, s[4:5]
                                        ; implicit-def: $vgpr44_vgpr45
	s_and_saveexec_b64 s[4:5], s[20:21]
	s_cbranch_execnz .LBB111_75
.LBB111_55:
	s_or_b64 exec, exec, s[4:5]
                                        ; implicit-def: $vgpr46_vgpr47
	s_and_saveexec_b64 s[4:5], s[22:23]
	s_cbranch_execz .LBB111_76
.LBB111_56:
	v_add_co_u32_e32 v46, vcc, 0x5000, v4
	s_nop 1
	v_addc_co_u32_e32 v47, vcc, 0, v5, vcc
	global_load_dwordx2 v[46:47], v[46:47], off
	s_or_b64 exec, exec, s[4:5]
                                        ; implicit-def: $vgpr48_vgpr49
	s_and_saveexec_b64 s[4:5], s[24:25]
	s_cbranch_execnz .LBB111_77
.LBB111_57:
	s_or_b64 exec, exec, s[4:5]
                                        ; implicit-def: $vgpr50_vgpr51
	s_and_saveexec_b64 s[4:5], s[26:27]
	s_cbranch_execz .LBB111_78
.LBB111_58:
	v_add_co_u32_e32 v50, vcc, 0x6000, v4
	s_nop 1
	v_addc_co_u32_e32 v51, vcc, 0, v5, vcc
	global_load_dwordx2 v[50:51], v[50:51], off
	s_or_b64 exec, exec, s[4:5]
                                        ; implicit-def: $vgpr52_vgpr53
	s_and_saveexec_b64 s[4:5], s[28:29]
	s_cbranch_execnz .LBB111_79
.LBB111_59:
	s_or_b64 exec, exec, s[4:5]
                                        ; implicit-def: $vgpr54_vgpr55
	s_and_saveexec_b64 s[4:5], s[30:31]
	s_cbranch_execz .LBB111_80
.LBB111_60:
	v_add_co_u32_e32 v54, vcc, 0x7000, v4
	s_nop 1
	v_addc_co_u32_e32 v55, vcc, 0, v5, vcc
	global_load_dwordx2 v[54:55], v[54:55], off
	s_or_b64 exec, exec, s[4:5]
                                        ; implicit-def: $vgpr56_vgpr57
	s_and_saveexec_b64 s[4:5], s[34:35]
	s_cbranch_execnz .LBB111_81
.LBB111_61:
	s_or_b64 exec, exec, s[4:5]
                                        ; implicit-def: $vgpr58_vgpr59
	s_and_saveexec_b64 s[4:5], s[36:37]
	s_cbranch_execz .LBB111_82
.LBB111_62:
	v_add_co_u32_e32 v58, vcc, 0x8000, v4
	s_nop 1
	v_addc_co_u32_e32 v59, vcc, 0, v5, vcc
	global_load_dwordx2 v[58:59], v[58:59], off
	s_or_b64 exec, exec, s[4:5]
                                        ; implicit-def: $vgpr60_vgpr61
	s_and_saveexec_b64 s[4:5], s[38:39]
	s_cbranch_execnz .LBB111_83
.LBB111_63:
	s_or_b64 exec, exec, s[4:5]
                                        ; implicit-def: $vgpr62_vgpr63
	s_and_saveexec_b64 s[4:5], s[40:41]
	s_cbranch_execz .LBB111_84
.LBB111_64:
	v_add_co_u32_e32 v62, vcc, 0x9000, v4
	s_nop 1
	v_addc_co_u32_e32 v63, vcc, 0, v5, vcc
	global_load_dwordx2 v[62:63], v[62:63], off
	s_or_b64 exec, exec, s[4:5]
                                        ; implicit-def: $vgpr64_vgpr65
	s_and_saveexec_b64 s[4:5], s[42:43]
	s_cbranch_execz .LBB111_86
	s_branch .LBB111_85
.LBB111_65:
	s_mov_b64 s[10:11], 0
                                        ; implicit-def: $sgpr8_sgpr9
                                        ; implicit-def: $vgpr2_vgpr3
                                        ; implicit-def: $vgpr42_vgpr43
                                        ; implicit-def: $vgpr106
                                        ; implicit-def: $vgpr40_vgpr41
                                        ; implicit-def: $vgpr122
                                        ; implicit-def: $vgpr78_vgpr79
                                        ; implicit-def: $vgpr121
                                        ; implicit-def: $vgpr76_vgpr77
                                        ; implicit-def: $vgpr120
                                        ; implicit-def: $vgpr74_vgpr75
                                        ; implicit-def: $vgpr119
                                        ; implicit-def: $vgpr72_vgpr73
                                        ; implicit-def: $vgpr118
                                        ; implicit-def: $vgpr70_vgpr71
                                        ; implicit-def: $vgpr117
                                        ; implicit-def: $vgpr68_vgpr69
                                        ; implicit-def: $vgpr116
                                        ; implicit-def: $vgpr66_vgpr67
                                        ; implicit-def: $vgpr115
                                        ; implicit-def: $vgpr64_vgpr65
                                        ; implicit-def: $vgpr114
                                        ; implicit-def: $vgpr62_vgpr63
                                        ; implicit-def: $vgpr113
                                        ; implicit-def: $vgpr60_vgpr61
                                        ; implicit-def: $vgpr112
                                        ; implicit-def: $vgpr58_vgpr59
                                        ; implicit-def: $vgpr111
                                        ; implicit-def: $vgpr56_vgpr57
                                        ; implicit-def: $vgpr110
                                        ; implicit-def: $vgpr54_vgpr55
                                        ; implicit-def: $vgpr109
                                        ; implicit-def: $vgpr52_vgpr53
                                        ; implicit-def: $vgpr108
                                        ; implicit-def: $vgpr50_vgpr51
                                        ; implicit-def: $vgpr107
                                        ; implicit-def: $vgpr48_vgpr49
                                        ; implicit-def: $vgpr105
                                        ; implicit-def: $vgpr46_vgpr47
                                        ; implicit-def: $vgpr104
                                        ; implicit-def: $vgpr44_vgpr45
                                        ; implicit-def: $vgpr1
                                        ; implicit-def: $sgpr3
                                        ; implicit-def: $sgpr6_sgpr7
	s_and_b64 vcc, exec, s[4:5]
	s_cbranch_vccz .LBB111_136
	s_branch .LBB111_131
.LBB111_66:
	s_or_b64 exec, exec, s[68:69]
                                        ; implicit-def: $vgpr28_vgpr29
	s_and_saveexec_b64 s[46:47], s[6:7]
	s_cbranch_execz .LBB111_47
.LBB111_67:
	global_load_dwordx2 v[28:29], v[4:5], off offset:2048
	s_or_b64 exec, exec, s[46:47]
                                        ; implicit-def: $vgpr30_vgpr31
	s_and_saveexec_b64 s[6:7], s[12:13]
	s_cbranch_execnz .LBB111_48
.LBB111_68:
	s_or_b64 exec, exec, s[6:7]
                                        ; implicit-def: $vgpr32_vgpr33
	s_and_saveexec_b64 s[6:7], s[8:9]
	s_cbranch_execz .LBB111_49
.LBB111_69:
	v_add_co_u32_e32 v32, vcc, 0x1000, v4
	s_nop 1
	v_addc_co_u32_e32 v33, vcc, 0, v5, vcc
	global_load_dwordx2 v[32:33], v[32:33], off offset:2048
	s_or_b64 exec, exec, s[6:7]
                                        ; implicit-def: $vgpr34_vgpr35
	s_and_saveexec_b64 s[6:7], s[4:5]
	s_cbranch_execnz .LBB111_50
.LBB111_70:
	s_or_b64 exec, exec, s[6:7]
                                        ; implicit-def: $vgpr36_vgpr37
	s_and_saveexec_b64 s[4:5], s[10:11]
	s_cbranch_execz .LBB111_51
.LBB111_71:
	v_add_co_u32_e32 v36, vcc, 0x2000, v4
	s_nop 1
	v_addc_co_u32_e32 v37, vcc, 0, v5, vcc
	global_load_dwordx2 v[36:37], v[36:37], off offset:2048
	s_or_b64 exec, exec, s[4:5]
                                        ; implicit-def: $vgpr38_vgpr39
	s_and_saveexec_b64 s[4:5], s[14:15]
	s_cbranch_execnz .LBB111_52
.LBB111_72:
	s_or_b64 exec, exec, s[4:5]
                                        ; implicit-def: $vgpr40_vgpr41
	s_and_saveexec_b64 s[4:5], s[16:17]
	s_cbranch_execz .LBB111_53
.LBB111_73:
	v_add_co_u32_e32 v40, vcc, 0x3000, v4
	s_nop 1
	v_addc_co_u32_e32 v41, vcc, 0, v5, vcc
	global_load_dwordx2 v[40:41], v[40:41], off offset:2048
	s_or_b64 exec, exec, s[4:5]
                                        ; implicit-def: $vgpr42_vgpr43
	s_and_saveexec_b64 s[4:5], s[18:19]
	s_cbranch_execnz .LBB111_54
.LBB111_74:
	s_or_b64 exec, exec, s[4:5]
                                        ; implicit-def: $vgpr44_vgpr45
	s_and_saveexec_b64 s[4:5], s[20:21]
	s_cbranch_execz .LBB111_55
.LBB111_75:
	v_add_co_u32_e32 v44, vcc, 0x4000, v4
	s_nop 1
	v_addc_co_u32_e32 v45, vcc, 0, v5, vcc
	global_load_dwordx2 v[44:45], v[44:45], off offset:2048
	s_or_b64 exec, exec, s[4:5]
                                        ; implicit-def: $vgpr46_vgpr47
	s_and_saveexec_b64 s[4:5], s[22:23]
	s_cbranch_execnz .LBB111_56
.LBB111_76:
	s_or_b64 exec, exec, s[4:5]
                                        ; implicit-def: $vgpr48_vgpr49
	s_and_saveexec_b64 s[4:5], s[24:25]
	s_cbranch_execz .LBB111_57
.LBB111_77:
	v_add_co_u32_e32 v48, vcc, 0x5000, v4
	s_nop 1
	v_addc_co_u32_e32 v49, vcc, 0, v5, vcc
	global_load_dwordx2 v[48:49], v[48:49], off offset:2048
	s_or_b64 exec, exec, s[4:5]
                                        ; implicit-def: $vgpr50_vgpr51
	s_and_saveexec_b64 s[4:5], s[26:27]
	s_cbranch_execnz .LBB111_58
.LBB111_78:
	s_or_b64 exec, exec, s[4:5]
                                        ; implicit-def: $vgpr52_vgpr53
	s_and_saveexec_b64 s[4:5], s[28:29]
	s_cbranch_execz .LBB111_59
.LBB111_79:
	v_add_co_u32_e32 v52, vcc, 0x6000, v4
	s_nop 1
	v_addc_co_u32_e32 v53, vcc, 0, v5, vcc
	global_load_dwordx2 v[52:53], v[52:53], off offset:2048
	s_or_b64 exec, exec, s[4:5]
                                        ; implicit-def: $vgpr54_vgpr55
	s_and_saveexec_b64 s[4:5], s[30:31]
	s_cbranch_execnz .LBB111_60
.LBB111_80:
	s_or_b64 exec, exec, s[4:5]
                                        ; implicit-def: $vgpr56_vgpr57
	s_and_saveexec_b64 s[4:5], s[34:35]
	s_cbranch_execz .LBB111_61
.LBB111_81:
	v_add_co_u32_e32 v56, vcc, 0x7000, v4
	s_nop 1
	v_addc_co_u32_e32 v57, vcc, 0, v5, vcc
	global_load_dwordx2 v[56:57], v[56:57], off offset:2048
	s_or_b64 exec, exec, s[4:5]
                                        ; implicit-def: $vgpr58_vgpr59
	s_and_saveexec_b64 s[4:5], s[36:37]
	s_cbranch_execnz .LBB111_62
.LBB111_82:
	s_or_b64 exec, exec, s[4:5]
                                        ; implicit-def: $vgpr60_vgpr61
	s_and_saveexec_b64 s[4:5], s[38:39]
	s_cbranch_execz .LBB111_63
.LBB111_83:
	v_add_co_u32_e32 v60, vcc, 0x8000, v4
	s_nop 1
	v_addc_co_u32_e32 v61, vcc, 0, v5, vcc
	global_load_dwordx2 v[60:61], v[60:61], off offset:2048
	s_or_b64 exec, exec, s[4:5]
                                        ; implicit-def: $vgpr62_vgpr63
	s_and_saveexec_b64 s[4:5], s[40:41]
	s_cbranch_execnz .LBB111_64
.LBB111_84:
	s_or_b64 exec, exec, s[4:5]
                                        ; implicit-def: $vgpr64_vgpr65
	s_and_saveexec_b64 s[4:5], s[42:43]
	s_cbranch_execz .LBB111_86
.LBB111_85:
	v_add_co_u32_e32 v64, vcc, 0x9000, v4
	s_nop 1
	v_addc_co_u32_e32 v65, vcc, 0, v5, vcc
	global_load_dwordx2 v[64:65], v[64:65], off offset:2048
.LBB111_86:
	s_or_b64 exec, exec, s[4:5]
	v_mul_u32_u24_e32 v80, 21, v0
                                        ; implicit-def: $vgpr66_vgpr67
	s_and_saveexec_b64 s[4:5], s[44:45]
	s_cbranch_execz .LBB111_88
; %bb.87:
	v_add_co_u32_e32 v4, vcc, 0xa000, v4
	s_nop 1
	v_addc_co_u32_e32 v5, vcc, 0, v5, vcc
	global_load_dwordx2 v[66:67], v[4:5], off
.LBB111_88:
	s_or_b64 exec, exec, s[4:5]
	v_lshl_add_u32 v4, v0, 2, v1
	s_waitcnt vmcnt(0)
	ds_write2st64_b64 v4, v[2:3], v[28:29] offset1:4
	ds_write2st64_b64 v4, v[30:31], v[32:33] offset0:8 offset1:12
	ds_write2st64_b64 v4, v[34:35], v[36:37] offset0:16 offset1:20
	;; [unrolled: 1-line block ×9, first 2 shown]
	ds_write_b64 v4, v[66:67] offset:40960
	v_mov_b64_e32 v[42:43], 0
	v_cmp_gt_u32_e32 vcc, s55, v80
	s_mov_b64 s[10:11], 0
	s_mov_b32 s3, 0
	s_mov_b64 s[4:5], 0
	v_mov_b32_e32 v106, 0
	v_mov_b64_e32 v[40:41], v[42:43]
	v_mov_b32_e32 v122, 0
	v_mov_b64_e32 v[78:79], v[42:43]
	;; [unrolled: 2-line block ×19, first 2 shown]
	v_mov_b32_e32 v1, 0
	s_waitcnt lgkmcnt(0)
	s_barrier
	s_waitcnt lgkmcnt(0)
                                        ; implicit-def: $sgpr8_sgpr9
                                        ; implicit-def: $vgpr2_vgpr3
	s_and_saveexec_b64 s[6:7], vcc
	s_cbranch_execz .LBB111_130
; %bb.89:
	s_movk_i32 s8, 0xa0
	v_mad_u32_u24 v1, v0, s8, v4
	ds_read_b64 v[2:3], v1
	v_cmp_ne_u32_e32 vcc, v81, v26
	v_mov_b32_e32 v28, s59
	v_add_u32_e32 v5, 1, v80
	v_mov_b64_e32 v[40:41], 0
	s_waitcnt lgkmcnt(0)
	v_cndmask_b32_e32 v43, v3, v28, vcc
	v_mov_b32_e32 v3, s58
	v_cndmask_b32_e64 v1, 0, 1, vcc
	v_cndmask_b32_e32 v42, v2, v3, vcc
	v_cmp_gt_u32_e32 vcc, s55, v5
	s_mov_b64 s[12:13], 0
	v_mov_b32_e32 v106, 0
	v_mov_b32_e32 v122, 0
	v_mov_b64_e32 v[78:79], v[40:41]
	v_mov_b32_e32 v121, 0
	v_mov_b64_e32 v[76:77], v[40:41]
	;; [unrolled: 2-line block ×18, first 2 shown]
                                        ; implicit-def: $sgpr14_sgpr15
                                        ; implicit-def: $vgpr2_vgpr3
	s_and_saveexec_b64 s[8:9], vcc
	s_cbranch_execz .LBB111_129
; %bb.90:
	v_mul_u32_u24_e32 v2, 0xa0, v0
	v_add_u32_e32 v28, v4, v2
	ds_read2_b64 v[2:5], v28 offset0:1 offset1:2
	v_cmp_ne_u32_e32 vcc, v26, v27
	v_mov_b32_e32 v26, s59
	v_add_u32_e32 v29, 2, v80
	v_mov_b64_e32 v[40:41], 0
	s_waitcnt lgkmcnt(0)
	v_cndmask_b32_e32 v45, v3, v26, vcc
	v_mov_b32_e32 v3, s58
	v_cndmask_b32_e64 v104, 0, 1, vcc
	v_cndmask_b32_e32 v44, v2, v3, vcc
	v_cmp_gt_u32_e32 vcc, s55, v29
	s_mov_b64 s[14:15], 0
	v_mov_b32_e32 v106, 0
	v_mov_b32_e32 v122, 0
	v_mov_b64_e32 v[78:79], v[40:41]
	v_mov_b32_e32 v121, 0
	v_mov_b64_e32 v[76:77], v[40:41]
	;; [unrolled: 2-line block ×17, first 2 shown]
                                        ; implicit-def: $sgpr16_sgpr17
                                        ; implicit-def: $vgpr2_vgpr3
	s_and_saveexec_b64 s[10:11], vcc
	s_cbranch_execz .LBB111_128
; %bb.91:
	v_cmp_ne_u32_e32 vcc, v27, v24
	v_mov_b32_e32 v3, s59
	v_add_u32_e32 v2, 3, v80
	v_cndmask_b32_e32 v47, v5, v3, vcc
	v_mov_b32_e32 v3, s58
	v_mov_b64_e32 v[40:41], 0
	v_cndmask_b32_e64 v105, 0, 1, vcc
	v_cndmask_b32_e32 v46, v4, v3, vcc
	v_cmp_gt_u32_e32 vcc, s55, v2
	s_mov_b64 s[16:17], 0
	v_mov_b32_e32 v106, 0
	v_mov_b32_e32 v122, 0
	v_mov_b64_e32 v[78:79], v[40:41]
	v_mov_b32_e32 v121, 0
	v_mov_b64_e32 v[76:77], v[40:41]
	;; [unrolled: 2-line block ×16, first 2 shown]
                                        ; implicit-def: $sgpr18_sgpr19
                                        ; implicit-def: $vgpr2_vgpr3
	s_and_saveexec_b64 s[12:13], vcc
	s_cbranch_execz .LBB111_127
; %bb.92:
	ds_read2_b64 v[2:5], v28 offset0:3 offset1:4
	v_cmp_ne_u32_e32 vcc, v24, v25
	v_mov_b32_e32 v24, s59
	v_add_u32_e32 v26, 4, v80
	v_mov_b64_e32 v[40:41], 0
	s_waitcnt lgkmcnt(0)
	v_cndmask_b32_e32 v49, v3, v24, vcc
	v_mov_b32_e32 v3, s58
	v_cndmask_b32_e64 v107, 0, 1, vcc
	v_cndmask_b32_e32 v48, v2, v3, vcc
	v_cmp_gt_u32_e32 vcc, s55, v26
	s_mov_b64 s[18:19], 0
	v_mov_b32_e32 v106, 0
	v_mov_b32_e32 v122, 0
	v_mov_b64_e32 v[78:79], v[40:41]
	v_mov_b32_e32 v121, 0
	v_mov_b64_e32 v[76:77], v[40:41]
	;; [unrolled: 2-line block ×15, first 2 shown]
                                        ; implicit-def: $sgpr20_sgpr21
                                        ; implicit-def: $vgpr2_vgpr3
	s_and_saveexec_b64 s[14:15], vcc
	s_cbranch_execz .LBB111_126
; %bb.93:
	v_cmp_ne_u32_e32 vcc, v25, v22
	v_mov_b32_e32 v3, s59
	v_add_u32_e32 v2, 5, v80
	v_cndmask_b32_e32 v51, v5, v3, vcc
	v_mov_b32_e32 v3, s58
	v_mov_b64_e32 v[40:41], 0
	v_cndmask_b32_e64 v108, 0, 1, vcc
	v_cndmask_b32_e32 v50, v4, v3, vcc
	v_cmp_gt_u32_e32 vcc, s55, v2
	s_mov_b64 s[20:21], 0
	v_mov_b32_e32 v106, 0
	v_mov_b32_e32 v122, 0
	v_mov_b64_e32 v[78:79], v[40:41]
	v_mov_b32_e32 v121, 0
	v_mov_b64_e32 v[76:77], v[40:41]
	;; [unrolled: 2-line block ×14, first 2 shown]
                                        ; implicit-def: $sgpr22_sgpr23
                                        ; implicit-def: $vgpr2_vgpr3
	s_and_saveexec_b64 s[16:17], vcc
	s_cbranch_execz .LBB111_125
; %bb.94:
	ds_read2_b64 v[2:5], v28 offset0:5 offset1:6
	v_cmp_ne_u32_e32 vcc, v22, v23
	v_mov_b32_e32 v22, s59
	v_add_u32_e32 v24, 6, v80
	v_mov_b64_e32 v[40:41], 0
	s_waitcnt lgkmcnt(0)
	v_cndmask_b32_e32 v53, v3, v22, vcc
	v_mov_b32_e32 v3, s58
	v_cndmask_b32_e64 v109, 0, 1, vcc
	v_cndmask_b32_e32 v52, v2, v3, vcc
	v_cmp_gt_u32_e32 vcc, s55, v24
	s_mov_b64 s[22:23], 0
	v_mov_b32_e32 v106, 0
	v_mov_b32_e32 v122, 0
	v_mov_b64_e32 v[78:79], v[40:41]
	v_mov_b32_e32 v121, 0
	v_mov_b64_e32 v[76:77], v[40:41]
	;; [unrolled: 2-line block ×13, first 2 shown]
                                        ; implicit-def: $sgpr24_sgpr25
                                        ; implicit-def: $vgpr2_vgpr3
	s_and_saveexec_b64 s[18:19], vcc
	s_cbranch_execz .LBB111_124
; %bb.95:
	v_cmp_ne_u32_e32 vcc, v23, v20
	v_mov_b32_e32 v3, s59
	v_add_u32_e32 v2, 7, v80
	v_cndmask_b32_e32 v55, v5, v3, vcc
	v_mov_b32_e32 v3, s58
	v_mov_b64_e32 v[40:41], 0
	v_cndmask_b32_e64 v110, 0, 1, vcc
	v_cndmask_b32_e32 v54, v4, v3, vcc
	v_cmp_gt_u32_e32 vcc, s55, v2
	s_mov_b64 s[24:25], 0
	v_mov_b32_e32 v106, 0
	v_mov_b32_e32 v122, 0
	v_mov_b64_e32 v[78:79], v[40:41]
	v_mov_b32_e32 v121, 0
	v_mov_b64_e32 v[76:77], v[40:41]
	;; [unrolled: 2-line block ×12, first 2 shown]
                                        ; implicit-def: $sgpr26_sgpr27
                                        ; implicit-def: $vgpr2_vgpr3
	s_and_saveexec_b64 s[20:21], vcc
	s_cbranch_execz .LBB111_123
; %bb.96:
	ds_read2_b64 v[2:5], v28 offset0:7 offset1:8
	v_cmp_ne_u32_e32 vcc, v20, v21
	v_mov_b32_e32 v20, s59
	v_add_u32_e32 v22, 8, v80
	v_mov_b64_e32 v[40:41], 0
	s_waitcnt lgkmcnt(0)
	v_cndmask_b32_e32 v57, v3, v20, vcc
	v_mov_b32_e32 v3, s58
	v_cndmask_b32_e64 v111, 0, 1, vcc
	v_cndmask_b32_e32 v56, v2, v3, vcc
	v_cmp_gt_u32_e32 vcc, s55, v22
	s_mov_b64 s[26:27], 0
	v_mov_b32_e32 v106, 0
	v_mov_b32_e32 v122, 0
	v_mov_b64_e32 v[78:79], v[40:41]
	v_mov_b32_e32 v121, 0
	v_mov_b64_e32 v[76:77], v[40:41]
	;; [unrolled: 2-line block ×11, first 2 shown]
                                        ; implicit-def: $sgpr28_sgpr29
                                        ; implicit-def: $vgpr2_vgpr3
	s_and_saveexec_b64 s[22:23], vcc
	s_cbranch_execz .LBB111_122
; %bb.97:
	v_cmp_ne_u32_e32 vcc, v21, v18
	v_mov_b32_e32 v3, s59
	v_add_u32_e32 v2, 9, v80
	v_cndmask_b32_e32 v59, v5, v3, vcc
	v_mov_b32_e32 v3, s58
	v_mov_b64_e32 v[40:41], 0
	v_cndmask_b32_e64 v112, 0, 1, vcc
	v_cndmask_b32_e32 v58, v4, v3, vcc
	v_cmp_gt_u32_e32 vcc, s55, v2
	s_mov_b64 s[28:29], 0
	v_mov_b32_e32 v106, 0
	v_mov_b32_e32 v122, 0
	v_mov_b64_e32 v[78:79], v[40:41]
	v_mov_b32_e32 v121, 0
	v_mov_b64_e32 v[76:77], v[40:41]
	;; [unrolled: 2-line block ×10, first 2 shown]
                                        ; implicit-def: $sgpr30_sgpr31
                                        ; implicit-def: $vgpr2_vgpr3
	s_and_saveexec_b64 s[24:25], vcc
	s_cbranch_execz .LBB111_121
; %bb.98:
	ds_read2_b64 v[2:5], v28 offset0:9 offset1:10
	v_cmp_ne_u32_e32 vcc, v18, v19
	v_mov_b32_e32 v18, s59
	v_add_u32_e32 v20, 10, v80
	v_mov_b64_e32 v[40:41], 0
	s_waitcnt lgkmcnt(0)
	v_cndmask_b32_e32 v61, v3, v18, vcc
	v_mov_b32_e32 v3, s58
	v_cndmask_b32_e64 v113, 0, 1, vcc
	v_cndmask_b32_e32 v60, v2, v3, vcc
	v_cmp_gt_u32_e32 vcc, s55, v20
	s_mov_b64 s[30:31], 0
	v_mov_b32_e32 v106, 0
	v_mov_b32_e32 v122, 0
	v_mov_b64_e32 v[78:79], v[40:41]
	v_mov_b32_e32 v121, 0
	v_mov_b64_e32 v[76:77], v[40:41]
	;; [unrolled: 2-line block ×9, first 2 shown]
                                        ; implicit-def: $sgpr34_sgpr35
                                        ; implicit-def: $vgpr2_vgpr3
	s_and_saveexec_b64 s[26:27], vcc
	s_cbranch_execz .LBB111_120
; %bb.99:
	v_cmp_ne_u32_e32 vcc, v19, v16
	v_mov_b32_e32 v3, s59
	v_add_u32_e32 v2, 11, v80
	v_cndmask_b32_e32 v63, v5, v3, vcc
	v_mov_b32_e32 v3, s58
	v_mov_b64_e32 v[40:41], 0
	v_cndmask_b32_e64 v114, 0, 1, vcc
	v_cndmask_b32_e32 v62, v4, v3, vcc
	v_cmp_gt_u32_e32 vcc, s55, v2
	s_mov_b64 s[34:35], 0
	v_mov_b32_e32 v106, 0
	v_mov_b32_e32 v122, 0
	v_mov_b64_e32 v[78:79], v[40:41]
	v_mov_b32_e32 v121, 0
	v_mov_b64_e32 v[76:77], v[40:41]
	;; [unrolled: 2-line block ×8, first 2 shown]
                                        ; implicit-def: $sgpr36_sgpr37
                                        ; implicit-def: $vgpr2_vgpr3
	s_and_saveexec_b64 s[28:29], vcc
	s_cbranch_execz .LBB111_119
; %bb.100:
	ds_read2_b64 v[2:5], v28 offset0:11 offset1:12
	v_cmp_ne_u32_e32 vcc, v16, v17
	v_mov_b32_e32 v16, s59
	v_add_u32_e32 v18, 12, v80
	v_mov_b64_e32 v[40:41], 0
	s_waitcnt lgkmcnt(0)
	v_cndmask_b32_e32 v65, v3, v16, vcc
	v_mov_b32_e32 v3, s58
	v_cndmask_b32_e64 v115, 0, 1, vcc
	v_cndmask_b32_e32 v64, v2, v3, vcc
	v_cmp_gt_u32_e32 vcc, s55, v18
	s_mov_b64 s[36:37], 0
	v_mov_b32_e32 v106, 0
	v_mov_b32_e32 v122, 0
	v_mov_b64_e32 v[78:79], v[40:41]
	v_mov_b32_e32 v121, 0
	v_mov_b64_e32 v[76:77], v[40:41]
	;; [unrolled: 2-line block ×7, first 2 shown]
                                        ; implicit-def: $sgpr38_sgpr39
                                        ; implicit-def: $vgpr2_vgpr3
	s_and_saveexec_b64 s[30:31], vcc
	s_cbranch_execz .LBB111_118
; %bb.101:
	v_cmp_ne_u32_e32 vcc, v17, v14
	v_mov_b32_e32 v3, s59
	v_add_u32_e32 v2, 13, v80
	v_cndmask_b32_e32 v67, v5, v3, vcc
	v_mov_b32_e32 v3, s58
	v_mov_b64_e32 v[40:41], 0
	v_cndmask_b32_e64 v116, 0, 1, vcc
	v_cndmask_b32_e32 v66, v4, v3, vcc
	v_cmp_gt_u32_e32 vcc, s55, v2
	s_mov_b64 s[38:39], 0
	v_mov_b32_e32 v106, 0
	v_mov_b32_e32 v122, 0
	v_mov_b64_e32 v[78:79], v[40:41]
	v_mov_b32_e32 v121, 0
	v_mov_b64_e32 v[76:77], v[40:41]
	;; [unrolled: 2-line block ×6, first 2 shown]
                                        ; implicit-def: $sgpr40_sgpr41
                                        ; implicit-def: $vgpr2_vgpr3
	s_and_saveexec_b64 s[34:35], vcc
	s_cbranch_execz .LBB111_117
; %bb.102:
	ds_read2_b64 v[2:5], v28 offset0:13 offset1:14
	v_cmp_ne_u32_e32 vcc, v14, v15
	v_mov_b32_e32 v14, s59
	v_add_u32_e32 v16, 14, v80
	v_mov_b64_e32 v[40:41], 0
	s_waitcnt lgkmcnt(0)
	v_cndmask_b32_e32 v69, v3, v14, vcc
	v_mov_b32_e32 v3, s58
	v_cndmask_b32_e64 v117, 0, 1, vcc
	v_cndmask_b32_e32 v68, v2, v3, vcc
	v_cmp_gt_u32_e32 vcc, s55, v16
	s_mov_b64 s[40:41], 0
	v_mov_b32_e32 v106, 0
	v_mov_b32_e32 v122, 0
	v_mov_b64_e32 v[78:79], v[40:41]
	v_mov_b32_e32 v121, 0
	v_mov_b64_e32 v[76:77], v[40:41]
	v_mov_b32_e32 v120, 0
	v_mov_b64_e32 v[74:75], v[40:41]
	v_mov_b32_e32 v119, 0
	v_mov_b64_e32 v[72:73], v[40:41]
	v_mov_b32_e32 v118, 0
	v_mov_b64_e32 v[70:71], v[40:41]
                                        ; implicit-def: $sgpr42_sgpr43
                                        ; implicit-def: $vgpr2_vgpr3
	s_and_saveexec_b64 s[36:37], vcc
	s_cbranch_execz .LBB111_116
; %bb.103:
	v_cmp_ne_u32_e32 vcc, v15, v12
	v_mov_b32_e32 v3, s59
	v_add_u32_e32 v2, 15, v80
	v_cndmask_b32_e32 v71, v5, v3, vcc
	v_mov_b32_e32 v3, s58
	v_mov_b64_e32 v[40:41], 0
	v_cndmask_b32_e64 v118, 0, 1, vcc
	v_cndmask_b32_e32 v70, v4, v3, vcc
	v_cmp_gt_u32_e32 vcc, s55, v2
	s_mov_b64 s[42:43], 0
	v_mov_b32_e32 v106, 0
	v_mov_b32_e32 v122, 0
	v_mov_b64_e32 v[78:79], v[40:41]
	v_mov_b32_e32 v121, 0
	v_mov_b64_e32 v[76:77], v[40:41]
	;; [unrolled: 2-line block ×4, first 2 shown]
                                        ; implicit-def: $sgpr44_sgpr45
                                        ; implicit-def: $vgpr2_vgpr3
	s_and_saveexec_b64 s[38:39], vcc
	s_cbranch_execz .LBB111_115
; %bb.104:
	ds_read2_b64 v[2:5], v28 offset0:15 offset1:16
	v_cmp_ne_u32_e32 vcc, v12, v13
	v_mov_b32_e32 v12, s59
	v_add_u32_e32 v14, 16, v80
	v_mov_b64_e32 v[40:41], 0
	s_waitcnt lgkmcnt(0)
	v_cndmask_b32_e32 v73, v3, v12, vcc
	v_mov_b32_e32 v3, s58
	v_cndmask_b32_e64 v119, 0, 1, vcc
	v_cndmask_b32_e32 v72, v2, v3, vcc
	v_cmp_gt_u32_e32 vcc, s55, v14
	s_mov_b64 s[44:45], 0
	v_mov_b32_e32 v106, 0
	v_mov_b32_e32 v122, 0
	v_mov_b64_e32 v[78:79], v[40:41]
	v_mov_b32_e32 v121, 0
	v_mov_b64_e32 v[76:77], v[40:41]
	v_mov_b32_e32 v120, 0
	v_mov_b64_e32 v[74:75], v[40:41]
                                        ; implicit-def: $sgpr46_sgpr47
                                        ; implicit-def: $vgpr2_vgpr3
	s_and_saveexec_b64 s[40:41], vcc
	s_cbranch_execz .LBB111_114
; %bb.105:
	v_cmp_ne_u32_e32 vcc, v13, v10
	v_mov_b32_e32 v3, s59
	v_add_u32_e32 v2, 17, v80
	v_cndmask_b32_e32 v75, v5, v3, vcc
	v_mov_b32_e32 v3, s58
	v_mov_b64_e32 v[40:41], 0
	v_cndmask_b32_e64 v120, 0, 1, vcc
	v_cndmask_b32_e32 v74, v4, v3, vcc
	v_cmp_gt_u32_e32 vcc, s55, v2
	s_mov_b64 s[46:47], 0
	v_mov_b32_e32 v106, 0
	v_mov_b32_e32 v122, 0
	v_mov_b64_e32 v[78:79], v[40:41]
	v_mov_b32_e32 v121, 0
	v_mov_b64_e32 v[76:77], v[40:41]
                                        ; implicit-def: $sgpr68_sgpr69
                                        ; implicit-def: $vgpr2_vgpr3
	s_and_saveexec_b64 s[42:43], vcc
	s_cbranch_execz .LBB111_113
; %bb.106:
	ds_read2_b64 v[2:5], v28 offset0:17 offset1:18
	v_cmp_ne_u32_e32 vcc, v10, v11
	v_mov_b32_e32 v10, s59
	v_add_u32_e32 v12, 18, v80
	v_mov_b64_e32 v[40:41], 0
	s_waitcnt lgkmcnt(0)
	v_cndmask_b32_e32 v77, v3, v10, vcc
	v_mov_b32_e32 v3, s58
	v_cndmask_b32_e64 v121, 0, 1, vcc
	v_cndmask_b32_e32 v76, v2, v3, vcc
	v_cmp_gt_u32_e32 vcc, s55, v12
	s_mov_b64 s[68:69], 0
	v_mov_b32_e32 v106, 0
	v_mov_b32_e32 v122, 0
	v_mov_b64_e32 v[78:79], v[40:41]
                                        ; implicit-def: $sgpr70_sgpr71
                                        ; implicit-def: $vgpr2_vgpr3
	s_and_saveexec_b64 s[44:45], vcc
	s_cbranch_execz .LBB111_112
; %bb.107:
	v_cmp_ne_u32_e32 vcc, v11, v8
	v_mov_b32_e32 v3, s59
	v_add_u32_e32 v2, 19, v80
	v_cndmask_b32_e32 v79, v5, v3, vcc
	v_mov_b32_e32 v3, s58
	v_cndmask_b32_e64 v122, 0, 1, vcc
	v_cndmask_b32_e32 v78, v4, v3, vcc
	v_cmp_gt_u32_e32 vcc, s55, v2
	v_mov_b32_e32 v106, 0
	v_mov_b64_e32 v[40:41], 0
                                        ; implicit-def: $sgpr70_sgpr71
                                        ; implicit-def: $vgpr2_vgpr3
	s_and_saveexec_b64 s[46:47], vcc
	s_cbranch_execz .LBB111_111
; %bb.108:
	ds_read2_b64 v[2:5], v28 offset0:19 offset1:20
	v_cmp_ne_u32_e32 vcc, v8, v9
	v_mov_b32_e32 v8, s59
	v_add_u32_e32 v10, 20, v80
	v_cndmask_b32_e64 v106, 0, 1, vcc
	s_waitcnt lgkmcnt(0)
	v_cndmask_b32_e32 v41, v3, v8, vcc
	v_mov_b32_e32 v3, s58
	v_cndmask_b32_e32 v40, v2, v3, vcc
	v_cmp_gt_u32_e32 vcc, s55, v10
                                        ; implicit-def: $sgpr70_sgpr71
                                        ; implicit-def: $vgpr2_vgpr3
	s_and_saveexec_b64 s[72:73], vcc
	s_xor_b64 s[72:73], exec, s[72:73]
; %bb.109:
	v_mov_b32_e32 v2, s59
	v_cmp_ne_u32_e32 vcc, v9, v7
	s_mov_b64 s[68:69], exec
	s_and_b64 s[70:71], vcc, exec
	v_cndmask_b32_e32 v3, v5, v2, vcc
	v_mov_b32_e32 v2, s58
	v_cndmask_b32_e32 v2, v4, v2, vcc
; %bb.110:
	s_or_b64 exec, exec, s[72:73]
	s_and_b64 s[70:71], s[70:71], exec
	s_and_b64 s[68:69], s[68:69], exec
.LBB111_111:
	s_or_b64 exec, exec, s[46:47]
	s_and_b64 s[70:71], s[70:71], exec
	s_and_b64 s[46:47], s[68:69], exec
.LBB111_112:
	s_or_b64 exec, exec, s[44:45]
	s_and_b64 s[68:69], s[70:71], exec
	s_and_b64 s[44:45], s[46:47], exec
.LBB111_113:
	s_or_b64 exec, exec, s[42:43]
	s_and_b64 s[46:47], s[68:69], exec
	s_and_b64 s[42:43], s[44:45], exec
.LBB111_114:
	s_or_b64 exec, exec, s[40:41]
	s_and_b64 s[44:45], s[46:47], exec
	s_and_b64 s[40:41], s[42:43], exec
.LBB111_115:
	s_or_b64 exec, exec, s[38:39]
	s_and_b64 s[42:43], s[44:45], exec
	s_and_b64 s[38:39], s[40:41], exec
.LBB111_116:
	s_or_b64 exec, exec, s[36:37]
	s_and_b64 s[40:41], s[42:43], exec
	s_and_b64 s[36:37], s[38:39], exec
.LBB111_117:
	s_or_b64 exec, exec, s[34:35]
	s_and_b64 s[38:39], s[40:41], exec
	s_and_b64 s[34:35], s[36:37], exec
.LBB111_118:
	s_or_b64 exec, exec, s[30:31]
	s_and_b64 s[36:37], s[38:39], exec
	s_and_b64 s[30:31], s[34:35], exec
.LBB111_119:
	s_or_b64 exec, exec, s[28:29]
	s_and_b64 s[34:35], s[36:37], exec
	s_and_b64 s[28:29], s[30:31], exec
.LBB111_120:
	s_or_b64 exec, exec, s[26:27]
	s_and_b64 s[30:31], s[34:35], exec
	s_and_b64 s[26:27], s[28:29], exec
.LBB111_121:
	s_or_b64 exec, exec, s[24:25]
	s_and_b64 s[28:29], s[30:31], exec
	s_and_b64 s[24:25], s[26:27], exec
.LBB111_122:
	s_or_b64 exec, exec, s[22:23]
	s_and_b64 s[26:27], s[28:29], exec
	s_and_b64 s[22:23], s[24:25], exec
.LBB111_123:
	s_or_b64 exec, exec, s[20:21]
	s_and_b64 s[24:25], s[26:27], exec
	s_and_b64 s[20:21], s[22:23], exec
.LBB111_124:
	s_or_b64 exec, exec, s[18:19]
	s_and_b64 s[22:23], s[24:25], exec
	s_and_b64 s[18:19], s[20:21], exec
.LBB111_125:
	s_or_b64 exec, exec, s[16:17]
	s_and_b64 s[20:21], s[22:23], exec
	s_and_b64 s[16:17], s[18:19], exec
.LBB111_126:
	s_or_b64 exec, exec, s[14:15]
	s_and_b64 s[18:19], s[20:21], exec
	s_and_b64 s[14:15], s[16:17], exec
.LBB111_127:
	s_or_b64 exec, exec, s[12:13]
	s_and_b64 s[16:17], s[18:19], exec
	s_and_b64 s[12:13], s[14:15], exec
.LBB111_128:
	s_or_b64 exec, exec, s[10:11]
	s_and_b64 s[14:15], s[16:17], exec
	s_and_b64 s[10:11], s[12:13], exec
.LBB111_129:
	s_or_b64 exec, exec, s[8:9]
	s_and_b64 s[8:9], s[14:15], exec
	s_and_b64 s[10:11], s[10:11], exec
.LBB111_130:
	s_or_b64 exec, exec, s[6:7]
	s_mov_b64 s[6:7], 0
	s_and_b64 vcc, exec, s[4:5]
	s_cbranch_vccz .LBB111_136
.LBB111_131:
	v_mov_b32_e32 v7, 0
	v_lshl_add_u64 v[2:3], s[66:67], 0, v[6:7]
	v_add_co_u32_e32 v4, vcc, 0x1000, v2
	global_load_dword v1, v6, s[66:67]
	global_load_dword v10, v6, s[66:67] offset:1024
	global_load_dword v11, v6, s[66:67] offset:2048
	;; [unrolled: 1-line block ×3, first 2 shown]
	v_addc_co_u32_e32 v5, vcc, 0, v3, vcc
	v_add_co_u32_e32 v8, vcc, 0x2000, v2
	s_movk_i32 s4, 0x50
	s_nop 0
	v_addc_co_u32_e32 v9, vcc, 0, v3, vcc
	global_load_dword v13, v[4:5], off
	global_load_dword v14, v[4:5], off offset:1024
	global_load_dword v15, v[4:5], off offset:2048
	;; [unrolled: 1-line block ×3, first 2 shown]
	global_load_dword v17, v[8:9], off
	global_load_dword v18, v[8:9], off offset:1024
	global_load_dword v19, v[8:9], off offset:2048
	global_load_dword v20, v[8:9], off offset:3072
	v_add_co_u32_e32 v4, vcc, 0x3000, v2
	s_movk_i32 s5, 0xffb0
	s_nop 0
	v_addc_co_u32_e32 v5, vcc, 0, v3, vcc
	v_add_co_u32_e32 v8, vcc, 0x4000, v2
	s_movk_i32 s10, 0xff
	s_nop 0
	v_addc_co_u32_e32 v9, vcc, 0, v3, vcc
	global_load_dword v21, v[4:5], off
	global_load_dword v22, v[4:5], off offset:1024
	global_load_dword v23, v[4:5], off offset:2048
	;; [unrolled: 1-line block ×3, first 2 shown]
	global_load_dword v25, v[8:9], off
	global_load_dword v26, v[8:9], off offset:1024
	global_load_dword v27, v[8:9], off offset:2048
	;; [unrolled: 1-line block ×3, first 2 shown]
	v_add_co_u32_e32 v2, vcc, 0x5000, v2
	v_mad_u32_u24 v4, v0, s4, v6
	s_nop 0
	v_addc_co_u32_e32 v3, vcc, 0, v3, vcc
	global_load_dword v3, v[2:3], off
	s_movk_i32 s9, 0x1000
	s_movk_i32 s8, 0x2000
	;; [unrolled: 1-line block ×5, first 2 shown]
	v_cmp_ne_u32_e32 vcc, s10, v0
	v_mad_i32_i24 v2, v0, s5, v4
	s_waitcnt vmcnt(19)
	ds_write2st64_b32 v6, v1, v10 offset1:4
	s_waitcnt vmcnt(17)
	ds_write2st64_b32 v6, v11, v12 offset0:8 offset1:12
	s_waitcnt vmcnt(15)
	ds_write2st64_b32 v6, v13, v14 offset0:16 offset1:20
	;; [unrolled: 2-line block ×9, first 2 shown]
	s_waitcnt vmcnt(0)
	ds_write_b32 v6, v3 offset:20480
	s_waitcnt lgkmcnt(0)
	s_barrier
	ds_read_b32 v1, v4
	ds_read2_b32 v[60:61], v4 offset0:1 offset1:2
	ds_read2_b32 v[58:59], v4 offset0:3 offset1:4
	;; [unrolled: 1-line block ×10, first 2 shown]
	s_load_dword s4, s[66:67], 0x5400
	s_waitcnt lgkmcnt(0)
	ds_write_b32 v2, v1 offset:22528
	s_waitcnt lgkmcnt(0)
	s_barrier
	v_mov_b32_e32 v82, s4
	s_and_saveexec_b64 s[4:5], vcc
	s_cbranch_execz .LBB111_133
; %bb.132:
	ds_read_b32 v82, v6 offset:22532
.LBB111_133:
	s_or_b64 exec, exec, s[4:5]
	v_lshlrev_b32_e32 v6, 3, v0
	v_lshl_add_u64 v[4:5], s[64:65], 0, v[6:7]
	v_add_co_u32_e32 v8, vcc, s9, v4
	s_waitcnt lgkmcnt(0)
	s_nop 0
	v_addc_co_u32_e32 v9, vcc, 0, v5, vcc
	v_add_co_u32_e32 v10, vcc, s8, v4
	s_barrier
	s_nop 0
	v_addc_co_u32_e32 v11, vcc, 0, v5, vcc
	global_load_dwordx2 v[12:13], v6, s[64:65]
	global_load_dwordx2 v[14:15], v6, s[64:65] offset:2048
	global_load_dwordx2 v[16:17], v[10:11], off offset:-4096
	v_add_co_u32_e32 v6, vcc, s7, v4
	v_lshl_add_u32 v62, v0, 2, v2
	s_nop 0
	v_addc_co_u32_e32 v7, vcc, 0, v5, vcc
	v_add_co_u32_e32 v18, vcc, s6, v4
	v_cmp_eq_u32_e64 s[4:5], v1, v60
	s_nop 0
	v_addc_co_u32_e32 v19, vcc, 0, v5, vcc
	global_load_dwordx2 v[20:21], v[10:11], off
	global_load_dwordx2 v[22:23], v[10:11], off offset:2048
	global_load_dwordx2 v[24:25], v[18:19], off offset:-4096
	global_load_dwordx2 v[26:27], v[18:19], off
	v_add_co_u32_e32 v10, vcc, s3, v4
	s_movk_i32 s3, 0x6000
	s_nop 0
	v_addc_co_u32_e32 v11, vcc, 0, v5, vcc
	v_add_co_u32_e32 v28, vcc, s3, v4
	s_movk_i32 s3, 0x7000
	s_nop 0
	v_addc_co_u32_e32 v29, vcc, 0, v5, vcc
	global_load_dwordx2 v[30:31], v[18:19], off offset:2048
	global_load_dwordx2 v[32:33], v[28:29], off offset:-4096
	global_load_dwordx2 v[34:35], v[28:29], off
	global_load_dwordx2 v[36:37], v[28:29], off offset:2048
	v_add_co_u32_e32 v18, vcc, s3, v4
	s_mov_b32 s3, 0x8000
	s_nop 0
	v_addc_co_u32_e32 v19, vcc, 0, v5, vcc
	v_add_co_u32_e32 v28, vcc, s3, v4
	s_mov_b32 s3, 0x9000
	s_nop 0
	v_addc_co_u32_e32 v29, vcc, 0, v5, vcc
	global_load_dwordx2 v[38:39], v[8:9], off offset:2048
	global_load_dwordx2 v[40:41], v[6:7], off offset:2048
	;; [unrolled: 1-line block ×4, first 2 shown]
	v_add_co_u32_e32 v6, vcc, s3, v4
	s_mov_b32 s3, 0xa000
	s_nop 0
	v_addc_co_u32_e32 v7, vcc, 0, v5, vcc
	v_add_co_u32_e32 v4, vcc, s3, v4
	s_movk_i32 s3, 0xa0
	s_nop 0
	v_addc_co_u32_e32 v5, vcc, 0, v5, vcc
	global_load_dwordx2 v[8:9], v[28:29], off offset:-4096
	global_load_dwordx2 v[10:11], v[28:29], off
	global_load_dwordx2 v[18:19], v[28:29], off offset:2048
	global_load_dwordx2 v[66:67], v[4:5], off offset:-4096
	global_load_dwordx2 v[68:69], v[6:7], off offset:2048
	global_load_dwordx2 v[70:71], v[4:5], off
	v_mad_u32_u24 v2, v0, s3, v62
	v_cmp_ne_u32_e32 vcc, v1, v60
	s_waitcnt vmcnt(19)
	ds_write2st64_b64 v62, v[12:13], v[14:15] offset1:4
	s_waitcnt vmcnt(9)
	ds_write2st64_b64 v62, v[16:17], v[38:39] offset0:8 offset1:12
	ds_write2st64_b64 v62, v[20:21], v[22:23] offset0:16 offset1:20
	s_waitcnt vmcnt(8)
	ds_write2st64_b64 v62, v[24:25], v[40:41] offset0:24 offset1:28
	ds_write2st64_b64 v62, v[26:27], v[30:31] offset0:32 offset1:36
	;; [unrolled: 3-line block ×3, first 2 shown]
	s_waitcnt vmcnt(5)
	ds_write2st64_b64 v62, v[8:9], v[64:65] offset0:56 offset1:60
	s_waitcnt vmcnt(3)
	ds_write2st64_b64 v62, v[10:11], v[18:19] offset0:64 offset1:68
	;; [unrolled: 2-line block ×3, first 2 shown]
	s_waitcnt vmcnt(0)
	ds_write_b64 v62, v[70:71] offset:40960
	s_waitcnt lgkmcnt(0)
	s_barrier
	ds_read2_b64 v[38:41], v2 offset0:1 offset1:2
	ds_read2_b64 v[34:37], v2 offset0:3 offset1:4
	;; [unrolled: 1-line block ×10, first 2 shown]
	v_mov_b64_e32 v[42:43], s[58:59]
	s_and_saveexec_b64 s[6:7], s[4:5]
	s_cbranch_execz .LBB111_135
; %bb.134:
	v_mul_u32_u24_e32 v1, 0xa0, v0
	v_add_u32_e32 v1, v62, v1
	ds_read_b64 v[42:43], v1
.LBB111_135:
	s_or_b64 exec, exec, s[6:7]
	v_cndmask_b32_e64 v1, 0, 1, vcc
	v_cmp_ne_u32_e32 vcc, v60, v61
	v_cmp_ne_u32_e64 s[38:39], v45, v80
	v_cmp_ne_u32_e64 s[40:41], v80, v81
	v_mov_b32_e32 v80, s59
	v_cmp_ne_u32_e64 s[8:9], v59, v56
	v_cmp_ne_u32_e64 s[36:37], v44, v45
	s_waitcnt lgkmcnt(9)
	v_cndmask_b32_e32 v45, v39, v80, vcc
	v_mov_b32_e32 v39, s58
	v_cmp_ne_u32_e64 s[4:5], v61, v58
	v_cmp_ne_u32_e64 s[6:7], v58, v59
	v_cndmask_b32_e64 v108, 0, 1, s[8:9]
	v_cmp_ne_u32_e64 s[10:11], v56, v57
	v_cmp_ne_u32_e64 s[12:13], v57, v54
	;; [unrolled: 1-line block ×12, first 2 shown]
	s_waitcnt lgkmcnt(8)
	v_cndmask_b32_e64 v51, v37, v80, s[8:9]
	v_cndmask_b32_e64 v50, v36, v39, s[8:9]
	v_cmp_ne_u32_e64 s[8:9], v81, v82
	v_cndmask_b32_e64 v104, 0, 1, vcc
	v_cndmask_b32_e64 v105, 0, 1, s[4:5]
	v_cndmask_b32_e64 v107, 0, 1, s[6:7]
	v_cndmask_b32_e64 v109, 0, 1, s[10:11]
	v_cndmask_b32_e64 v110, 0, 1, s[12:13]
	v_cndmask_b32_e64 v111, 0, 1, s[14:15]
	v_cndmask_b32_e64 v112, 0, 1, s[16:17]
	v_cndmask_b32_e64 v113, 0, 1, s[18:19]
	v_cndmask_b32_e64 v114, 0, 1, s[20:21]
	v_cndmask_b32_e64 v115, 0, 1, s[22:23]
	v_cndmask_b32_e64 v116, 0, 1, s[24:25]
	v_cndmask_b32_e64 v117, 0, 1, s[26:27]
	v_cndmask_b32_e64 v118, 0, 1, s[28:29]
	v_cndmask_b32_e64 v119, 0, 1, s[30:31]
	v_cndmask_b32_e64 v120, 0, 1, s[34:35]
	v_cndmask_b32_e64 v121, 0, 1, s[36:37]
	v_cndmask_b32_e64 v122, 0, 1, s[38:39]
	v_cndmask_b32_e64 v106, 0, 1, s[40:41]
	v_cndmask_b32_e32 v44, v38, v39, vcc
	v_cndmask_b32_e64 v47, v41, v80, s[4:5]
	v_cndmask_b32_e64 v46, v40, v39, s[4:5]
	v_cndmask_b32_e64 v49, v35, v80, s[6:7]
	v_cndmask_b32_e64 v48, v34, v39, s[6:7]
	s_waitcnt lgkmcnt(7)
	v_cndmask_b32_e64 v53, v31, v80, s[10:11]
	v_cndmask_b32_e64 v52, v30, v39, s[10:11]
	v_cndmask_b32_e64 v55, v33, v80, s[12:13]
	v_cndmask_b32_e64 v54, v32, v39, s[12:13]
	s_waitcnt lgkmcnt(6)
	;; [unrolled: 5-line block ×8, first 2 shown]
	v_cndmask_b32_e64 v41, v3, v80, s[40:41]
	v_cndmask_b32_e64 v40, v2, v39, s[40:41]
	;; [unrolled: 1-line block ×4, first 2 shown]
	s_mov_b64 s[10:11], -1
                                        ; implicit-def: $sgpr3
                                        ; implicit-def: $sgpr6_sgpr7
.LBB111_136:
	v_mov_b64_e32 v[80:81], s[6:7]
	v_mov_b32_e32 v123, s3
	s_and_saveexec_b64 s[4:5], s[10:11]
; %bb.137:
	v_cndmask_b32_e64 v123, 0, 1, s[8:9]
	v_mov_b64_e32 v[80:81], v[2:3]
; %bb.138:
	s_or_b64 exec, exec, s[4:5]
	v_or_b32_e32 v2, v123, v106
	s_cmp_lg_u32 s2, 0
	v_or_b32_e32 v125, v2, v122
	v_mbcnt_lo_u32_b32 v124, -1, 0
	s_barrier
	s_cbranch_scc0 .LBB111_205
; %bb.139:
	v_mov_b32_e32 v4, 0
	v_cmp_eq_u16_sdwa s[44:45], v104, v4 src0_sel:BYTE_0 src1_sel:DWORD
	v_cmp_eq_u16_sdwa s[4:5], v105, v4 src0_sel:BYTE_0 src1_sel:DWORD
	v_cmp_eq_u16_sdwa s[6:7], v107, v4 src0_sel:BYTE_0 src1_sel:DWORD
	v_cndmask_b32_e64 v3, 0, v43, s[44:45]
	v_cndmask_b32_e64 v2, 0, v42, s[44:45]
	v_lshl_add_u64 v[2:3], v[2:3], 0, v[44:45]
	v_cndmask_b32_e64 v3, 0, v3, s[4:5]
	v_cndmask_b32_e64 v2, 0, v2, s[4:5]
	v_lshl_add_u64 v[2:3], v[2:3], 0, v[46:47]
	v_cndmask_b32_e64 v3, 0, v3, s[6:7]
	v_cndmask_b32_e64 v2, 0, v2, s[6:7]
	v_lshl_add_u64 v[2:3], v[2:3], 0, v[48:49]
	v_cmp_eq_u16_sdwa s[8:9], v108, v4 src0_sel:BYTE_0 src1_sel:DWORD
	v_cmp_eq_u16_sdwa s[10:11], v109, v4 src0_sel:BYTE_0 src1_sel:DWORD
	v_cmp_eq_u16_sdwa s[12:13], v110, v4 src0_sel:BYTE_0 src1_sel:DWORD
	v_cndmask_b32_e64 v3, 0, v3, s[8:9]
	v_cndmask_b32_e64 v2, 0, v2, s[8:9]
	v_lshl_add_u64 v[2:3], v[2:3], 0, v[50:51]
	v_cndmask_b32_e64 v3, 0, v3, s[10:11]
	v_cndmask_b32_e64 v2, 0, v2, s[10:11]
	v_lshl_add_u64 v[2:3], v[2:3], 0, v[52:53]
	v_cndmask_b32_e64 v3, 0, v3, s[12:13]
	v_cndmask_b32_e64 v2, 0, v2, s[12:13]
	v_lshl_add_u64 v[2:3], v[2:3], 0, v[54:55]
	;; [unrolled: 12-line block ×3, first 2 shown]
	v_cmp_eq_u16_sdwa s[20:21], v114, v4 src0_sel:BYTE_0 src1_sel:DWORD
	v_cmp_eq_u16_sdwa s[22:23], v115, v4 src0_sel:BYTE_0 src1_sel:DWORD
	;; [unrolled: 1-line block ×3, first 2 shown]
	v_cndmask_b32_e64 v3, 0, v3, s[20:21]
	v_cndmask_b32_e64 v2, 0, v2, s[20:21]
	v_lshl_add_u64 v[2:3], v[2:3], 0, v[62:63]
	v_cndmask_b32_e64 v3, 0, v3, s[22:23]
	v_cndmask_b32_e64 v2, 0, v2, s[22:23]
	v_lshl_add_u64 v[2:3], v[2:3], 0, v[64:65]
	v_cmp_eq_u16_sdwa s[26:27], v117, v4 src0_sel:BYTE_0 src1_sel:DWORD
	v_cmp_eq_u16_sdwa s[28:29], v118, v4 src0_sel:BYTE_0 src1_sel:DWORD
	;; [unrolled: 1-line block ×7, first 2 shown]
	v_cmp_eq_u16_sdwa vcc, v123, v4 src0_sel:BYTE_0 src1_sel:DWORD
	v_or_b32_e32 v4, v125, v121
	v_cndmask_b32_e64 v3, 0, v3, s[24:25]
	v_cndmask_b32_e64 v2, 0, v2, s[24:25]
	v_or_b32_e32 v4, v4, v120
	v_lshl_add_u64 v[2:3], v[2:3], 0, v[66:67]
	v_or_b32_e32 v4, v4, v119
	v_cndmask_b32_e64 v3, 0, v3, s[26:27]
	v_cndmask_b32_e64 v2, 0, v2, s[26:27]
	v_or_b32_e32 v4, v4, v118
	v_lshl_add_u64 v[2:3], v[2:3], 0, v[68:69]
	;; [unrolled: 5-line block ×8, first 2 shown]
	v_or_b32_e32 v4, v4, v104
	v_cndmask_b32_e32 v3, 0, v3, vcc
	v_cndmask_b32_e32 v2, 0, v2, vcc
	v_or_b32_e32 v4, v4, v1
	v_mbcnt_hi_u32_b32 v9, -1, v124
	v_lshl_add_u64 v[2:3], v[2:3], 0, v[80:81]
	v_and_b32_e32 v8, 1, v4
	v_and_b32_e32 v5, 15, v9
	v_cmp_eq_u32_e32 vcc, 1, v8
	v_mov_b32_dpp v6, v2 row_shr:1 row_mask:0xf bank_mask:0xf
	v_mov_b32_dpp v7, v3 row_shr:1 row_mask:0xf bank_mask:0xf
	;; [unrolled: 1-line block ×3, first 2 shown]
	v_cmp_ne_u32_e64 s[42:43], 0, v5
	v_mov_b32_e32 v4, v8
	s_and_saveexec_b64 s[46:47], s[42:43]
; %bb.140:
	v_and_b32_e32 v4, 1, v10
	v_or_b32_e32 v8, v4, v8
	v_cndmask_b32_e64 v7, v7, 0, vcc
	v_cndmask_b32_e64 v6, v6, 0, vcc
	v_lshl_add_u64 v[2:3], v[6:7], 0, v[2:3]
	v_and_b32_e32 v4, 0xffff, v8
; %bb.141:
	s_or_b64 exec, exec, s[46:47]
	v_mov_b32_dpp v6, v2 row_shr:2 row_mask:0xf bank_mask:0xf
	v_mov_b32_dpp v7, v3 row_shr:2 row_mask:0xf bank_mask:0xf
	;; [unrolled: 1-line block ×3, first 2 shown]
	v_cmp_lt_u32_e32 vcc, 1, v5
	s_and_saveexec_b64 s[46:47], vcc
	s_cbranch_execz .LBB111_143
; %bb.142:
	v_and_b32_e32 v4, 1, v8
	v_cmp_eq_u32_e32 vcc, 1, v4
	v_and_b32_e32 v4, 1, v10
	v_cmp_eq_u32_e64 s[42:43], 1, v4
	s_or_b64 s[42:43], vcc, s[42:43]
	v_cmp_eq_u16_e32 vcc, 0, v8
	v_cndmask_b32_e64 v10, 0, 1, s[42:43]
	v_cndmask_b32_e64 v4, 0, 1, s[42:43]
	v_cndmask_b32_e32 v7, 0, v7, vcc
	v_cndmask_b32_e32 v6, 0, v6, vcc
	v_lshl_add_u64 v[2:3], v[6:7], 0, v[2:3]
	v_mov_b32_e32 v8, v10
.LBB111_143:
	s_or_b64 exec, exec, s[46:47]
	v_mov_b32_dpp v6, v2 row_shr:4 row_mask:0xf bank_mask:0xf
	v_mov_b32_dpp v7, v3 row_shr:4 row_mask:0xf bank_mask:0xf
	;; [unrolled: 1-line block ×3, first 2 shown]
	v_cmp_lt_u32_e32 vcc, 3, v5
	s_and_saveexec_b64 s[46:47], vcc
	s_cbranch_execz .LBB111_145
; %bb.144:
	v_and_b32_e32 v4, 1, v8
	v_cmp_eq_u32_e32 vcc, 1, v4
	v_and_b32_e32 v4, 1, v10
	v_cmp_eq_u32_e64 s[42:43], 1, v4
	s_or_b64 s[42:43], vcc, s[42:43]
	v_cmp_eq_u16_e32 vcc, 0, v8
	v_cndmask_b32_e64 v10, 0, 1, s[42:43]
	v_cndmask_b32_e64 v4, 0, 1, s[42:43]
	v_cndmask_b32_e32 v7, 0, v7, vcc
	v_cndmask_b32_e32 v6, 0, v6, vcc
	v_lshl_add_u64 v[2:3], v[6:7], 0, v[2:3]
	v_mov_b32_e32 v8, v10
.LBB111_145:
	s_or_b64 exec, exec, s[46:47]
	v_mov_b32_dpp v6, v2 row_shr:8 row_mask:0xf bank_mask:0xf
	v_mov_b32_dpp v7, v3 row_shr:8 row_mask:0xf bank_mask:0xf
	;; [unrolled: 1-line block ×3, first 2 shown]
	v_cmp_lt_u32_e32 vcc, 7, v5
	s_and_saveexec_b64 s[46:47], vcc
	s_cbranch_execz .LBB111_147
; %bb.146:
	v_and_b32_e32 v4, 1, v8
	v_cmp_eq_u32_e32 vcc, 1, v4
	v_and_b32_e32 v4, 1, v10
	v_cmp_eq_u32_e64 s[42:43], 1, v4
	s_or_b64 s[42:43], vcc, s[42:43]
	v_cmp_eq_u16_e32 vcc, 0, v8
	v_cndmask_b32_e64 v10, 0, 1, s[42:43]
	v_mov_b32_e32 v8, v10
	v_cndmask_b32_e32 v5, 0, v7, vcc
	v_cndmask_b32_e32 v4, 0, v6, vcc
	v_lshl_add_u64 v[2:3], v[4:5], 0, v[2:3]
	v_cndmask_b32_e64 v4, 0, 1, s[42:43]
.LBB111_147:
	s_or_b64 exec, exec, s[46:47]
	v_and_b32_e32 v10, 16, v9
	v_mov_b32_dpp v5, v2 row_bcast:15 row_mask:0xf bank_mask:0xf
	v_mov_b32_dpp v6, v3 row_bcast:15 row_mask:0xf bank_mask:0xf
	;; [unrolled: 1-line block ×3, first 2 shown]
	v_cmp_ne_u32_e32 vcc, 0, v10
	s_and_saveexec_b64 s[46:47], vcc
	s_cbranch_execz .LBB111_149
; %bb.148:
	v_and_b32_e32 v4, 1, v8
	v_cmp_eq_u32_e32 vcc, 1, v4
	v_and_b32_e32 v4, 1, v7
	v_cmp_eq_u32_e64 s[42:43], 1, v4
	s_or_b64 s[42:43], vcc, s[42:43]
	v_cmp_eq_u16_e32 vcc, 0, v8
	v_cndmask_b32_e64 v10, 0, 1, s[42:43]
	v_cndmask_b32_e64 v4, 0, 1, s[42:43]
	v_cndmask_b32_e32 v7, 0, v6, vcc
	v_cndmask_b32_e32 v6, 0, v5, vcc
	v_lshl_add_u64 v[2:3], v[6:7], 0, v[2:3]
	v_mov_b32_e32 v8, v10
.LBB111_149:
	s_or_b64 exec, exec, s[46:47]
	v_mov_b32_dpp v5, v2 row_bcast:31 row_mask:0xf bank_mask:0xf
	v_mov_b32_dpp v6, v3 row_bcast:31 row_mask:0xf bank_mask:0xf
	;; [unrolled: 1-line block ×3, first 2 shown]
	v_cmp_lt_u32_e32 vcc, 31, v9
	s_and_saveexec_b64 s[46:47], vcc
; %bb.150:
	v_and_b32_e32 v7, 1, v8
	v_and_b32_e32 v4, 1, v4
	v_cmp_eq_u32_e32 vcc, 1, v7
	v_cmp_eq_u32_e64 s[42:43], 1, v4
	s_or_b64 s[42:43], vcc, s[42:43]
	v_cmp_eq_u16_e32 vcc, 0, v8
	v_cndmask_b32_e64 v4, 0, 1, s[42:43]
	v_mov_b32_e32 v8, v4
	v_cndmask_b32_e32 v7, 0, v6, vcc
	v_cndmask_b32_e32 v6, 0, v5, vcc
	v_lshl_add_u64 v[2:3], v[6:7], 0, v[2:3]
; %bb.151:
	s_or_b64 exec, exec, s[46:47]
	v_or_b32_e32 v4, 63, v0
	v_lshrrev_b32_e32 v10, 6, v0
	v_cmp_eq_u32_e32 vcc, v4, v0
	s_and_saveexec_b64 s[42:43], vcc
	s_cbranch_execz .LBB111_153
; %bb.152:
	v_lshlrev_b32_e32 v4, 4, v10
	ds_write_b64 v4, v[2:3]
	ds_write_b8 v4, v8 offset:8
.LBB111_153:
	s_or_b64 exec, exec, s[42:43]
	v_cmp_gt_u32_e32 vcc, 4, v0
	s_waitcnt lgkmcnt(0)
	s_barrier
	s_and_saveexec_b64 s[46:47], vcc
	s_cbranch_execz .LBB111_159
; %bb.154:
	v_lshlrev_b32_e32 v6, 4, v0
	ds_read_b64 v[4:5], v6
	ds_read_b32 v11, v6 offset:8
	v_and_b32_e32 v12, 3, v9
	v_cmp_ne_u32_e32 vcc, 0, v12
	s_waitcnt lgkmcnt(1)
	v_mov_b32_dpp v14, v4 row_shr:1 row_mask:0xf bank_mask:0xf
	v_mov_b32_dpp v15, v5 row_shr:1 row_mask:0xf bank_mask:0xf
	s_waitcnt lgkmcnt(0)
	v_mov_b32_dpp v16, v11 row_shr:1 row_mask:0xf bank_mask:0xf
	v_mov_b32_e32 v7, v11
	v_mov_b32_e32 v13, v11
	s_and_saveexec_b64 s[42:43], vcc
; %bb.155:
	v_or_b32_e32 v13, v16, v11
	v_mov_b32_e32 v16, 0
	v_cmp_eq_u16_sdwa vcc, v11, v16 src0_sel:BYTE_0 src1_sel:DWORD
	v_and_b32_e32 v7, 1, v13
	v_and_b32_e32 v13, 1, v13
	v_cndmask_b32_e32 v15, 0, v15, vcc
	v_cndmask_b32_e32 v14, 0, v14, vcc
	s_movk_i32 s3, 0xff00
	v_lshl_add_u64 v[4:5], v[14:15], 0, v[4:5]
	v_and_or_b32 v11, v11, s3, v13
; %bb.156:
	s_or_b64 exec, exec, s[42:43]
	v_mov_b32_dpp v14, v4 row_shr:2 row_mask:0xf bank_mask:0xf
	v_mov_b32_dpp v15, v5 row_shr:2 row_mask:0xf bank_mask:0xf
	;; [unrolled: 1-line block ×3, first 2 shown]
	v_cmp_lt_u32_e32 vcc, 1, v12
	s_and_saveexec_b64 s[64:65], vcc
; %bb.157:
	v_and_b32_e32 v7, 1, v13
	v_cmp_eq_u32_e32 vcc, 1, v7
	v_and_b32_e32 v7, 1, v11
	v_cmp_eq_u32_e64 s[42:43], 1, v7
	v_mov_b32_e32 v11, 0
	s_or_b64 s[42:43], vcc, s[42:43]
	v_cmp_eq_u16_sdwa vcc, v13, v11 src0_sel:BYTE_0 src1_sel:DWORD
	v_cndmask_b32_e64 v7, 0, 1, s[42:43]
	s_nop 0
	v_cndmask_b32_e32 v13, 0, v15, vcc
	v_cndmask_b32_e32 v12, 0, v14, vcc
	v_lshl_add_u64 v[4:5], v[12:13], 0, v[4:5]
; %bb.158:
	s_or_b64 exec, exec, s[64:65]
	ds_write_b64 v6, v[4:5]
	ds_write_b8 v6, v7 offset:8
.LBB111_159:
	s_or_b64 exec, exec, s[46:47]
	v_cmp_gt_u32_e32 vcc, 64, v0
	v_cmp_lt_u32_e64 s[42:43], 63, v0
	v_mov_b32_e32 v16, 0
	v_mov_b64_e32 v[6:7], 0
	s_waitcnt lgkmcnt(0)
	s_barrier
	s_and_saveexec_b64 s[46:47], s[42:43]
	s_cbranch_execz .LBB111_161
; %bb.160:
	v_lshl_add_u32 v4, v10, 4, -16
	ds_read_b64 v[6:7], v4
	ds_read_u8 v16, v4 offset:8
	v_cmp_eq_u16_e64 s[42:43], 0, v8
	s_waitcnt lgkmcnt(0)
	v_or_b32_e32 v8, v8, v16
	v_cndmask_b32_e64 v5, 0, v7, s[42:43]
	v_cndmask_b32_e64 v4, 0, v6, s[42:43]
	v_lshl_add_u64 v[2:3], v[2:3], 0, v[4:5]
	v_and_b32_e32 v8, 1, v8
.LBB111_161:
	s_or_b64 exec, exec, s[46:47]
	v_add_u32_e32 v4, -1, v9
	v_and_b32_e32 v5, 64, v9
	v_cmp_lt_i32_e64 s[42:43], v4, v5
	s_nop 1
	v_cndmask_b32_e64 v4, v4, v9, s[42:43]
	v_lshlrev_b32_e32 v4, 2, v4
	ds_bpermute_b32 v17, v4, v2
	v_and_b32_e32 v2, 0xffff, v8
	ds_bpermute_b32 v18, v4, v3
	ds_bpermute_b32 v19, v4, v2
	v_cmp_eq_u32_e64 s[42:43], 0, v9
	s_and_saveexec_b64 s[64:65], vcc
	s_cbranch_execz .LBB111_204
; %bb.162:
	v_mov_b32_e32 v11, 0
	ds_read2_b64 v[2:5], v11 offset0:6 offset1:7
	s_and_saveexec_b64 s[46:47], s[42:43]
	s_cbranch_execz .LBB111_164
; %bb.163:
	s_add_i32 s66, s2, 64
	s_mov_b32 s67, 0
	s_lshl_b64 s[68:69], s[66:67], 4
	s_add_u32 s68, s48, s68
	s_addc_u32 s69, s49, s69
	s_waitcnt lgkmcnt(0)
	global_store_dword v11, v2, s[68:69] sc1
	global_store_dword v11, v3, s[68:69] offset:4 sc1
	global_store_dword v11, v4, s[68:69] offset:8 sc1
	;; [unrolled: 1-line block ×3, first 2 shown]
	v_mov_b32_e32 v5, s66
	v_mov_b32_e32 v8, 1
	s_waitcnt vmcnt(0)
	global_store_byte v5, v8, s[52:53] sc1
.LBB111_164:
	s_or_b64 exec, exec, s[46:47]
	v_xad_u32 v8, v9, -1, s2
	v_add_u32_e32 v10, 64, v8
	s_waitcnt lgkmcnt(0)
	global_load_ubyte v5, v10, s[52:53] sc1
	s_waitcnt vmcnt(0)
	v_cmp_eq_u16_e32 vcc, 0, v5
	s_and_saveexec_b64 s[46:47], vcc
	s_cbranch_execz .LBB111_168
; %bb.165:
	v_lshl_add_u64 v[12:13], s[52:53], 0, v[10:11]
	s_mov_b64 s[66:67], 0
.LBB111_166:                            ; =>This Inner Loop Header: Depth=1
	global_load_ubyte v5, v[12:13], off sc1
	s_waitcnt vmcnt(0)
	v_cmp_ne_u16_e32 vcc, 0, v5
	s_or_b64 s[66:67], vcc, s[66:67]
	s_andn2_b64 exec, exec, s[66:67]
	s_cbranch_execnz .LBB111_166
; %bb.167:
	s_or_b64 exec, exec, s[66:67]
.LBB111_168:
	s_or_b64 exec, exec, s[46:47]
	v_mov_b32_e32 v12, s51
	v_mov_b32_e32 v13, s49
	v_cmp_eq_u16_e32 vcc, 1, v5
	v_mov_b32_e32 v14, s48
	s_nop 0
	v_cndmask_b32_e32 v13, v12, v13, vcc
	v_mov_b32_e32 v12, s50
	v_cndmask_b32_e32 v12, v12, v14, vcc
	v_lshl_add_u64 v[10:11], v[10:11], 4, v[12:13]
	global_load_dword v14, v[10:11], off sc1
	global_load_dword v15, v[10:11], off offset:4 sc1
	global_load_dword v34, v[10:11], off offset:8 sc1
	s_nop 0
	global_load_dword v10, v[10:11], off offset:12 sc1
	v_cmp_eq_u16_e32 vcc, 2, v5
	s_waitcnt vmcnt(0)
	v_lshlrev_b64 v[10:11], v9, -1
	v_and_b32_e32 v12, 63, v9
	v_and_b32_e32 v13, vcc_hi, v11
	v_and_b32_e32 v21, vcc_lo, v10
	v_cmp_ne_u32_e32 vcc, 63, v12
	v_or_b32_e32 v13, 0x80000000, v13
	v_ffbl_b32_e32 v13, v13
	v_addc_co_u32_e32 v20, vcc, 0, v9, vcc
	v_lshlrev_b32_e32 v20, 2, v20
	v_add_u32_e32 v13, 32, v13
	v_ffbl_b32_e32 v21, v21
	v_min_u32_e32 v13, v21, v13
	v_add_u32_e32 v21, 1, v9
	v_cmp_le_u32_e32 vcc, v21, v13
	ds_bpermute_b32 v23, v20, v14
	ds_bpermute_b32 v24, v20, v15
	v_and_b32_e32 v30, 0xff, v34
	ds_bpermute_b32 v22, v20, v30
	s_and_saveexec_b64 s[46:47], vcc
	s_cbranch_execz .LBB111_170
; %bb.169:
	v_mov_b32_e32 v25, 0
	v_cmp_eq_u16_sdwa vcc, v34, v25 src0_sel:BYTE_0 src1_sel:DWORD
	s_waitcnt lgkmcnt(0)
	v_or_b32_e32 v22, v22, v34
	v_and_b32_e32 v34, 1, v22
	v_cndmask_b32_e32 v25, 0, v24, vcc
	v_cndmask_b32_e32 v24, 0, v23, vcc
	v_lshl_add_u64 v[14:15], v[24:25], 0, v[14:15]
	v_and_b32_e32 v30, 1, v22
.LBB111_170:
	s_or_b64 exec, exec, s[46:47]
	v_cmp_gt_u32_e32 vcc, 62, v12
	s_waitcnt lgkmcnt(2)
	v_add_u32_e32 v23, 2, v9
	s_waitcnt lgkmcnt(0)
	v_cndmask_b32_e64 v22, 0, 1, vcc
	v_lshlrev_b32_e32 v22, 1, v22
	v_add_lshl_u32 v22, v22, v9, 2
	ds_bpermute_b32 v25, v22, v14
	ds_bpermute_b32 v26, v22, v15
	;; [unrolled: 1-line block ×3, first 2 shown]
	v_cmp_le_u32_e32 vcc, v23, v13
	s_and_saveexec_b64 s[66:67], vcc
	s_cbranch_execz .LBB111_172
; %bb.171:
	v_mov_b32_e32 v27, 0
	v_cmp_eq_u16_sdwa vcc, v34, v27 src0_sel:BYTE_0 src1_sel:DWORD
	s_waitcnt lgkmcnt(0)
	v_and_b32_e32 v24, 1, v24
	v_cmp_eq_u32_e64 s[46:47], 1, v24
	v_cndmask_b32_e32 v27, 0, v26, vcc
	v_cndmask_b32_e32 v26, 0, v25, vcc
	v_and_b32_e32 v25, 1, v34
	v_cmp_eq_u32_e32 vcc, 1, v25
	s_or_b64 s[46:47], vcc, s[46:47]
	v_lshl_add_u64 v[14:15], v[26:27], 0, v[14:15]
	v_cndmask_b32_e64 v34, 0, 1, s[46:47]
	v_cndmask_b32_e64 v30, 0, 1, s[46:47]
.LBB111_172:
	s_or_b64 exec, exec, s[66:67]
	v_cmp_gt_u32_e32 vcc, 60, v12
	s_waitcnt lgkmcnt(2)
	v_add_u32_e32 v25, 4, v9
	s_waitcnt lgkmcnt(0)
	v_cndmask_b32_e64 v24, 0, 1, vcc
	v_lshlrev_b32_e32 v24, 2, v24
	v_add_lshl_u32 v24, v24, v9, 2
	ds_bpermute_b32 v27, v24, v14
	ds_bpermute_b32 v28, v24, v15
	;; [unrolled: 1-line block ×3, first 2 shown]
	v_cmp_le_u32_e32 vcc, v25, v13
	s_and_saveexec_b64 s[66:67], vcc
	s_cbranch_execz .LBB111_174
; %bb.173:
	v_mov_b32_e32 v29, 0
	v_cmp_eq_u16_sdwa vcc, v34, v29 src0_sel:BYTE_0 src1_sel:DWORD
	s_waitcnt lgkmcnt(0)
	v_and_b32_e32 v26, 1, v26
	v_cmp_eq_u32_e64 s[46:47], 1, v26
	v_cndmask_b32_e32 v29, 0, v28, vcc
	v_cndmask_b32_e32 v28, 0, v27, vcc
	v_and_b32_e32 v27, 1, v34
	v_cmp_eq_u32_e32 vcc, 1, v27
	s_or_b64 s[46:47], vcc, s[46:47]
	v_lshl_add_u64 v[14:15], v[28:29], 0, v[14:15]
	v_cndmask_b32_e64 v34, 0, 1, s[46:47]
	v_cndmask_b32_e64 v30, 0, 1, s[46:47]
.LBB111_174:
	s_or_b64 exec, exec, s[66:67]
	v_cmp_gt_u32_e32 vcc, 56, v12
	s_waitcnt lgkmcnt(2)
	v_add_u32_e32 v27, 8, v9
	s_waitcnt lgkmcnt(0)
	v_cndmask_b32_e64 v26, 0, 1, vcc
	v_lshlrev_b32_e32 v26, 3, v26
	v_add_lshl_u32 v26, v26, v9, 2
	ds_bpermute_b32 v29, v26, v14
	ds_bpermute_b32 v31, v26, v15
	;; [unrolled: 1-line block ×3, first 2 shown]
	v_cmp_le_u32_e32 vcc, v27, v13
	s_and_saveexec_b64 s[66:67], vcc
	s_cbranch_execz .LBB111_176
; %bb.175:
	v_mov_b32_e32 v30, 0
	v_cmp_eq_u16_sdwa vcc, v34, v30 src0_sel:BYTE_0 src1_sel:DWORD
	s_waitcnt lgkmcnt(0)
	v_and_b32_e32 v28, 1, v28
	v_cmp_eq_u32_e64 s[46:47], 1, v28
	v_cndmask_b32_e32 v30, 0, v29, vcc
	v_and_b32_e32 v29, 1, v34
	v_cndmask_b32_e32 v31, 0, v31, vcc
	v_cmp_eq_u32_e32 vcc, 1, v29
	s_or_b64 s[46:47], vcc, s[46:47]
	v_lshl_add_u64 v[14:15], v[30:31], 0, v[14:15]
	v_cndmask_b32_e64 v34, 0, 1, s[46:47]
	v_cndmask_b32_e64 v30, 0, 1, s[46:47]
.LBB111_176:
	s_or_b64 exec, exec, s[66:67]
	v_cmp_gt_u32_e32 vcc, 48, v12
	s_waitcnt lgkmcnt(2)
	v_add_u32_e32 v29, 16, v9
	s_waitcnt lgkmcnt(0)
	v_cndmask_b32_e64 v28, 0, 1, vcc
	v_lshlrev_b32_e32 v28, 4, v28
	v_add_lshl_u32 v28, v28, v9, 2
	ds_bpermute_b32 v32, v28, v14
	ds_bpermute_b32 v33, v28, v15
	;; [unrolled: 1-line block ×3, first 2 shown]
	v_cmp_le_u32_e32 vcc, v29, v13
	s_and_saveexec_b64 s[66:67], vcc
	s_cbranch_execz .LBB111_178
; %bb.177:
	v_mov_b32_e32 v30, 0
	v_cmp_eq_u16_sdwa vcc, v34, v30 src0_sel:BYTE_0 src1_sel:DWORD
	v_and_b32_e32 v30, 1, v34
	s_waitcnt lgkmcnt(1)
	v_cndmask_b32_e32 v33, 0, v33, vcc
	v_cndmask_b32_e32 v32, 0, v32, vcc
	v_cmp_eq_u32_e32 vcc, 1, v30
	s_waitcnt lgkmcnt(0)
	v_and_b32_e32 v30, 1, v31
	v_cmp_eq_u32_e64 s[46:47], 1, v30
	s_or_b64 s[46:47], vcc, s[46:47]
	v_lshl_add_u64 v[14:15], v[32:33], 0, v[14:15]
	v_cndmask_b32_e64 v34, 0, 1, s[46:47]
	v_cndmask_b32_e64 v30, 0, 1, s[46:47]
.LBB111_178:
	s_or_b64 exec, exec, s[66:67]
	v_cmp_gt_u32_e32 vcc, 32, v12
	s_waitcnt lgkmcnt(2)
	v_add_u32_e32 v32, 32, v9
	v_cndmask_b32_e64 v12, 0, 1, vcc
	v_lshlrev_b32_e32 v12, 5, v12
	s_waitcnt lgkmcnt(0)
	v_add_lshl_u32 v31, v12, v9, 2
	ds_bpermute_b32 v33, v31, v14
	ds_bpermute_b32 v35, v31, v15
	;; [unrolled: 1-line block ×3, first 2 shown]
	v_cmp_le_u32_e32 vcc, v32, v13
	s_and_saveexec_b64 s[66:67], vcc
	s_cbranch_execz .LBB111_180
; %bb.179:
	v_mov_b32_e32 v9, 0
	v_cmp_eq_u16_sdwa vcc, v34, v9 src0_sel:BYTE_0 src1_sel:DWORD
	v_and_b32_e32 v9, 1, v34
	s_waitcnt lgkmcnt(1)
	v_cndmask_b32_e32 v37, 0, v35, vcc
	v_cndmask_b32_e32 v36, 0, v33, vcc
	v_cmp_eq_u32_e32 vcc, 1, v9
	s_waitcnt lgkmcnt(0)
	v_and_b32_e32 v9, 1, v12
	v_cmp_eq_u32_e64 s[46:47], 1, v9
	s_or_b64 s[46:47], vcc, s[46:47]
	v_lshl_add_u64 v[14:15], v[36:37], 0, v[14:15]
	v_cndmask_b32_e64 v34, 0, 1, s[46:47]
.LBB111_180:
	s_or_b64 exec, exec, s[66:67]
	v_mov_b32_e32 v9, 0
	s_waitcnt lgkmcnt(2)
	v_mov_b32_e32 v33, 2
	s_branch .LBB111_182
.LBB111_181:                            ;   in Loop: Header=BB111_182 Depth=1
	s_or_b64 exec, exec, s[68:69]
	v_cmp_eq_u16_sdwa vcc, v30, v9 src0_sel:BYTE_0 src1_sel:DWORD
	v_and_b32_e32 v34, 1, v30
	v_subrev_u32_e32 v8, 64, v8
	v_cndmask_b32_e32 v15, 0, v15, vcc
	v_cndmask_b32_e32 v14, 0, v14, vcc
	v_cmp_eq_u32_e32 vcc, 1, v34
	s_or_b64 s[46:47], vcc, s[66:67]
	v_lshl_add_u64 v[14:15], v[14:15], 0, v[12:13]
	v_cndmask_b32_e64 v34, 0, 1, s[46:47]
.LBB111_182:                            ; =>This Loop Header: Depth=1
                                        ;     Child Loop BB111_185 Depth 2
	v_cmp_ne_u16_sdwa s[46:47], v5, v33 src0_sel:BYTE_0 src1_sel:DWORD
	v_mov_b32_e32 v30, v34
	s_waitcnt lgkmcnt(0)
	v_mov_b64_e32 v[12:13], v[14:15]
	v_cndmask_b32_e64 v5, 0, 1, s[46:47]
	;;#ASMSTART
	;;#ASMEND
	s_nop 0
	v_cmp_ne_u32_e32 vcc, 0, v5
	s_cmp_lg_u64 vcc, exec
	s_cbranch_scc1 .LBB111_199
; %bb.183:                              ;   in Loop: Header=BB111_182 Depth=1
	global_load_ubyte v5, v8, s[52:53] sc1
	s_waitcnt vmcnt(0)
	v_cmp_eq_u16_e32 vcc, 0, v5
	s_and_saveexec_b64 s[46:47], vcc
	s_cbranch_execz .LBB111_187
; %bb.184:                              ;   in Loop: Header=BB111_182 Depth=1
	v_lshl_add_u64 v[14:15], s[52:53], 0, v[8:9]
	s_mov_b64 s[66:67], 0
.LBB111_185:                            ;   Parent Loop BB111_182 Depth=1
                                        ; =>  This Inner Loop Header: Depth=2
	global_load_ubyte v5, v[14:15], off sc1
	s_waitcnt vmcnt(0)
	v_cmp_ne_u16_e32 vcc, 0, v5
	s_or_b64 s[66:67], vcc, s[66:67]
	s_andn2_b64 exec, exec, s[66:67]
	s_cbranch_execnz .LBB111_185
; %bb.186:                              ;   in Loop: Header=BB111_182 Depth=1
	s_or_b64 exec, exec, s[66:67]
.LBB111_187:                            ;   in Loop: Header=BB111_182 Depth=1
	s_or_b64 exec, exec, s[46:47]
	v_mov_b32_e32 v14, s51
	v_mov_b32_e32 v15, s49
	v_cmp_eq_u16_e32 vcc, 1, v5
	v_mov_b32_e32 v34, s48
	s_nop 0
	v_cndmask_b32_e32 v15, v14, v15, vcc
	v_mov_b32_e32 v14, s50
	v_cndmask_b32_e32 v14, v14, v34, vcc
	v_lshl_add_u64 v[34:35], v[8:9], 4, v[14:15]
	global_load_dword v14, v[34:35], off sc1
	global_load_dword v15, v[34:35], off offset:4 sc1
	global_load_dword v37, v[34:35], off offset:8 sc1
	s_nop 0
	global_load_dword v34, v[34:35], off offset:12 sc1
	v_cmp_eq_u16_e32 vcc, 2, v5
	s_waitcnt vmcnt(3)
	ds_bpermute_b32 v39, v20, v14
	s_waitcnt vmcnt(0)
	v_and_b32_e32 v34, vcc_hi, v11
	v_and_b32_e32 v36, 0xff, v37
	v_or_b32_e32 v34, 0x80000000, v34
	ds_bpermute_b32 v82, v20, v15
	ds_bpermute_b32 v38, v20, v36
	v_and_b32_e32 v35, vcc_lo, v10
	v_ffbl_b32_e32 v34, v34
	v_add_u32_e32 v34, 32, v34
	v_ffbl_b32_e32 v35, v35
	v_min_u32_e32 v34, v35, v34
	v_cmp_le_u32_e32 vcc, v21, v34
	v_mov_b32_e32 v35, v37
	s_and_saveexec_b64 s[46:47], vcc
	s_cbranch_execz .LBB111_189
; %bb.188:                              ;   in Loop: Header=BB111_182 Depth=1
	v_cmp_eq_u16_sdwa vcc, v37, v9 src0_sel:BYTE_0 src1_sel:DWORD
	s_waitcnt lgkmcnt(0)
	v_or_b32_e32 v37, v38, v37
	v_and_b32_e32 v35, 1, v37
	v_cndmask_b32_e32 v83, 0, v82, vcc
	v_cndmask_b32_e32 v82, 0, v39, vcc
	v_lshl_add_u64 v[14:15], v[82:83], 0, v[14:15]
	v_and_b32_e32 v36, 1, v37
.LBB111_189:                            ;   in Loop: Header=BB111_182 Depth=1
	s_or_b64 exec, exec, s[46:47]
	s_waitcnt lgkmcnt(2)
	ds_bpermute_b32 v39, v22, v14
	s_waitcnt lgkmcnt(2)
	ds_bpermute_b32 v82, v22, v15
	;; [unrolled: 2-line block ×3, first 2 shown]
	v_and_b32_e32 v37, 1, v37
	v_cmp_eq_u32_e64 s[66:67], 1, v37
	v_cmp_le_u32_e32 vcc, v23, v34
	s_and_saveexec_b64 s[68:69], vcc
	s_cbranch_execz .LBB111_191
; %bb.190:                              ;   in Loop: Header=BB111_182 Depth=1
	v_cmp_eq_u16_sdwa vcc, v35, v9 src0_sel:BYTE_0 src1_sel:DWORD
	v_and_b32_e32 v35, 1, v35
	s_andn2_b64 s[66:67], s[66:67], exec
	s_waitcnt lgkmcnt(1)
	v_cndmask_b32_e32 v37, 0, v82, vcc
	v_cndmask_b32_e32 v36, 0, v39, vcc
	v_cmp_eq_u32_e32 vcc, 1, v35
	s_waitcnt lgkmcnt(0)
	v_and_b32_e32 v35, 1, v38
	v_cmp_eq_u32_e64 s[46:47], 1, v35
	s_or_b64 s[46:47], vcc, s[46:47]
	v_lshl_add_u64 v[14:15], v[36:37], 0, v[14:15]
	v_cndmask_b32_e64 v35, 0, 1, s[46:47]
	v_cndmask_b32_e64 v36, 0, 1, s[46:47]
	s_and_b64 s[46:47], s[46:47], exec
	s_or_b64 s[66:67], s[66:67], s[46:47]
.LBB111_191:                            ;   in Loop: Header=BB111_182 Depth=1
	s_or_b64 exec, exec, s[68:69]
	s_waitcnt lgkmcnt(0)
	ds_bpermute_b32 v38, v24, v14
	ds_bpermute_b32 v39, v24, v15
	;; [unrolled: 1-line block ×3, first 2 shown]
	v_cmp_le_u32_e32 vcc, v25, v34
	s_and_saveexec_b64 s[68:69], vcc
	s_cbranch_execz .LBB111_193
; %bb.192:                              ;   in Loop: Header=BB111_182 Depth=1
	v_cmp_eq_u16_sdwa vcc, v35, v9 src0_sel:BYTE_0 src1_sel:DWORD
	v_and_b32_e32 v35, 1, v35
	s_andn2_b64 s[66:67], s[66:67], exec
	s_waitcnt lgkmcnt(1)
	v_cndmask_b32_e32 v39, 0, v39, vcc
	v_cndmask_b32_e32 v38, 0, v38, vcc
	v_cmp_eq_u32_e32 vcc, 1, v35
	s_waitcnt lgkmcnt(0)
	v_and_b32_e32 v35, 1, v37
	v_cmp_eq_u32_e64 s[46:47], 1, v35
	s_or_b64 s[46:47], vcc, s[46:47]
	v_lshl_add_u64 v[14:15], v[38:39], 0, v[14:15]
	v_cndmask_b32_e64 v35, 0, 1, s[46:47]
	v_cndmask_b32_e64 v36, 0, 1, s[46:47]
	s_and_b64 s[46:47], s[46:47], exec
	s_or_b64 s[66:67], s[66:67], s[46:47]
.LBB111_193:                            ;   in Loop: Header=BB111_182 Depth=1
	s_or_b64 exec, exec, s[68:69]
	s_waitcnt lgkmcnt(2)
	ds_bpermute_b32 v38, v26, v14
	s_waitcnt lgkmcnt(2)
	ds_bpermute_b32 v39, v26, v15
	;; [unrolled: 2-line block ×3, first 2 shown]
	v_cmp_le_u32_e32 vcc, v27, v34
	s_and_saveexec_b64 s[68:69], vcc
	s_cbranch_execz .LBB111_195
; %bb.194:                              ;   in Loop: Header=BB111_182 Depth=1
	v_cmp_eq_u16_sdwa vcc, v35, v9 src0_sel:BYTE_0 src1_sel:DWORD
	v_and_b32_e32 v35, 1, v35
	s_andn2_b64 s[66:67], s[66:67], exec
	s_waitcnt lgkmcnt(1)
	v_cndmask_b32_e32 v39, 0, v39, vcc
	v_cndmask_b32_e32 v38, 0, v38, vcc
	v_cmp_eq_u32_e32 vcc, 1, v35
	s_waitcnt lgkmcnt(0)
	v_and_b32_e32 v35, 1, v37
	v_cmp_eq_u32_e64 s[46:47], 1, v35
	s_or_b64 s[46:47], vcc, s[46:47]
	v_lshl_add_u64 v[14:15], v[38:39], 0, v[14:15]
	v_cndmask_b32_e64 v35, 0, 1, s[46:47]
	v_cndmask_b32_e64 v36, 0, 1, s[46:47]
	s_and_b64 s[46:47], s[46:47], exec
	s_or_b64 s[66:67], s[66:67], s[46:47]
.LBB111_195:                            ;   in Loop: Header=BB111_182 Depth=1
	s_or_b64 exec, exec, s[68:69]
	s_waitcnt lgkmcnt(2)
	ds_bpermute_b32 v38, v28, v14
	s_waitcnt lgkmcnt(2)
	ds_bpermute_b32 v39, v28, v15
	;; [unrolled: 2-line block ×3, first 2 shown]
	v_cmp_le_u32_e32 vcc, v29, v34
	s_and_saveexec_b64 s[68:69], vcc
	s_cbranch_execz .LBB111_197
; %bb.196:                              ;   in Loop: Header=BB111_182 Depth=1
	v_cmp_eq_u16_sdwa vcc, v35, v9 src0_sel:BYTE_0 src1_sel:DWORD
	v_and_b32_e32 v35, 1, v35
	s_andn2_b64 s[66:67], s[66:67], exec
	s_waitcnt lgkmcnt(1)
	v_cndmask_b32_e32 v39, 0, v39, vcc
	v_cndmask_b32_e32 v38, 0, v38, vcc
	v_cmp_eq_u32_e32 vcc, 1, v35
	s_waitcnt lgkmcnt(0)
	v_and_b32_e32 v35, 1, v37
	v_cmp_eq_u32_e64 s[46:47], 1, v35
	s_or_b64 s[46:47], vcc, s[46:47]
	v_lshl_add_u64 v[14:15], v[38:39], 0, v[14:15]
	v_cndmask_b32_e64 v35, 0, 1, s[46:47]
	v_cndmask_b32_e64 v36, 0, 1, s[46:47]
	s_and_b64 s[46:47], s[46:47], exec
	s_or_b64 s[66:67], s[66:67], s[46:47]
.LBB111_197:                            ;   in Loop: Header=BB111_182 Depth=1
	s_or_b64 exec, exec, s[68:69]
	s_waitcnt lgkmcnt(0)
	ds_bpermute_b32 v37, v31, v14
	ds_bpermute_b32 v38, v31, v15
	;; [unrolled: 1-line block ×3, first 2 shown]
	v_cmp_le_u32_e32 vcc, v32, v34
	s_and_saveexec_b64 s[68:69], vcc
	s_cbranch_execz .LBB111_181
; %bb.198:                              ;   in Loop: Header=BB111_182 Depth=1
	v_cmp_eq_u16_sdwa vcc, v35, v9 src0_sel:BYTE_0 src1_sel:DWORD
	v_and_b32_e32 v34, 1, v35
	s_andn2_b64 s[66:67], s[66:67], exec
	s_waitcnt lgkmcnt(1)
	v_cndmask_b32_e32 v39, 0, v38, vcc
	v_cndmask_b32_e32 v38, 0, v37, vcc
	v_cmp_eq_u32_e32 vcc, 1, v34
	s_waitcnt lgkmcnt(0)
	v_and_b32_e32 v34, 1, v36
	v_cmp_eq_u32_e64 s[46:47], 1, v34
	s_or_b64 s[46:47], vcc, s[46:47]
	s_and_b64 s[46:47], s[46:47], exec
	v_lshl_add_u64 v[14:15], v[38:39], 0, v[14:15]
	s_or_b64 s[66:67], s[66:67], s[46:47]
	s_branch .LBB111_181
.LBB111_199:                            ;   in Loop: Header=BB111_182 Depth=1
                                        ; implicit-def: $vgpr34
                                        ; implicit-def: $vgpr14_vgpr15
                                        ; implicit-def: $vgpr5
	s_cbranch_execz .LBB111_182
; %bb.200:
	s_and_saveexec_b64 s[46:47], s[42:43]
	s_cbranch_execz .LBB111_202
; %bb.201:
	s_mov_b32 s3, 0
	v_mov_b32_e32 v5, 0
	s_add_i32 s2, s2, 64
	v_cmp_eq_u32_sdwa vcc, v4, v5 src0_sel:BYTE_0 src1_sel:DWORD
	s_lshl_b64 s[48:49], s[2:3], 4
	v_and_b32_e32 v4, 1, v4
	v_cndmask_b32_e32 v9, 0, v13, vcc
	v_cndmask_b32_e32 v8, 0, v12, vcc
	s_add_u32 s48, s50, s48
	v_lshl_add_u64 v[2:3], v[8:9], 0, v[2:3]
	v_and_b32_e32 v8, 1, v30
	v_cmp_eq_u32_e32 vcc, 1, v4
	s_addc_u32 s49, s51, s49
	s_nop 0
	v_cndmask_b32_e64 v4, v8, 1, vcc
	global_store_dword v5, v2, s[48:49] sc1
	global_store_dword v5, v3, s[48:49] offset:4 sc1
	global_store_dword v5, v4, s[48:49] offset:8 sc1
	global_store_dword v5, v5, s[48:49] offset:12 sc1
	v_mov_b32_e32 v2, s2
	v_mov_b32_e32 v3, 2
	s_waitcnt vmcnt(0) lgkmcnt(0)
	global_store_byte v2, v3, s[52:53] sc1
.LBB111_202:
	s_or_b64 exec, exec, s[46:47]
	v_cmp_eq_u32_e32 vcc, 0, v0
	s_and_b64 exec, exec, vcc
	s_cbranch_execz .LBB111_204
; %bb.203:
	v_mov_b32_e32 v2, 0
	ds_write_b64 v2, v[12:13] offset:48
	ds_write_b8 v2, v30 offset:56
.LBB111_204:
	s_or_b64 exec, exec, s[64:65]
	v_mov_b32_e32 v8, 0
	s_waitcnt lgkmcnt(0)
	s_barrier
	ds_read_b64 v[2:3], v8 offset:48
	v_cndmask_b32_e64 v9, v19, v16, s[42:43]
	v_cmp_eq_u16_sdwa vcc, v9, v8 src0_sel:BYTE_0 src1_sel:DWORD
	v_cndmask_b32_e64 v4, v17, v6, s[42:43]
	v_cndmask_b32_e64 v5, v18, v7, s[42:43]
	s_waitcnt lgkmcnt(0)
	v_cndmask_b32_e32 v7, 0, v3, vcc
	v_cndmask_b32_e32 v6, 0, v2, vcc
	v_lshl_add_u64 v[4:5], v[4:5], 0, v[6:7]
	v_cmp_eq_u32_e32 vcc, 0, v0
	s_nop 1
	v_cndmask_b32_e32 v83, v5, v3, vcc
	v_cndmask_b32_e32 v82, v4, v2, vcc
	v_cmp_eq_u16_sdwa vcc, v1, v8 src0_sel:BYTE_0 src1_sel:DWORD
	s_nop 1
	v_cndmask_b32_e32 v3, 0, v83, vcc
	v_cndmask_b32_e32 v2, 0, v82, vcc
	v_lshl_add_u64 v[6:7], v[2:3], 0, v[42:43]
	v_cndmask_b32_e64 v3, 0, v7, s[44:45]
	v_cndmask_b32_e64 v2, 0, v6, s[44:45]
	v_lshl_add_u64 v[2:3], v[2:3], 0, v[44:45]
	v_cndmask_b32_e64 v5, 0, v3, s[4:5]
	v_cndmask_b32_e64 v4, 0, v2, s[4:5]
	;; [unrolled: 3-line block ×19, first 2 shown]
	s_branch .LBB111_233
.LBB111_205:
                                        ; implicit-def: $vgpr2_vgpr3_vgpr4_vgpr5
                                        ; implicit-def: $vgpr82_vgpr83
                                        ; implicit-def: $vgpr102_vgpr103
                                        ; implicit-def: $vgpr100_vgpr101
                                        ; implicit-def: $vgpr98_vgpr99
                                        ; implicit-def: $vgpr96_vgpr97
                                        ; implicit-def: $vgpr94_vgpr95
                                        ; implicit-def: $vgpr92_vgpr93
                                        ; implicit-def: $vgpr90_vgpr91
                                        ; implicit-def: $vgpr88_vgpr89
                                        ; implicit-def: $vgpr86_vgpr87
                                        ; implicit-def: $vgpr84_vgpr85
                                        ; implicit-def: $vgpr36_vgpr37_vgpr38_vgpr39
                                        ; implicit-def: $vgpr32_vgpr33_vgpr34_vgpr35
                                        ; implicit-def: $vgpr28_vgpr29_vgpr30_vgpr31
                                        ; implicit-def: $vgpr24_vgpr25_vgpr26_vgpr27
                                        ; implicit-def: $vgpr20_vgpr21_vgpr22_vgpr23
                                        ; implicit-def: $vgpr16_vgpr17_vgpr18_vgpr19
                                        ; implicit-def: $vgpr12_vgpr13_vgpr14_vgpr15
                                        ; implicit-def: $vgpr8_vgpr9_vgpr10_vgpr11
                                        ; implicit-def: $vgpr4_vgpr5_vgpr6_vgpr7
	s_cbranch_execz .LBB111_233
; %bb.206:
	s_cmp_eq_u64 s[62:63], 0
	s_cbranch_scc1 .LBB111_208
; %bb.207:
	s_load_dwordx2 s[58:59], s[62:63], 0x0
.LBB111_208:
	v_mov_b32_e32 v4, 0
	v_cmp_eq_u16_sdwa vcc, v104, v4 src0_sel:BYTE_0 src1_sel:DWORD
	v_cmp_eq_u16_sdwa s[2:3], v105, v4 src0_sel:BYTE_0 src1_sel:DWORD
	v_cmp_eq_u16_sdwa s[4:5], v107, v4 src0_sel:BYTE_0 src1_sel:DWORD
	v_cndmask_b32_e32 v3, 0, v43, vcc
	v_cndmask_b32_e32 v2, 0, v42, vcc
	v_lshl_add_u64 v[2:3], v[2:3], 0, v[44:45]
	v_cndmask_b32_e64 v3, 0, v3, s[2:3]
	v_cndmask_b32_e64 v2, 0, v2, s[2:3]
	v_lshl_add_u64 v[2:3], v[2:3], 0, v[46:47]
	v_cndmask_b32_e64 v3, 0, v3, s[4:5]
	v_cndmask_b32_e64 v2, 0, v2, s[4:5]
	v_lshl_add_u64 v[2:3], v[2:3], 0, v[48:49]
	v_cmp_eq_u16_sdwa s[6:7], v108, v4 src0_sel:BYTE_0 src1_sel:DWORD
	v_cmp_eq_u16_sdwa s[8:9], v109, v4 src0_sel:BYTE_0 src1_sel:DWORD
	v_cmp_eq_u16_sdwa s[10:11], v110, v4 src0_sel:BYTE_0 src1_sel:DWORD
	v_cndmask_b32_e64 v3, 0, v3, s[6:7]
	v_cndmask_b32_e64 v2, 0, v2, s[6:7]
	v_lshl_add_u64 v[2:3], v[2:3], 0, v[50:51]
	v_cndmask_b32_e64 v3, 0, v3, s[8:9]
	v_cndmask_b32_e64 v2, 0, v2, s[8:9]
	v_lshl_add_u64 v[2:3], v[2:3], 0, v[52:53]
	v_cndmask_b32_e64 v3, 0, v3, s[10:11]
	v_cndmask_b32_e64 v2, 0, v2, s[10:11]
	v_lshl_add_u64 v[2:3], v[2:3], 0, v[54:55]
	v_cmp_eq_u16_sdwa s[12:13], v111, v4 src0_sel:BYTE_0 src1_sel:DWORD
	v_cmp_eq_u16_sdwa s[14:15], v112, v4 src0_sel:BYTE_0 src1_sel:DWORD
	v_cmp_eq_u16_sdwa s[16:17], v113, v4 src0_sel:BYTE_0 src1_sel:DWORD
	v_cndmask_b32_e64 v3, 0, v3, s[12:13]
	v_cndmask_b32_e64 v2, 0, v2, s[12:13]
	;; [unrolled: 12-line block ×3, first 2 shown]
	v_lshl_add_u64 v[2:3], v[2:3], 0, v[62:63]
	v_cndmask_b32_e64 v3, 0, v3, s[20:21]
	v_cndmask_b32_e64 v2, 0, v2, s[20:21]
	v_lshl_add_u64 v[2:3], v[2:3], 0, v[64:65]
	v_cmp_eq_u16_sdwa s[24:25], v117, v4 src0_sel:BYTE_0 src1_sel:DWORD
	v_cmp_eq_u16_sdwa s[26:27], v118, v4 src0_sel:BYTE_0 src1_sel:DWORD
	;; [unrolled: 1-line block ×8, first 2 shown]
	v_or_b32_e32 v4, v125, v121
	v_cndmask_b32_e64 v3, 0, v3, s[22:23]
	v_cndmask_b32_e64 v2, 0, v2, s[22:23]
	v_or_b32_e32 v4, v4, v120
	v_lshl_add_u64 v[2:3], v[2:3], 0, v[66:67]
	v_or_b32_e32 v4, v4, v119
	v_cndmask_b32_e64 v3, 0, v3, s[24:25]
	v_cndmask_b32_e64 v2, 0, v2, s[24:25]
	v_or_b32_e32 v4, v4, v118
	v_lshl_add_u64 v[2:3], v[2:3], 0, v[68:69]
	;; [unrolled: 5-line block ×8, first 2 shown]
	v_or_b32_e32 v4, v4, v104
	v_cndmask_b32_e64 v3, 0, v3, s[40:41]
	v_cndmask_b32_e64 v2, 0, v2, s[40:41]
	v_or_b32_e32 v4, v4, v1
	v_mbcnt_hi_u32_b32 v6, -1, v124
	v_lshl_add_u64 v[2:3], v[2:3], 0, v[80:81]
	v_and_b32_e32 v7, 1, v4
	v_and_b32_e32 v5, 15, v6
	v_cmp_eq_u32_e64 s[40:41], 1, v7
	v_mov_b32_dpp v8, v2 row_shr:1 row_mask:0xf bank_mask:0xf
	v_mov_b32_dpp v9, v3 row_shr:1 row_mask:0xf bank_mask:0xf
	;; [unrolled: 1-line block ×3, first 2 shown]
	v_cmp_ne_u32_e64 s[42:43], 0, v5
	v_mov_b32_e32 v4, v7
	s_and_saveexec_b64 s[44:45], s[42:43]
; %bb.209:
	v_and_b32_e32 v4, 1, v10
	v_or_b32_e32 v7, v4, v7
	v_cndmask_b32_e64 v9, v9, 0, s[40:41]
	v_cndmask_b32_e64 v8, v8, 0, s[40:41]
	v_lshl_add_u64 v[2:3], v[8:9], 0, v[2:3]
	v_and_b32_e32 v4, 0xffff, v7
; %bb.210:
	s_or_b64 exec, exec, s[44:45]
	v_mov_b32_dpp v8, v2 row_shr:2 row_mask:0xf bank_mask:0xf
	v_mov_b32_dpp v9, v3 row_shr:2 row_mask:0xf bank_mask:0xf
	v_mov_b32_dpp v10, v4 row_shr:2 row_mask:0xf bank_mask:0xf
	v_cmp_lt_u32_e64 s[40:41], 1, v5
	s_and_saveexec_b64 s[44:45], s[40:41]
	s_cbranch_execz .LBB111_212
; %bb.211:
	v_and_b32_e32 v4, 1, v7
	v_cmp_eq_u32_e64 s[40:41], 1, v4
	v_and_b32_e32 v4, 1, v10
	v_cmp_eq_u32_e64 s[42:43], 1, v4
	s_or_b64 s[42:43], s[40:41], s[42:43]
	v_cmp_eq_u16_e64 s[40:41], 0, v7
	v_cndmask_b32_e64 v10, 0, 1, s[42:43]
	v_cndmask_b32_e64 v4, 0, 1, s[42:43]
	;; [unrolled: 1-line block ×4, first 2 shown]
	v_lshl_add_u64 v[2:3], v[8:9], 0, v[2:3]
	v_mov_b32_e32 v7, v10
.LBB111_212:
	s_or_b64 exec, exec, s[44:45]
	v_mov_b32_dpp v8, v2 row_shr:4 row_mask:0xf bank_mask:0xf
	v_mov_b32_dpp v9, v3 row_shr:4 row_mask:0xf bank_mask:0xf
	;; [unrolled: 1-line block ×3, first 2 shown]
	v_cmp_lt_u32_e64 s[40:41], 3, v5
	s_and_saveexec_b64 s[44:45], s[40:41]
	s_cbranch_execz .LBB111_214
; %bb.213:
	v_and_b32_e32 v4, 1, v7
	v_cmp_eq_u32_e64 s[40:41], 1, v4
	v_and_b32_e32 v4, 1, v10
	v_cmp_eq_u32_e64 s[42:43], 1, v4
	s_or_b64 s[42:43], s[40:41], s[42:43]
	v_cmp_eq_u16_e64 s[40:41], 0, v7
	v_cndmask_b32_e64 v10, 0, 1, s[42:43]
	v_cndmask_b32_e64 v4, 0, 1, s[42:43]
	;; [unrolled: 1-line block ×4, first 2 shown]
	v_lshl_add_u64 v[2:3], v[8:9], 0, v[2:3]
	v_mov_b32_e32 v7, v10
.LBB111_214:
	s_or_b64 exec, exec, s[44:45]
	v_mov_b32_dpp v8, v2 row_shr:8 row_mask:0xf bank_mask:0xf
	v_mov_b32_dpp v9, v3 row_shr:8 row_mask:0xf bank_mask:0xf
	;; [unrolled: 1-line block ×3, first 2 shown]
	v_cmp_lt_u32_e64 s[40:41], 7, v5
	s_and_saveexec_b64 s[44:45], s[40:41]
	s_cbranch_execz .LBB111_216
; %bb.215:
	v_and_b32_e32 v4, 1, v7
	v_cmp_eq_u32_e64 s[40:41], 1, v4
	v_and_b32_e32 v4, 1, v10
	v_cmp_eq_u32_e64 s[42:43], 1, v4
	s_or_b64 s[42:43], s[40:41], s[42:43]
	v_cmp_eq_u16_e64 s[40:41], 0, v7
	v_cndmask_b32_e64 v10, 0, 1, s[42:43]
	v_mov_b32_e32 v7, v10
	v_cndmask_b32_e64 v5, 0, v9, s[40:41]
	v_cndmask_b32_e64 v4, 0, v8, s[40:41]
	v_lshl_add_u64 v[2:3], v[4:5], 0, v[2:3]
	v_cndmask_b32_e64 v4, 0, 1, s[42:43]
.LBB111_216:
	s_or_b64 exec, exec, s[44:45]
	v_and_b32_e32 v10, 16, v6
	v_mov_b32_dpp v5, v2 row_bcast:15 row_mask:0xf bank_mask:0xf
	v_mov_b32_dpp v8, v3 row_bcast:15 row_mask:0xf bank_mask:0xf
	;; [unrolled: 1-line block ×3, first 2 shown]
	v_cmp_ne_u32_e64 s[40:41], 0, v10
	s_and_saveexec_b64 s[44:45], s[40:41]
	s_cbranch_execz .LBB111_218
; %bb.217:
	v_and_b32_e32 v4, 1, v7
	v_cmp_eq_u32_e64 s[40:41], 1, v4
	v_and_b32_e32 v4, 1, v9
	v_cmp_eq_u32_e64 s[42:43], 1, v4
	s_or_b64 s[42:43], s[40:41], s[42:43]
	v_cmp_eq_u16_e64 s[40:41], 0, v7
	v_cndmask_b32_e64 v10, 0, 1, s[42:43]
	v_cndmask_b32_e64 v4, 0, 1, s[42:43]
	;; [unrolled: 1-line block ×4, first 2 shown]
	v_lshl_add_u64 v[2:3], v[8:9], 0, v[2:3]
	v_mov_b32_e32 v7, v10
.LBB111_218:
	s_or_b64 exec, exec, s[44:45]
	v_mov_b32_dpp v5, v2 row_bcast:31 row_mask:0xf bank_mask:0xf
	v_mov_b32_dpp v8, v3 row_bcast:31 row_mask:0xf bank_mask:0xf
	;; [unrolled: 1-line block ×3, first 2 shown]
	v_cmp_lt_u32_e64 s[40:41], 31, v6
	s_and_saveexec_b64 s[44:45], s[40:41]
; %bb.219:
	v_and_b32_e32 v9, 1, v7
	v_and_b32_e32 v4, 1, v4
	v_cmp_eq_u32_e64 s[40:41], 1, v9
	v_cmp_eq_u32_e64 s[42:43], 1, v4
	s_or_b64 s[40:41], s[40:41], s[42:43]
	v_cndmask_b32_e64 v4, 0, 1, s[40:41]
	v_cmp_eq_u16_e64 s[40:41], 0, v7
	v_mov_b32_e32 v7, v4
	s_nop 0
	v_cndmask_b32_e64 v9, 0, v8, s[40:41]
	v_cndmask_b32_e64 v8, 0, v5, s[40:41]
	v_lshl_add_u64 v[2:3], v[8:9], 0, v[2:3]
; %bb.220:
	s_or_b64 exec, exec, s[44:45]
	v_or_b32_e32 v4, 63, v0
	v_lshrrev_b32_e32 v8, 6, v0
	v_cmp_eq_u32_e64 s[40:41], v4, v0
	s_and_saveexec_b64 s[42:43], s[40:41]
	s_cbranch_execz .LBB111_222
; %bb.221:
	v_lshlrev_b32_e32 v4, 4, v8
	ds_write_b64 v4, v[2:3]
	ds_write_b8 v4, v7 offset:8
.LBB111_222:
	s_or_b64 exec, exec, s[42:43]
	v_cmp_gt_u32_e64 s[40:41], 4, v0
	s_waitcnt lgkmcnt(0)
	s_barrier
	s_and_saveexec_b64 s[44:45], s[40:41]
	s_cbranch_execz .LBB111_228
; %bb.223:
	v_lshlrev_b32_e32 v9, 4, v0
	ds_read_b64 v[4:5], v9
	ds_read_b32 v11, v9 offset:8
	v_and_b32_e32 v12, 3, v6
	v_cmp_ne_u32_e64 s[40:41], 0, v12
	s_waitcnt lgkmcnt(1)
	v_mov_b32_dpp v14, v4 row_shr:1 row_mask:0xf bank_mask:0xf
	v_mov_b32_dpp v15, v5 row_shr:1 row_mask:0xf bank_mask:0xf
	s_waitcnt lgkmcnt(0)
	v_mov_b32_dpp v16, v11 row_shr:1 row_mask:0xf bank_mask:0xf
	v_mov_b32_e32 v10, v11
	v_mov_b32_e32 v13, v11
	s_and_saveexec_b64 s[42:43], s[40:41]
; %bb.224:
	v_or_b32_e32 v13, v16, v11
	v_mov_b32_e32 v16, 0
	v_cmp_eq_u16_sdwa s[40:41], v11, v16 src0_sel:BYTE_0 src1_sel:DWORD
	v_and_b32_e32 v10, 1, v13
	v_and_b32_e32 v13, 1, v13
	v_cndmask_b32_e64 v15, 0, v15, s[40:41]
	v_cndmask_b32_e64 v14, 0, v14, s[40:41]
	s_movk_i32 s40, 0xff00
	v_lshl_add_u64 v[4:5], v[14:15], 0, v[4:5]
	v_and_or_b32 v11, v11, s40, v13
; %bb.225:
	s_or_b64 exec, exec, s[42:43]
	v_mov_b32_dpp v14, v4 row_shr:2 row_mask:0xf bank_mask:0xf
	v_mov_b32_dpp v15, v5 row_shr:2 row_mask:0xf bank_mask:0xf
	;; [unrolled: 1-line block ×3, first 2 shown]
	v_cmp_lt_u32_e64 s[40:41], 1, v12
	s_and_saveexec_b64 s[46:47], s[40:41]
; %bb.226:
	v_and_b32_e32 v10, 1, v13
	v_cmp_eq_u32_e64 s[40:41], 1, v10
	v_and_b32_e32 v10, 1, v11
	v_cmp_eq_u32_e64 s[42:43], 1, v10
	s_or_b64 s[40:41], s[40:41], s[42:43]
	v_mov_b32_e32 v11, 0
	v_cndmask_b32_e64 v10, 0, 1, s[40:41]
	v_cmp_eq_u16_sdwa s[40:41], v13, v11 src0_sel:BYTE_0 src1_sel:DWORD
	s_nop 1
	v_cndmask_b32_e64 v13, 0, v15, s[40:41]
	v_cndmask_b32_e64 v12, 0, v14, s[40:41]
	v_lshl_add_u64 v[4:5], v[12:13], 0, v[4:5]
; %bb.227:
	s_or_b64 exec, exec, s[46:47]
	ds_write_b64 v9, v[4:5]
	ds_write_b8 v9, v10 offset:8
.LBB111_228:
	s_or_b64 exec, exec, s[44:45]
	v_cmp_lt_u32_e64 s[40:41], 63, v0
	v_mov_b64_e32 v[4:5], s[58:59]
	s_waitcnt lgkmcnt(0)
	s_barrier
	s_and_saveexec_b64 s[42:43], s[40:41]
	s_cbranch_execz .LBB111_230
; %bb.229:
	v_lshl_add_u32 v4, v8, 4, -16
	ds_read_u8 v8, v4 offset:8
	ds_read_b64 v[4:5], v4
	v_mov_b32_e32 v9, s59
	s_waitcnt lgkmcnt(1)
	v_cmp_eq_u16_e64 s[40:41], 0, v8
	v_mov_b32_e32 v8, s58
	s_nop 0
	v_cndmask_b32_e64 v9, 0, v9, s[40:41]
	v_cndmask_b32_e64 v8, 0, v8, s[40:41]
	s_waitcnt lgkmcnt(0)
	v_lshl_add_u64 v[4:5], v[8:9], 0, v[4:5]
.LBB111_230:
	s_or_b64 exec, exec, s[42:43]
	v_cmp_eq_u16_e64 s[40:41], 0, v7
	v_add_u32_e32 v7, -1, v6
	s_nop 0
	v_cndmask_b32_e64 v9, 0, v5, s[40:41]
	v_cndmask_b32_e64 v8, 0, v4, s[40:41]
	v_lshl_add_u64 v[2:3], v[8:9], 0, v[2:3]
	v_and_b32_e32 v8, 64, v6
	v_cmp_lt_i32_e64 s[40:41], v7, v8
	s_nop 1
	v_cndmask_b32_e64 v7, v7, v6, s[40:41]
	v_lshlrev_b32_e32 v7, 2, v7
	ds_bpermute_b32 v3, v7, v3
	ds_bpermute_b32 v2, v7, v2
	v_cmp_eq_u32_e64 s[40:41], 0, v6
	s_waitcnt lgkmcnt(1)
	s_nop 0
	v_cndmask_b32_e64 v83, v3, v5, s[40:41]
	s_waitcnt lgkmcnt(0)
	v_cndmask_b32_e64 v82, v2, v4, s[40:41]
	v_mov_b32_e32 v2, s58
	v_cmp_eq_u32_e64 s[40:41], 0, v0
	v_mov_b32_e32 v3, s59
	v_mov_b32_e32 v4, 0
	v_cndmask_b32_e64 v2, v82, v2, s[40:41]
	v_cndmask_b32_e64 v3, v83, v3, s[40:41]
	v_cmp_eq_u16_sdwa s[42:43], v1, v4 src0_sel:BYTE_0 src1_sel:DWORD
	s_nop 1
	v_cndmask_b32_e64 v3, 0, v3, s[42:43]
	v_cndmask_b32_e64 v2, 0, v2, s[42:43]
	v_lshl_add_u64 v[6:7], v[2:3], 0, v[42:43]
	v_cndmask_b32_e32 v3, 0, v7, vcc
	v_cndmask_b32_e32 v2, 0, v6, vcc
	v_lshl_add_u64 v[2:3], v[2:3], 0, v[44:45]
	v_cndmask_b32_e64 v9, 0, v3, s[2:3]
	v_cndmask_b32_e64 v8, 0, v2, s[2:3]
	v_lshl_add_u64 v[84:85], v[8:9], 0, v[46:47]
	v_cndmask_b32_e64 v9, 0, v85, s[4:5]
	v_cndmask_b32_e64 v8, 0, v84, s[4:5]
	;; [unrolled: 3-line block ×18, first 2 shown]
	s_and_saveexec_b64 s[2:3], s[40:41]
	s_cbranch_execz .LBB111_232
; %bb.231:
	ds_read_u8 v1, v4 offset:56
	ds_read_b64 v[10:11], v4 offset:48
	v_mov_b32_e32 v5, s59
	v_mov_b32_e32 v14, s58
	v_mov_b64_e32 v[82:83], s[58:59]
	s_waitcnt lgkmcnt(1)
	v_cmp_eq_u32_e32 vcc, 0, v1
	s_nop 1
	v_cndmask_b32_e32 v15, 0, v5, vcc
	v_cndmask_b32_e32 v14, 0, v14, vcc
	s_waitcnt lgkmcnt(0)
	v_lshl_add_u64 v[10:11], v[14:15], 0, v[10:11]
	global_store_dword v4, v10, s[50:51] offset:1024 sc1
	global_store_dword v4, v11, s[50:51] offset:1028 sc1
	global_store_dword v4, v1, s[50:51] offset:1032 sc1
	global_store_dword v4, v4, s[50:51] offset:1036 sc1
	v_mov_b32_e32 v1, 2
	s_waitcnt vmcnt(0)
	global_store_byte v4, v1, s[52:53] offset:64 sc1
.LBB111_232:
	s_or_b64 exec, exec, s[2:3]
.LBB111_233:
	s_add_u32 s2, s56, s60
	v_lshl_add_u64 v[10:11], v[102:103], 0, v[40:41]
	s_addc_u32 s3, s57, s61
	s_and_b64 vcc, exec, s[0:1]
	v_lshlrev_b32_e32 v4, 3, v0
	s_cbranch_vccz .LBB111_275
; %bb.234:
	s_movk_i32 s0, 0xa8
	v_mul_i32_i24_e32 v18, 0xffffff60, v0
	v_mul_u32_u24_e32 v1, 0xa8, v0
	v_mad_u32_u24 v5, v0, s0, v18
	s_barrier
	ds_write2_b64 v1, v[82:83], v[6:7] offset1:1
	ds_write2_b64 v1, v[2:3], v[84:85] offset0:2 offset1:3
	ds_write2_b64 v1, v[8:9], v[86:87] offset0:4 offset1:5
	;; [unrolled: 1-line block ×9, first 2 shown]
	ds_write_b64 v1, v[10:11] offset:160
	s_waitcnt lgkmcnt(0)
	s_barrier
	ds_read2st64_b64 v[74:77], v5 offset0:4 offset1:8
	ds_read2st64_b64 v[70:73], v5 offset0:12 offset1:16
	;; [unrolled: 1-line block ×10, first 2 shown]
	s_add_i32 s33, s33, s54
	v_mov_b32_e32 v5, 0
	v_lshl_add_u64 v[14:15], s[2:3], 0, v[4:5]
	v_cmp_gt_u32_e32 vcc, s33, v0
	s_and_saveexec_b64 s[0:1], vcc
	s_cbranch_execz .LBB111_236
; %bb.235:
	v_add_u32_e32 v1, v1, v18
	ds_read_b64 v[18:19], v1
	s_waitcnt lgkmcnt(0)
	global_store_dwordx2 v[14:15], v[18:19], off
.LBB111_236:
	s_or_b64 exec, exec, s[0:1]
	v_or_b32_e32 v1, 0x100, v0
	v_cmp_gt_u32_e32 vcc, s33, v1
	s_and_saveexec_b64 s[0:1], vcc
	s_cbranch_execz .LBB111_238
; %bb.237:
	s_waitcnt lgkmcnt(9)
	global_store_dwordx2 v[14:15], v[74:75], off offset:2048
.LBB111_238:
	s_or_b64 exec, exec, s[0:1]
	v_or_b32_e32 v1, 0x200, v0
	v_cmp_gt_u32_e32 vcc, s33, v1
	s_and_saveexec_b64 s[0:1], vcc
	s_cbranch_execz .LBB111_240
; %bb.239:
	v_add_co_u32_e32 v18, vcc, 0x1000, v14
	s_nop 1
	v_addc_co_u32_e32 v19, vcc, 0, v15, vcc
	s_waitcnt lgkmcnt(9)
	global_store_dwordx2 v[18:19], v[76:77], off
.LBB111_240:
	s_or_b64 exec, exec, s[0:1]
	v_or_b32_e32 v1, 0x300, v0
	v_cmp_gt_u32_e32 vcc, s33, v1
	s_and_saveexec_b64 s[0:1], vcc
	s_cbranch_execz .LBB111_242
; %bb.241:
	v_add_co_u32_e32 v18, vcc, 0x1000, v14
	s_nop 1
	v_addc_co_u32_e32 v19, vcc, 0, v15, vcc
	s_waitcnt lgkmcnt(8)
	global_store_dwordx2 v[18:19], v[70:71], off offset:2048
.LBB111_242:
	s_or_b64 exec, exec, s[0:1]
	v_or_b32_e32 v1, 0x400, v0
	v_cmp_gt_u32_e32 vcc, s33, v1
	s_and_saveexec_b64 s[0:1], vcc
	s_cbranch_execz .LBB111_244
; %bb.243:
	v_add_co_u32_e32 v18, vcc, 0x2000, v14
	s_nop 1
	v_addc_co_u32_e32 v19, vcc, 0, v15, vcc
	s_waitcnt lgkmcnt(8)
	global_store_dwordx2 v[18:19], v[72:73], off
.LBB111_244:
	s_or_b64 exec, exec, s[0:1]
	v_or_b32_e32 v1, 0x500, v0
	v_cmp_gt_u32_e32 vcc, s33, v1
	s_and_saveexec_b64 s[0:1], vcc
	s_cbranch_execz .LBB111_246
; %bb.245:
	v_add_co_u32_e32 v18, vcc, 0x2000, v14
	s_nop 1
	v_addc_co_u32_e32 v19, vcc, 0, v15, vcc
	s_waitcnt lgkmcnt(7)
	global_store_dwordx2 v[18:19], v[66:67], off offset:2048
.LBB111_246:
	;; [unrolled: 24-line block ×9, first 2 shown]
	s_or_b64 exec, exec, s[0:1]
	v_mov_b32_e32 v1, v5
	v_or_b32_e32 v5, 0x1400, v0
	v_cmp_gt_u32_e64 s[0:1], s33, v5
	s_branch .LBB111_277
.LBB111_275:
	s_mov_b64 s[0:1], 0
                                        ; implicit-def: $vgpr40_vgpr41
	s_cbranch_execz .LBB111_277
; %bb.276:
	v_mul_u32_u24_e32 v1, 0xa8, v0
	s_waitcnt lgkmcnt(0)
	s_barrier
	s_movk_i32 s4, 0xa8
	ds_write2_b64 v1, v[82:83], v[6:7] offset1:1
	ds_write2_b64 v1, v[2:3], v[84:85] offset0:2 offset1:3
	ds_write2_b64 v1, v[8:9], v[86:87] offset0:4 offset1:5
	;; [unrolled: 1-line block ×9, first 2 shown]
	ds_write_b64 v1, v[10:11] offset:160
	v_mov_b32_e32 v1, 0
	v_mul_i32_i24_e32 v2, 0xffffff60, v0
	v_mad_u32_u24 v2, v0, s4, v2
	v_mov_b32_e32 v5, v1
	s_waitcnt lgkmcnt(0)
	s_barrier
	ds_read2st64_b64 v[6:9], v2 offset1:4
	ds_read2st64_b64 v[10:13], v2 offset0:8 offset1:12
	ds_read2st64_b64 v[14:17], v2 offset0:16 offset1:20
	;; [unrolled: 1-line block ×9, first 2 shown]
	ds_read_b64 v[40:41], v2 offset:40960
	v_lshl_add_u64 v[2:3], s[2:3], 0, v[4:5]
	s_movk_i32 s4, 0x1000
	s_waitcnt lgkmcnt(10)
	global_store_dwordx2 v4, v[6:7], s[2:3]
	global_store_dwordx2 v4, v[8:9], s[2:3] offset:2048
	v_add_co_u32_e32 v4, vcc, s4, v2
	s_movk_i32 s4, 0x2000
	s_nop 0
	v_addc_co_u32_e32 v5, vcc, 0, v3, vcc
	v_add_co_u32_e32 v6, vcc, s4, v2
	s_movk_i32 s4, 0x3000
	s_nop 0
	v_addc_co_u32_e32 v7, vcc, 0, v3, vcc
	s_waitcnt lgkmcnt(9)
	global_store_dwordx2 v[6:7], v[10:11], off offset:-4096
	global_store_dwordx2 v[4:5], v[12:13], off offset:2048
	s_waitcnt lgkmcnt(8)
	global_store_dwordx2 v[6:7], v[14:15], off
	global_store_dwordx2 v[6:7], v[16:17], off offset:2048
	v_add_co_u32_e32 v4, vcc, s4, v2
	s_movk_i32 s4, 0x4000
	s_nop 0
	v_addc_co_u32_e32 v5, vcc, 0, v3, vcc
	v_add_co_u32_e32 v6, vcc, s4, v2
	s_movk_i32 s4, 0x5000
	s_nop 0
	v_addc_co_u32_e32 v7, vcc, 0, v3, vcc
	s_waitcnt lgkmcnt(7)
	global_store_dwordx2 v[6:7], v[18:19], off offset:-4096
	global_store_dwordx2 v[4:5], v[20:21], off offset:2048
	s_waitcnt lgkmcnt(6)
	global_store_dwordx2 v[6:7], v[22:23], off
	global_store_dwordx2 v[6:7], v[24:25], off offset:2048
	;; [unrolled: 14-line block ×3, first 2 shown]
	v_add_co_u32_e32 v4, vcc, s4, v2
	s_or_b64 s[0:1], s[0:1], exec
	s_nop 0
	v_addc_co_u32_e32 v5, vcc, 0, v3, vcc
	s_waitcnt lgkmcnt(3)
	global_store_dwordx2 v[4:5], v[34:35], off
	global_store_dwordx2 v[4:5], v[36:37], off offset:2048
	v_add_co_u32_e32 v4, vcc, 0x8000, v2
	s_nop 1
	v_addc_co_u32_e32 v5, vcc, 0, v3, vcc
	v_add_co_u32_e32 v2, vcc, 0x9000, v2
	s_waitcnt lgkmcnt(2)
	global_store_dwordx2 v[4:5], v[42:43], off
	global_store_dwordx2 v[4:5], v[44:45], off offset:2048
	v_addc_co_u32_e32 v3, vcc, 0, v3, vcc
	s_waitcnt lgkmcnt(1)
	global_store_dwordx2 v[2:3], v[46:47], off
	global_store_dwordx2 v[2:3], v[48:49], off offset:2048
.LBB111_277:
	s_and_saveexec_b64 s[4:5], s[0:1]
	s_cbranch_execz .LBB111_279
; %bb.278:
	v_lshl_add_u64 v[0:1], v[0:1], 3, s[2:3]
	v_add_co_u32_e32 v0, vcc, 0xa000, v0
	s_nop 1
	v_addc_co_u32_e32 v1, vcc, 0, v1, vcc
	s_waitcnt lgkmcnt(0)
	global_store_dwordx2 v[0:1], v[40:41], off
	s_endpgm
.LBB111_279:
	s_endpgm
	.section	.rodata,"a",@progbits
	.p2align	6, 0x0
	.amdhsa_kernel _ZN7rocprim6detail25device_scan_by_key_kernelILNS0_25lookback_scan_determinismE0ELb1ENS0_26wrapped_scan_by_key_configINS_14default_configEimEEPiN6hipcub22TransformInputIteratorImNS7_6CastOpImEEPmlEESB_mNS7_8EqualityENS7_3SumENS0_19lookback_scan_stateINS_5tupleIJmbEEELb0ELb0EEEmEEvT2_T3_T4_T5_T6_T7_T8_mmmPKNSG_IJT9_bEEE
		.amdhsa_group_segment_fixed_size 43008
		.amdhsa_private_segment_fixed_size 0
		.amdhsa_kernarg_size 104
		.amdhsa_user_sgpr_count 2
		.amdhsa_user_sgpr_dispatch_ptr 0
		.amdhsa_user_sgpr_queue_ptr 0
		.amdhsa_user_sgpr_kernarg_segment_ptr 1
		.amdhsa_user_sgpr_dispatch_id 0
		.amdhsa_user_sgpr_kernarg_preload_length 0
		.amdhsa_user_sgpr_kernarg_preload_offset 0
		.amdhsa_user_sgpr_private_segment_size 0
		.amdhsa_uses_dynamic_stack 0
		.amdhsa_enable_private_segment 0
		.amdhsa_system_sgpr_workgroup_id_x 1
		.amdhsa_system_sgpr_workgroup_id_y 0
		.amdhsa_system_sgpr_workgroup_id_z 0
		.amdhsa_system_sgpr_workgroup_info 0
		.amdhsa_system_vgpr_workitem_id 0
		.amdhsa_next_free_vgpr 126
		.amdhsa_next_free_sgpr 74
		.amdhsa_accum_offset 128
		.amdhsa_reserve_vcc 1
		.amdhsa_float_round_mode_32 0
		.amdhsa_float_round_mode_16_64 0
		.amdhsa_float_denorm_mode_32 3
		.amdhsa_float_denorm_mode_16_64 3
		.amdhsa_dx10_clamp 1
		.amdhsa_ieee_mode 1
		.amdhsa_fp16_overflow 0
		.amdhsa_tg_split 0
		.amdhsa_exception_fp_ieee_invalid_op 0
		.amdhsa_exception_fp_denorm_src 0
		.amdhsa_exception_fp_ieee_div_zero 0
		.amdhsa_exception_fp_ieee_overflow 0
		.amdhsa_exception_fp_ieee_underflow 0
		.amdhsa_exception_fp_ieee_inexact 0
		.amdhsa_exception_int_div_zero 0
	.end_amdhsa_kernel
	.section	.text._ZN7rocprim6detail25device_scan_by_key_kernelILNS0_25lookback_scan_determinismE0ELb1ENS0_26wrapped_scan_by_key_configINS_14default_configEimEEPiN6hipcub22TransformInputIteratorImNS7_6CastOpImEEPmlEESB_mNS7_8EqualityENS7_3SumENS0_19lookback_scan_stateINS_5tupleIJmbEEELb0ELb0EEEmEEvT2_T3_T4_T5_T6_T7_T8_mmmPKNSG_IJT9_bEEE,"axG",@progbits,_ZN7rocprim6detail25device_scan_by_key_kernelILNS0_25lookback_scan_determinismE0ELb1ENS0_26wrapped_scan_by_key_configINS_14default_configEimEEPiN6hipcub22TransformInputIteratorImNS7_6CastOpImEEPmlEESB_mNS7_8EqualityENS7_3SumENS0_19lookback_scan_stateINS_5tupleIJmbEEELb0ELb0EEEmEEvT2_T3_T4_T5_T6_T7_T8_mmmPKNSG_IJT9_bEEE,comdat
.Lfunc_end111:
	.size	_ZN7rocprim6detail25device_scan_by_key_kernelILNS0_25lookback_scan_determinismE0ELb1ENS0_26wrapped_scan_by_key_configINS_14default_configEimEEPiN6hipcub22TransformInputIteratorImNS7_6CastOpImEEPmlEESB_mNS7_8EqualityENS7_3SumENS0_19lookback_scan_stateINS_5tupleIJmbEEELb0ELb0EEEmEEvT2_T3_T4_T5_T6_T7_T8_mmmPKNSG_IJT9_bEEE, .Lfunc_end111-_ZN7rocprim6detail25device_scan_by_key_kernelILNS0_25lookback_scan_determinismE0ELb1ENS0_26wrapped_scan_by_key_configINS_14default_configEimEEPiN6hipcub22TransformInputIteratorImNS7_6CastOpImEEPmlEESB_mNS7_8EqualityENS7_3SumENS0_19lookback_scan_stateINS_5tupleIJmbEEELb0ELb0EEEmEEvT2_T3_T4_T5_T6_T7_T8_mmmPKNSG_IJT9_bEEE
                                        ; -- End function
	.section	.AMDGPU.csdata,"",@progbits
; Kernel info:
; codeLenInByte = 17064
; NumSgprs: 80
; NumVgprs: 126
; NumAgprs: 0
; TotalNumVgprs: 126
; ScratchSize: 0
; MemoryBound: 0
; FloatMode: 240
; IeeeMode: 1
; LDSByteSize: 43008 bytes/workgroup (compile time only)
; SGPRBlocks: 9
; VGPRBlocks: 15
; NumSGPRsForWavesPerEU: 80
; NumVGPRsForWavesPerEU: 126
; AccumOffset: 128
; Occupancy: 1
; WaveLimiterHint : 1
; COMPUTE_PGM_RSRC2:SCRATCH_EN: 0
; COMPUTE_PGM_RSRC2:USER_SGPR: 2
; COMPUTE_PGM_RSRC2:TRAP_HANDLER: 0
; COMPUTE_PGM_RSRC2:TGID_X_EN: 1
; COMPUTE_PGM_RSRC2:TGID_Y_EN: 0
; COMPUTE_PGM_RSRC2:TGID_Z_EN: 0
; COMPUTE_PGM_RSRC2:TIDIG_COMP_CNT: 0
; COMPUTE_PGM_RSRC3_GFX90A:ACCUM_OFFSET: 31
; COMPUTE_PGM_RSRC3_GFX90A:TG_SPLIT: 0
	.section	.text._ZN7rocprim6detail25device_scan_by_key_kernelILNS0_25lookback_scan_determinismE0ELb1ENS0_26wrapped_scan_by_key_configINS_14default_configEiyEEPiN6hipcub22TransformInputIteratorIyNS7_6CastOpIyEEPylEESB_yNS7_8EqualityENS7_3SumENS0_19lookback_scan_stateINS_5tupleIJybEEELb1ELb0EEEyEEvT2_T3_T4_T5_T6_T7_T8_mmmPKNSG_IJT9_bEEE,"axG",@progbits,_ZN7rocprim6detail25device_scan_by_key_kernelILNS0_25lookback_scan_determinismE0ELb1ENS0_26wrapped_scan_by_key_configINS_14default_configEiyEEPiN6hipcub22TransformInputIteratorIyNS7_6CastOpIyEEPylEESB_yNS7_8EqualityENS7_3SumENS0_19lookback_scan_stateINS_5tupleIJybEEELb1ELb0EEEyEEvT2_T3_T4_T5_T6_T7_T8_mmmPKNSG_IJT9_bEEE,comdat
	.protected	_ZN7rocprim6detail25device_scan_by_key_kernelILNS0_25lookback_scan_determinismE0ELb1ENS0_26wrapped_scan_by_key_configINS_14default_configEiyEEPiN6hipcub22TransformInputIteratorIyNS7_6CastOpIyEEPylEESB_yNS7_8EqualityENS7_3SumENS0_19lookback_scan_stateINS_5tupleIJybEEELb1ELb0EEEyEEvT2_T3_T4_T5_T6_T7_T8_mmmPKNSG_IJT9_bEEE ; -- Begin function _ZN7rocprim6detail25device_scan_by_key_kernelILNS0_25lookback_scan_determinismE0ELb1ENS0_26wrapped_scan_by_key_configINS_14default_configEiyEEPiN6hipcub22TransformInputIteratorIyNS7_6CastOpIyEEPylEESB_yNS7_8EqualityENS7_3SumENS0_19lookback_scan_stateINS_5tupleIJybEEELb1ELb0EEEyEEvT2_T3_T4_T5_T6_T7_T8_mmmPKNSG_IJT9_bEEE
	.globl	_ZN7rocprim6detail25device_scan_by_key_kernelILNS0_25lookback_scan_determinismE0ELb1ENS0_26wrapped_scan_by_key_configINS_14default_configEiyEEPiN6hipcub22TransformInputIteratorIyNS7_6CastOpIyEEPylEESB_yNS7_8EqualityENS7_3SumENS0_19lookback_scan_stateINS_5tupleIJybEEELb1ELb0EEEyEEvT2_T3_T4_T5_T6_T7_T8_mmmPKNSG_IJT9_bEEE
	.p2align	8
	.type	_ZN7rocprim6detail25device_scan_by_key_kernelILNS0_25lookback_scan_determinismE0ELb1ENS0_26wrapped_scan_by_key_configINS_14default_configEiyEEPiN6hipcub22TransformInputIteratorIyNS7_6CastOpIyEEPylEESB_yNS7_8EqualityENS7_3SumENS0_19lookback_scan_stateINS_5tupleIJybEEELb1ELb0EEEyEEvT2_T3_T4_T5_T6_T7_T8_mmmPKNSG_IJT9_bEEE,@function
_ZN7rocprim6detail25device_scan_by_key_kernelILNS0_25lookback_scan_determinismE0ELb1ENS0_26wrapped_scan_by_key_configINS_14default_configEiyEEPiN6hipcub22TransformInputIteratorIyNS7_6CastOpIyEEPylEESB_yNS7_8EqualityENS7_3SumENS0_19lookback_scan_stateINS_5tupleIJybEEELb1ELb0EEEyEEvT2_T3_T4_T5_T6_T7_T8_mmmPKNSG_IJT9_bEEE: ; @_ZN7rocprim6detail25device_scan_by_key_kernelILNS0_25lookback_scan_determinismE0ELb1ENS0_26wrapped_scan_by_key_configINS_14default_configEiyEEPiN6hipcub22TransformInputIteratorIyNS7_6CastOpIyEEPylEESB_yNS7_8EqualityENS7_3SumENS0_19lookback_scan_stateINS_5tupleIJybEEELb1ELb0EEEyEEvT2_T3_T4_T5_T6_T7_T8_mmmPKNSG_IJT9_bEEE
; %bb.0:
	s_endpgm
	.section	.rodata,"a",@progbits
	.p2align	6, 0x0
	.amdhsa_kernel _ZN7rocprim6detail25device_scan_by_key_kernelILNS0_25lookback_scan_determinismE0ELb1ENS0_26wrapped_scan_by_key_configINS_14default_configEiyEEPiN6hipcub22TransformInputIteratorIyNS7_6CastOpIyEEPylEESB_yNS7_8EqualityENS7_3SumENS0_19lookback_scan_stateINS_5tupleIJybEEELb1ELb0EEEyEEvT2_T3_T4_T5_T6_T7_T8_mmmPKNSG_IJT9_bEEE
		.amdhsa_group_segment_fixed_size 0
		.amdhsa_private_segment_fixed_size 0
		.amdhsa_kernarg_size 104
		.amdhsa_user_sgpr_count 2
		.amdhsa_user_sgpr_dispatch_ptr 0
		.amdhsa_user_sgpr_queue_ptr 0
		.amdhsa_user_sgpr_kernarg_segment_ptr 1
		.amdhsa_user_sgpr_dispatch_id 0
		.amdhsa_user_sgpr_kernarg_preload_length 0
		.amdhsa_user_sgpr_kernarg_preload_offset 0
		.amdhsa_user_sgpr_private_segment_size 0
		.amdhsa_uses_dynamic_stack 0
		.amdhsa_enable_private_segment 0
		.amdhsa_system_sgpr_workgroup_id_x 1
		.amdhsa_system_sgpr_workgroup_id_y 0
		.amdhsa_system_sgpr_workgroup_id_z 0
		.amdhsa_system_sgpr_workgroup_info 0
		.amdhsa_system_vgpr_workitem_id 0
		.amdhsa_next_free_vgpr 1
		.amdhsa_next_free_sgpr 0
		.amdhsa_accum_offset 4
		.amdhsa_reserve_vcc 0
		.amdhsa_float_round_mode_32 0
		.amdhsa_float_round_mode_16_64 0
		.amdhsa_float_denorm_mode_32 3
		.amdhsa_float_denorm_mode_16_64 3
		.amdhsa_dx10_clamp 1
		.amdhsa_ieee_mode 1
		.amdhsa_fp16_overflow 0
		.amdhsa_tg_split 0
		.amdhsa_exception_fp_ieee_invalid_op 0
		.amdhsa_exception_fp_denorm_src 0
		.amdhsa_exception_fp_ieee_div_zero 0
		.amdhsa_exception_fp_ieee_overflow 0
		.amdhsa_exception_fp_ieee_underflow 0
		.amdhsa_exception_fp_ieee_inexact 0
		.amdhsa_exception_int_div_zero 0
	.end_amdhsa_kernel
	.section	.text._ZN7rocprim6detail25device_scan_by_key_kernelILNS0_25lookback_scan_determinismE0ELb1ENS0_26wrapped_scan_by_key_configINS_14default_configEiyEEPiN6hipcub22TransformInputIteratorIyNS7_6CastOpIyEEPylEESB_yNS7_8EqualityENS7_3SumENS0_19lookback_scan_stateINS_5tupleIJybEEELb1ELb0EEEyEEvT2_T3_T4_T5_T6_T7_T8_mmmPKNSG_IJT9_bEEE,"axG",@progbits,_ZN7rocprim6detail25device_scan_by_key_kernelILNS0_25lookback_scan_determinismE0ELb1ENS0_26wrapped_scan_by_key_configINS_14default_configEiyEEPiN6hipcub22TransformInputIteratorIyNS7_6CastOpIyEEPylEESB_yNS7_8EqualityENS7_3SumENS0_19lookback_scan_stateINS_5tupleIJybEEELb1ELb0EEEyEEvT2_T3_T4_T5_T6_T7_T8_mmmPKNSG_IJT9_bEEE,comdat
.Lfunc_end112:
	.size	_ZN7rocprim6detail25device_scan_by_key_kernelILNS0_25lookback_scan_determinismE0ELb1ENS0_26wrapped_scan_by_key_configINS_14default_configEiyEEPiN6hipcub22TransformInputIteratorIyNS7_6CastOpIyEEPylEESB_yNS7_8EqualityENS7_3SumENS0_19lookback_scan_stateINS_5tupleIJybEEELb1ELb0EEEyEEvT2_T3_T4_T5_T6_T7_T8_mmmPKNSG_IJT9_bEEE, .Lfunc_end112-_ZN7rocprim6detail25device_scan_by_key_kernelILNS0_25lookback_scan_determinismE0ELb1ENS0_26wrapped_scan_by_key_configINS_14default_configEiyEEPiN6hipcub22TransformInputIteratorIyNS7_6CastOpIyEEPylEESB_yNS7_8EqualityENS7_3SumENS0_19lookback_scan_stateINS_5tupleIJybEEELb1ELb0EEEyEEvT2_T3_T4_T5_T6_T7_T8_mmmPKNSG_IJT9_bEEE
                                        ; -- End function
	.section	.AMDGPU.csdata,"",@progbits
; Kernel info:
; codeLenInByte = 4
; NumSgprs: 6
; NumVgprs: 0
; NumAgprs: 0
; TotalNumVgprs: 0
; ScratchSize: 0
; MemoryBound: 0
; FloatMode: 240
; IeeeMode: 1
; LDSByteSize: 0 bytes/workgroup (compile time only)
; SGPRBlocks: 0
; VGPRBlocks: 0
; NumSGPRsForWavesPerEU: 6
; NumVGPRsForWavesPerEU: 1
; AccumOffset: 4
; Occupancy: 8
; WaveLimiterHint : 0
; COMPUTE_PGM_RSRC2:SCRATCH_EN: 0
; COMPUTE_PGM_RSRC2:USER_SGPR: 2
; COMPUTE_PGM_RSRC2:TRAP_HANDLER: 0
; COMPUTE_PGM_RSRC2:TGID_X_EN: 1
; COMPUTE_PGM_RSRC2:TGID_Y_EN: 0
; COMPUTE_PGM_RSRC2:TGID_Z_EN: 0
; COMPUTE_PGM_RSRC2:TIDIG_COMP_CNT: 0
; COMPUTE_PGM_RSRC3_GFX90A:ACCUM_OFFSET: 0
; COMPUTE_PGM_RSRC3_GFX90A:TG_SPLIT: 0
	.section	.text._ZN7rocprim6detail25device_scan_by_key_kernelILNS0_25lookback_scan_determinismE0ELb1ENS0_26wrapped_scan_by_key_configINS_14default_configEiyEEPiN6hipcub22TransformInputIteratorIyNS7_6CastOpIyEEPylEESB_yNS7_8EqualityENS7_3SumENS0_19lookback_scan_stateINS_5tupleIJybEEELb0ELb0EEEyEEvT2_T3_T4_T5_T6_T7_T8_mmmPKNSG_IJT9_bEEE,"axG",@progbits,_ZN7rocprim6detail25device_scan_by_key_kernelILNS0_25lookback_scan_determinismE0ELb1ENS0_26wrapped_scan_by_key_configINS_14default_configEiyEEPiN6hipcub22TransformInputIteratorIyNS7_6CastOpIyEEPylEESB_yNS7_8EqualityENS7_3SumENS0_19lookback_scan_stateINS_5tupleIJybEEELb0ELb0EEEyEEvT2_T3_T4_T5_T6_T7_T8_mmmPKNSG_IJT9_bEEE,comdat
	.protected	_ZN7rocprim6detail25device_scan_by_key_kernelILNS0_25lookback_scan_determinismE0ELb1ENS0_26wrapped_scan_by_key_configINS_14default_configEiyEEPiN6hipcub22TransformInputIteratorIyNS7_6CastOpIyEEPylEESB_yNS7_8EqualityENS7_3SumENS0_19lookback_scan_stateINS_5tupleIJybEEELb0ELb0EEEyEEvT2_T3_T4_T5_T6_T7_T8_mmmPKNSG_IJT9_bEEE ; -- Begin function _ZN7rocprim6detail25device_scan_by_key_kernelILNS0_25lookback_scan_determinismE0ELb1ENS0_26wrapped_scan_by_key_configINS_14default_configEiyEEPiN6hipcub22TransformInputIteratorIyNS7_6CastOpIyEEPylEESB_yNS7_8EqualityENS7_3SumENS0_19lookback_scan_stateINS_5tupleIJybEEELb0ELb0EEEyEEvT2_T3_T4_T5_T6_T7_T8_mmmPKNSG_IJT9_bEEE
	.globl	_ZN7rocprim6detail25device_scan_by_key_kernelILNS0_25lookback_scan_determinismE0ELb1ENS0_26wrapped_scan_by_key_configINS_14default_configEiyEEPiN6hipcub22TransformInputIteratorIyNS7_6CastOpIyEEPylEESB_yNS7_8EqualityENS7_3SumENS0_19lookback_scan_stateINS_5tupleIJybEEELb0ELb0EEEyEEvT2_T3_T4_T5_T6_T7_T8_mmmPKNSG_IJT9_bEEE
	.p2align	8
	.type	_ZN7rocprim6detail25device_scan_by_key_kernelILNS0_25lookback_scan_determinismE0ELb1ENS0_26wrapped_scan_by_key_configINS_14default_configEiyEEPiN6hipcub22TransformInputIteratorIyNS7_6CastOpIyEEPylEESB_yNS7_8EqualityENS7_3SumENS0_19lookback_scan_stateINS_5tupleIJybEEELb0ELb0EEEyEEvT2_T3_T4_T5_T6_T7_T8_mmmPKNSG_IJT9_bEEE,@function
_ZN7rocprim6detail25device_scan_by_key_kernelILNS0_25lookback_scan_determinismE0ELb1ENS0_26wrapped_scan_by_key_configINS_14default_configEiyEEPiN6hipcub22TransformInputIteratorIyNS7_6CastOpIyEEPylEESB_yNS7_8EqualityENS7_3SumENS0_19lookback_scan_stateINS_5tupleIJybEEELb0ELb0EEEyEEvT2_T3_T4_T5_T6_T7_T8_mmmPKNSG_IJT9_bEEE: ; @_ZN7rocprim6detail25device_scan_by_key_kernelILNS0_25lookback_scan_determinismE0ELb1ENS0_26wrapped_scan_by_key_configINS_14default_configEiyEEPiN6hipcub22TransformInputIteratorIyNS7_6CastOpIyEEPylEESB_yNS7_8EqualityENS7_3SumENS0_19lookback_scan_stateINS_5tupleIJybEEELb0ELb0EEEyEEvT2_T3_T4_T5_T6_T7_T8_mmmPKNSG_IJT9_bEEE
; %bb.0:
	s_load_dwordx4 s[4:7], s[0:1], 0x0
	s_load_dwordx4 s[56:59], s[0:1], 0x18
	s_load_dwordx8 s[48:55], s[0:1], 0x30
	s_load_dwordx2 s[62:63], s[0:1], 0x60
	s_load_dwordx4 s[8:11], s[0:1], 0x50
	s_mul_i32 s0, s2, 0x1500
	s_mov_b32 s1, 0
	s_lshl_b64 s[12:13], s[0:1], 2
	s_waitcnt lgkmcnt(0)
	s_add_u32 s66, s4, s12
	s_addc_u32 s67, s5, s13
	s_lshl_b64 s[60:61], s[0:1], 3
	s_add_u32 s64, s6, s60
	s_addc_u32 s65, s7, s61
	s_add_u32 s0, s2, s8
	s_addc_u32 s1, 0, s9
	s_add_u32 s6, s10, -1
	s_addc_u32 s7, s11, -1
	v_mov_b64_e32 v[2:3], s[6:7]
	v_cmp_ge_u64_e64 s[0:1], s[0:1], v[2:3]
	s_mov_b64 s[4:5], -1
	s_and_b64 vcc, exec, s[0:1]
	s_mul_i32 s33, s6, 0xffffeb00
	v_lshlrev_b32_e32 v6, 2, v0
	s_cbranch_vccz .LBB113_65
; %bb.1:
	s_load_dword s3, s[66:67], 0x0
	s_add_i32 s55, s33, s54
	v_mov_b32_e32 v7, 0
	v_lshl_add_u64 v[2:3], s[66:67], 0, v[6:7]
	v_cmp_gt_u32_e64 s[46:47], s55, v0
	s_waitcnt lgkmcnt(0)
	v_mov_b32_e32 v1, s3
	s_and_saveexec_b64 s[4:5], s[46:47]
	s_cbranch_execz .LBB113_3
; %bb.2:
	global_load_dword v1, v[2:3], off
.LBB113_3:
	s_or_b64 exec, exec, s[4:5]
	v_or_b32_e32 v4, 0x100, v0
	v_cmp_gt_u32_e64 s[6:7], s55, v4
	v_mov_b32_e32 v4, s3
	s_and_saveexec_b64 s[4:5], s[6:7]
	s_cbranch_execz .LBB113_5
; %bb.4:
	global_load_dword v4, v[2:3], off offset:1024
.LBB113_5:
	s_or_b64 exec, exec, s[4:5]
	v_or_b32_e32 v5, 0x200, v0
	v_cmp_gt_u32_e64 s[12:13], s55, v5
	v_mov_b32_e32 v5, s3
	s_and_saveexec_b64 s[4:5], s[12:13]
	s_cbranch_execz .LBB113_7
; %bb.6:
	global_load_dword v5, v[2:3], off offset:2048
.LBB113_7:
	;; [unrolled: 9-line block ×3, first 2 shown]
	s_or_b64 exec, exec, s[4:5]
	v_or_b32_e32 v8, 0x400, v0
	v_cmp_gt_u32_e64 s[4:5], s55, v8
	v_mov_b32_e32 v8, s3
	s_and_saveexec_b64 s[10:11], s[4:5]
	s_cbranch_execz .LBB113_11
; %bb.10:
	v_add_co_u32_e32 v8, vcc, 0x1000, v2
	s_nop 1
	v_addc_co_u32_e32 v9, vcc, 0, v3, vcc
	global_load_dword v8, v[8:9], off
.LBB113_11:
	s_or_b64 exec, exec, s[10:11]
	v_or_b32_e32 v9, 0x500, v0
	v_cmp_gt_u32_e64 s[10:11], s55, v9
	v_mov_b32_e32 v9, s3
	s_and_saveexec_b64 s[14:15], s[10:11]
	s_cbranch_execz .LBB113_13
; %bb.12:
	v_add_co_u32_e32 v10, vcc, 0x1000, v2
	s_nop 1
	v_addc_co_u32_e32 v11, vcc, 0, v3, vcc
	global_load_dword v9, v[10:11], off offset:1024
.LBB113_13:
	s_or_b64 exec, exec, s[14:15]
	v_or_b32_e32 v10, 0x600, v0
	v_cmp_gt_u32_e64 s[14:15], s55, v10
	v_mov_b32_e32 v10, s3
	s_and_saveexec_b64 s[16:17], s[14:15]
	s_cbranch_execz .LBB113_15
; %bb.14:
	v_add_co_u32_e32 v10, vcc, 0x1000, v2
	s_nop 1
	v_addc_co_u32_e32 v11, vcc, 0, v3, vcc
	global_load_dword v10, v[10:11], off offset:2048
.LBB113_15:
	s_or_b64 exec, exec, s[16:17]
	v_or_b32_e32 v11, 0x700, v0
	v_cmp_gt_u32_e64 s[16:17], s55, v11
	v_mov_b32_e32 v11, s3
	s_and_saveexec_b64 s[18:19], s[16:17]
	s_cbranch_execz .LBB113_17
; %bb.16:
	v_add_co_u32_e32 v12, vcc, 0x1000, v2
	s_nop 1
	v_addc_co_u32_e32 v13, vcc, 0, v3, vcc
	global_load_dword v11, v[12:13], off offset:3072
.LBB113_17:
	s_or_b64 exec, exec, s[18:19]
	v_or_b32_e32 v12, 0x800, v0
	v_cmp_gt_u32_e64 s[18:19], s55, v12
	v_mov_b32_e32 v12, s3
	s_and_saveexec_b64 s[20:21], s[18:19]
	s_cbranch_execz .LBB113_19
; %bb.18:
	v_add_co_u32_e32 v12, vcc, 0x2000, v2
	s_nop 1
	v_addc_co_u32_e32 v13, vcc, 0, v3, vcc
	global_load_dword v12, v[12:13], off
.LBB113_19:
	s_or_b64 exec, exec, s[20:21]
	v_or_b32_e32 v13, 0x900, v0
	v_cmp_gt_u32_e64 s[20:21], s55, v13
	v_mov_b32_e32 v13, s3
	s_and_saveexec_b64 s[22:23], s[20:21]
	s_cbranch_execz .LBB113_21
; %bb.20:
	v_add_co_u32_e32 v14, vcc, 0x2000, v2
	s_nop 1
	v_addc_co_u32_e32 v15, vcc, 0, v3, vcc
	global_load_dword v13, v[14:15], off offset:1024
.LBB113_21:
	s_or_b64 exec, exec, s[22:23]
	v_or_b32_e32 v14, 0xa00, v0
	v_cmp_gt_u32_e64 s[22:23], s55, v14
	v_mov_b32_e32 v14, s3
	s_and_saveexec_b64 s[24:25], s[22:23]
	s_cbranch_execz .LBB113_23
; %bb.22:
	v_add_co_u32_e32 v14, vcc, 0x2000, v2
	s_nop 1
	v_addc_co_u32_e32 v15, vcc, 0, v3, vcc
	global_load_dword v14, v[14:15], off offset:2048
.LBB113_23:
	s_or_b64 exec, exec, s[24:25]
	v_or_b32_e32 v15, 0xb00, v0
	v_cmp_gt_u32_e64 s[24:25], s55, v15
	v_mov_b32_e32 v15, s3
	s_and_saveexec_b64 s[26:27], s[24:25]
	s_cbranch_execz .LBB113_25
; %bb.24:
	v_add_co_u32_e32 v16, vcc, 0x2000, v2
	s_nop 1
	v_addc_co_u32_e32 v17, vcc, 0, v3, vcc
	global_load_dword v15, v[16:17], off offset:3072
.LBB113_25:
	;; [unrolled: 48-line block ×4, first 2 shown]
	s_or_b64 exec, exec, s[44:45]
	v_or_b32_e32 v24, 0x1400, v0
	v_cmp_gt_u32_e64 s[44:45], s55, v24
	v_mov_b32_e32 v24, s3
	s_and_saveexec_b64 s[68:69], s[44:45]
	s_cbranch_execz .LBB113_43
; %bb.42:
	v_add_co_u32_e32 v2, vcc, 0x5000, v2
	s_nop 1
	v_addc_co_u32_e32 v3, vcc, 0, v3, vcc
	global_load_dword v24, v[2:3], off
.LBB113_43:
	s_or_b64 exec, exec, s[68:69]
	s_movk_i32 s3, 0x50
	s_waitcnt vmcnt(0)
	ds_write2st64_b32 v6, v1, v4 offset1:4
	ds_write2st64_b32 v6, v5, v7 offset0:8 offset1:12
	ds_write2st64_b32 v6, v8, v9 offset0:16 offset1:20
	;; [unrolled: 1-line block ×9, first 2 shown]
	ds_write_b32 v6, v24 offset:20480
	v_mad_u32_u24 v1, v0, s3, v6
	s_waitcnt lgkmcnt(0)
	s_barrier
	ds_read_b32 v81, v1
	ds_read2_b32 v[26:27], v1 offset0:1 offset1:2
	ds_read2_b32 v[24:25], v1 offset0:3 offset1:4
	;; [unrolled: 1-line block ×10, first 2 shown]
	s_load_dword s3, s[66:67], 0x0
	s_movk_i32 s68, 0xffb0
	v_mad_i32_i24 v1, v0, s68, v1
	s_movk_i32 s68, 0xff
	v_cmp_ne_u32_e32 vcc, s68, v0
	s_waitcnt lgkmcnt(0)
	v_mov_b32_e32 v7, s3
	ds_write_b32 v1, v81 offset:22528
	s_waitcnt lgkmcnt(0)
	s_barrier
	s_and_saveexec_b64 s[68:69], vcc
	s_cbranch_execz .LBB113_45
; %bb.44:
	ds_read_b32 v7, v6 offset:22532
.LBB113_45:
	s_or_b64 exec, exec, s[68:69]
	v_lshlrev_b32_e32 v2, 3, v0
	v_mov_b32_e32 v3, 0
	v_lshl_add_u64 v[4:5], s[64:65], 0, v[2:3]
	s_waitcnt lgkmcnt(0)
	s_barrier
	s_waitcnt lgkmcnt(0)
                                        ; implicit-def: $vgpr2_vgpr3
	s_and_saveexec_b64 s[68:69], s[46:47]
	s_cbranch_execz .LBB113_66
; %bb.46:
	global_load_dwordx2 v[2:3], v[4:5], off
	s_or_b64 exec, exec, s[68:69]
                                        ; implicit-def: $vgpr28_vgpr29
	s_and_saveexec_b64 s[46:47], s[6:7]
	s_cbranch_execnz .LBB113_67
.LBB113_47:
	s_or_b64 exec, exec, s[46:47]
                                        ; implicit-def: $vgpr30_vgpr31
	s_and_saveexec_b64 s[6:7], s[12:13]
	s_cbranch_execz .LBB113_68
.LBB113_48:
	v_add_co_u32_e32 v30, vcc, 0x1000, v4
	s_nop 1
	v_addc_co_u32_e32 v31, vcc, 0, v5, vcc
	global_load_dwordx2 v[30:31], v[30:31], off
	s_or_b64 exec, exec, s[6:7]
                                        ; implicit-def: $vgpr32_vgpr33
	s_and_saveexec_b64 s[6:7], s[8:9]
	s_cbranch_execnz .LBB113_69
.LBB113_49:
	s_or_b64 exec, exec, s[6:7]
                                        ; implicit-def: $vgpr34_vgpr35
	s_and_saveexec_b64 s[6:7], s[4:5]
	s_cbranch_execz .LBB113_70
.LBB113_50:
	v_add_co_u32_e32 v34, vcc, 0x2000, v4
	s_nop 1
	v_addc_co_u32_e32 v35, vcc, 0, v5, vcc
	global_load_dwordx2 v[34:35], v[34:35], off
	s_or_b64 exec, exec, s[6:7]
                                        ; implicit-def: $vgpr36_vgpr37
	s_and_saveexec_b64 s[4:5], s[10:11]
	s_cbranch_execnz .LBB113_71
.LBB113_51:
	s_or_b64 exec, exec, s[4:5]
                                        ; implicit-def: $vgpr38_vgpr39
	s_and_saveexec_b64 s[4:5], s[14:15]
	s_cbranch_execz .LBB113_72
.LBB113_52:
	v_add_co_u32_e32 v38, vcc, 0x3000, v4
	s_nop 1
	v_addc_co_u32_e32 v39, vcc, 0, v5, vcc
	global_load_dwordx2 v[38:39], v[38:39], off
	s_or_b64 exec, exec, s[4:5]
                                        ; implicit-def: $vgpr40_vgpr41
	s_and_saveexec_b64 s[4:5], s[16:17]
	s_cbranch_execnz .LBB113_73
.LBB113_53:
	s_or_b64 exec, exec, s[4:5]
                                        ; implicit-def: $vgpr42_vgpr43
	s_and_saveexec_b64 s[4:5], s[18:19]
	s_cbranch_execz .LBB113_74
.LBB113_54:
	v_add_co_u32_e32 v42, vcc, 0x4000, v4
	s_nop 1
	v_addc_co_u32_e32 v43, vcc, 0, v5, vcc
	global_load_dwordx2 v[42:43], v[42:43], off
	s_or_b64 exec, exec, s[4:5]
                                        ; implicit-def: $vgpr44_vgpr45
	s_and_saveexec_b64 s[4:5], s[20:21]
	s_cbranch_execnz .LBB113_75
.LBB113_55:
	s_or_b64 exec, exec, s[4:5]
                                        ; implicit-def: $vgpr46_vgpr47
	s_and_saveexec_b64 s[4:5], s[22:23]
	s_cbranch_execz .LBB113_76
.LBB113_56:
	v_add_co_u32_e32 v46, vcc, 0x5000, v4
	s_nop 1
	v_addc_co_u32_e32 v47, vcc, 0, v5, vcc
	global_load_dwordx2 v[46:47], v[46:47], off
	s_or_b64 exec, exec, s[4:5]
                                        ; implicit-def: $vgpr48_vgpr49
	s_and_saveexec_b64 s[4:5], s[24:25]
	s_cbranch_execnz .LBB113_77
.LBB113_57:
	s_or_b64 exec, exec, s[4:5]
                                        ; implicit-def: $vgpr50_vgpr51
	s_and_saveexec_b64 s[4:5], s[26:27]
	s_cbranch_execz .LBB113_78
.LBB113_58:
	v_add_co_u32_e32 v50, vcc, 0x6000, v4
	s_nop 1
	v_addc_co_u32_e32 v51, vcc, 0, v5, vcc
	global_load_dwordx2 v[50:51], v[50:51], off
	s_or_b64 exec, exec, s[4:5]
                                        ; implicit-def: $vgpr52_vgpr53
	s_and_saveexec_b64 s[4:5], s[28:29]
	s_cbranch_execnz .LBB113_79
.LBB113_59:
	s_or_b64 exec, exec, s[4:5]
                                        ; implicit-def: $vgpr54_vgpr55
	s_and_saveexec_b64 s[4:5], s[30:31]
	s_cbranch_execz .LBB113_80
.LBB113_60:
	v_add_co_u32_e32 v54, vcc, 0x7000, v4
	s_nop 1
	v_addc_co_u32_e32 v55, vcc, 0, v5, vcc
	global_load_dwordx2 v[54:55], v[54:55], off
	s_or_b64 exec, exec, s[4:5]
                                        ; implicit-def: $vgpr56_vgpr57
	s_and_saveexec_b64 s[4:5], s[34:35]
	s_cbranch_execnz .LBB113_81
.LBB113_61:
	s_or_b64 exec, exec, s[4:5]
                                        ; implicit-def: $vgpr58_vgpr59
	s_and_saveexec_b64 s[4:5], s[36:37]
	s_cbranch_execz .LBB113_82
.LBB113_62:
	v_add_co_u32_e32 v58, vcc, 0x8000, v4
	s_nop 1
	v_addc_co_u32_e32 v59, vcc, 0, v5, vcc
	global_load_dwordx2 v[58:59], v[58:59], off
	s_or_b64 exec, exec, s[4:5]
                                        ; implicit-def: $vgpr60_vgpr61
	s_and_saveexec_b64 s[4:5], s[38:39]
	s_cbranch_execnz .LBB113_83
.LBB113_63:
	s_or_b64 exec, exec, s[4:5]
                                        ; implicit-def: $vgpr62_vgpr63
	s_and_saveexec_b64 s[4:5], s[40:41]
	s_cbranch_execz .LBB113_84
.LBB113_64:
	v_add_co_u32_e32 v62, vcc, 0x9000, v4
	s_nop 1
	v_addc_co_u32_e32 v63, vcc, 0, v5, vcc
	global_load_dwordx2 v[62:63], v[62:63], off
	s_or_b64 exec, exec, s[4:5]
                                        ; implicit-def: $vgpr64_vgpr65
	s_and_saveexec_b64 s[4:5], s[42:43]
	s_cbranch_execz .LBB113_86
	s_branch .LBB113_85
.LBB113_65:
	s_mov_b64 s[10:11], 0
                                        ; implicit-def: $sgpr8_sgpr9
                                        ; implicit-def: $vgpr2_vgpr3
                                        ; implicit-def: $vgpr42_vgpr43
                                        ; implicit-def: $vgpr106
                                        ; implicit-def: $vgpr40_vgpr41
                                        ; implicit-def: $vgpr122
                                        ; implicit-def: $vgpr78_vgpr79
                                        ; implicit-def: $vgpr121
                                        ; implicit-def: $vgpr76_vgpr77
                                        ; implicit-def: $vgpr120
                                        ; implicit-def: $vgpr74_vgpr75
                                        ; implicit-def: $vgpr119
                                        ; implicit-def: $vgpr72_vgpr73
                                        ; implicit-def: $vgpr118
                                        ; implicit-def: $vgpr70_vgpr71
                                        ; implicit-def: $vgpr117
                                        ; implicit-def: $vgpr68_vgpr69
                                        ; implicit-def: $vgpr116
                                        ; implicit-def: $vgpr66_vgpr67
                                        ; implicit-def: $vgpr115
                                        ; implicit-def: $vgpr64_vgpr65
                                        ; implicit-def: $vgpr114
                                        ; implicit-def: $vgpr62_vgpr63
                                        ; implicit-def: $vgpr113
                                        ; implicit-def: $vgpr60_vgpr61
                                        ; implicit-def: $vgpr112
                                        ; implicit-def: $vgpr58_vgpr59
                                        ; implicit-def: $vgpr111
                                        ; implicit-def: $vgpr56_vgpr57
                                        ; implicit-def: $vgpr110
                                        ; implicit-def: $vgpr54_vgpr55
                                        ; implicit-def: $vgpr109
                                        ; implicit-def: $vgpr52_vgpr53
                                        ; implicit-def: $vgpr108
                                        ; implicit-def: $vgpr50_vgpr51
                                        ; implicit-def: $vgpr107
                                        ; implicit-def: $vgpr48_vgpr49
                                        ; implicit-def: $vgpr105
                                        ; implicit-def: $vgpr46_vgpr47
                                        ; implicit-def: $vgpr104
                                        ; implicit-def: $vgpr44_vgpr45
                                        ; implicit-def: $vgpr1
                                        ; implicit-def: $sgpr3
                                        ; implicit-def: $sgpr6_sgpr7
	s_and_b64 vcc, exec, s[4:5]
	s_cbranch_vccz .LBB113_136
	s_branch .LBB113_131
.LBB113_66:
	s_or_b64 exec, exec, s[68:69]
                                        ; implicit-def: $vgpr28_vgpr29
	s_and_saveexec_b64 s[46:47], s[6:7]
	s_cbranch_execz .LBB113_47
.LBB113_67:
	global_load_dwordx2 v[28:29], v[4:5], off offset:2048
	s_or_b64 exec, exec, s[46:47]
                                        ; implicit-def: $vgpr30_vgpr31
	s_and_saveexec_b64 s[6:7], s[12:13]
	s_cbranch_execnz .LBB113_48
.LBB113_68:
	s_or_b64 exec, exec, s[6:7]
                                        ; implicit-def: $vgpr32_vgpr33
	s_and_saveexec_b64 s[6:7], s[8:9]
	s_cbranch_execz .LBB113_49
.LBB113_69:
	v_add_co_u32_e32 v32, vcc, 0x1000, v4
	s_nop 1
	v_addc_co_u32_e32 v33, vcc, 0, v5, vcc
	global_load_dwordx2 v[32:33], v[32:33], off offset:2048
	s_or_b64 exec, exec, s[6:7]
                                        ; implicit-def: $vgpr34_vgpr35
	s_and_saveexec_b64 s[6:7], s[4:5]
	s_cbranch_execnz .LBB113_50
.LBB113_70:
	s_or_b64 exec, exec, s[6:7]
                                        ; implicit-def: $vgpr36_vgpr37
	s_and_saveexec_b64 s[4:5], s[10:11]
	s_cbranch_execz .LBB113_51
.LBB113_71:
	v_add_co_u32_e32 v36, vcc, 0x2000, v4
	s_nop 1
	v_addc_co_u32_e32 v37, vcc, 0, v5, vcc
	global_load_dwordx2 v[36:37], v[36:37], off offset:2048
	s_or_b64 exec, exec, s[4:5]
                                        ; implicit-def: $vgpr38_vgpr39
	s_and_saveexec_b64 s[4:5], s[14:15]
	s_cbranch_execnz .LBB113_52
.LBB113_72:
	s_or_b64 exec, exec, s[4:5]
                                        ; implicit-def: $vgpr40_vgpr41
	s_and_saveexec_b64 s[4:5], s[16:17]
	s_cbranch_execz .LBB113_53
.LBB113_73:
	v_add_co_u32_e32 v40, vcc, 0x3000, v4
	s_nop 1
	v_addc_co_u32_e32 v41, vcc, 0, v5, vcc
	global_load_dwordx2 v[40:41], v[40:41], off offset:2048
	s_or_b64 exec, exec, s[4:5]
                                        ; implicit-def: $vgpr42_vgpr43
	s_and_saveexec_b64 s[4:5], s[18:19]
	s_cbranch_execnz .LBB113_54
.LBB113_74:
	s_or_b64 exec, exec, s[4:5]
                                        ; implicit-def: $vgpr44_vgpr45
	s_and_saveexec_b64 s[4:5], s[20:21]
	s_cbranch_execz .LBB113_55
.LBB113_75:
	v_add_co_u32_e32 v44, vcc, 0x4000, v4
	s_nop 1
	v_addc_co_u32_e32 v45, vcc, 0, v5, vcc
	global_load_dwordx2 v[44:45], v[44:45], off offset:2048
	s_or_b64 exec, exec, s[4:5]
                                        ; implicit-def: $vgpr46_vgpr47
	s_and_saveexec_b64 s[4:5], s[22:23]
	s_cbranch_execnz .LBB113_56
.LBB113_76:
	s_or_b64 exec, exec, s[4:5]
                                        ; implicit-def: $vgpr48_vgpr49
	s_and_saveexec_b64 s[4:5], s[24:25]
	s_cbranch_execz .LBB113_57
.LBB113_77:
	v_add_co_u32_e32 v48, vcc, 0x5000, v4
	s_nop 1
	v_addc_co_u32_e32 v49, vcc, 0, v5, vcc
	global_load_dwordx2 v[48:49], v[48:49], off offset:2048
	s_or_b64 exec, exec, s[4:5]
                                        ; implicit-def: $vgpr50_vgpr51
	s_and_saveexec_b64 s[4:5], s[26:27]
	s_cbranch_execnz .LBB113_58
.LBB113_78:
	s_or_b64 exec, exec, s[4:5]
                                        ; implicit-def: $vgpr52_vgpr53
	s_and_saveexec_b64 s[4:5], s[28:29]
	s_cbranch_execz .LBB113_59
.LBB113_79:
	v_add_co_u32_e32 v52, vcc, 0x6000, v4
	s_nop 1
	v_addc_co_u32_e32 v53, vcc, 0, v5, vcc
	global_load_dwordx2 v[52:53], v[52:53], off offset:2048
	s_or_b64 exec, exec, s[4:5]
                                        ; implicit-def: $vgpr54_vgpr55
	s_and_saveexec_b64 s[4:5], s[30:31]
	s_cbranch_execnz .LBB113_60
.LBB113_80:
	s_or_b64 exec, exec, s[4:5]
                                        ; implicit-def: $vgpr56_vgpr57
	s_and_saveexec_b64 s[4:5], s[34:35]
	s_cbranch_execz .LBB113_61
.LBB113_81:
	v_add_co_u32_e32 v56, vcc, 0x7000, v4
	s_nop 1
	v_addc_co_u32_e32 v57, vcc, 0, v5, vcc
	global_load_dwordx2 v[56:57], v[56:57], off offset:2048
	s_or_b64 exec, exec, s[4:5]
                                        ; implicit-def: $vgpr58_vgpr59
	s_and_saveexec_b64 s[4:5], s[36:37]
	s_cbranch_execnz .LBB113_62
.LBB113_82:
	s_or_b64 exec, exec, s[4:5]
                                        ; implicit-def: $vgpr60_vgpr61
	s_and_saveexec_b64 s[4:5], s[38:39]
	s_cbranch_execz .LBB113_63
.LBB113_83:
	v_add_co_u32_e32 v60, vcc, 0x8000, v4
	s_nop 1
	v_addc_co_u32_e32 v61, vcc, 0, v5, vcc
	global_load_dwordx2 v[60:61], v[60:61], off offset:2048
	s_or_b64 exec, exec, s[4:5]
                                        ; implicit-def: $vgpr62_vgpr63
	s_and_saveexec_b64 s[4:5], s[40:41]
	s_cbranch_execnz .LBB113_64
.LBB113_84:
	s_or_b64 exec, exec, s[4:5]
                                        ; implicit-def: $vgpr64_vgpr65
	s_and_saveexec_b64 s[4:5], s[42:43]
	s_cbranch_execz .LBB113_86
.LBB113_85:
	v_add_co_u32_e32 v64, vcc, 0x9000, v4
	s_nop 1
	v_addc_co_u32_e32 v65, vcc, 0, v5, vcc
	global_load_dwordx2 v[64:65], v[64:65], off offset:2048
.LBB113_86:
	s_or_b64 exec, exec, s[4:5]
	v_mul_u32_u24_e32 v80, 21, v0
                                        ; implicit-def: $vgpr66_vgpr67
	s_and_saveexec_b64 s[4:5], s[44:45]
	s_cbranch_execz .LBB113_88
; %bb.87:
	v_add_co_u32_e32 v4, vcc, 0xa000, v4
	s_nop 1
	v_addc_co_u32_e32 v5, vcc, 0, v5, vcc
	global_load_dwordx2 v[66:67], v[4:5], off
.LBB113_88:
	s_or_b64 exec, exec, s[4:5]
	v_lshl_add_u32 v4, v0, 2, v1
	s_waitcnt vmcnt(0)
	ds_write2st64_b64 v4, v[2:3], v[28:29] offset1:4
	ds_write2st64_b64 v4, v[30:31], v[32:33] offset0:8 offset1:12
	ds_write2st64_b64 v4, v[34:35], v[36:37] offset0:16 offset1:20
	;; [unrolled: 1-line block ×9, first 2 shown]
	ds_write_b64 v4, v[66:67] offset:40960
	v_mov_b64_e32 v[42:43], 0
	v_cmp_gt_u32_e32 vcc, s55, v80
	s_mov_b64 s[10:11], 0
	s_mov_b32 s3, 0
	s_mov_b64 s[4:5], 0
	v_mov_b32_e32 v106, 0
	v_mov_b64_e32 v[40:41], v[42:43]
	v_mov_b32_e32 v122, 0
	v_mov_b64_e32 v[78:79], v[42:43]
	;; [unrolled: 2-line block ×19, first 2 shown]
	v_mov_b32_e32 v1, 0
	s_waitcnt lgkmcnt(0)
	s_barrier
	s_waitcnt lgkmcnt(0)
                                        ; implicit-def: $sgpr8_sgpr9
                                        ; implicit-def: $vgpr2_vgpr3
	s_and_saveexec_b64 s[6:7], vcc
	s_cbranch_execz .LBB113_130
; %bb.89:
	s_movk_i32 s8, 0xa0
	v_mad_u32_u24 v1, v0, s8, v4
	ds_read_b64 v[2:3], v1
	v_cmp_ne_u32_e32 vcc, v81, v26
	v_mov_b32_e32 v28, s59
	v_add_u32_e32 v5, 1, v80
	v_mov_b64_e32 v[40:41], 0
	s_waitcnt lgkmcnt(0)
	v_cndmask_b32_e32 v43, v3, v28, vcc
	v_mov_b32_e32 v3, s58
	v_cndmask_b32_e64 v1, 0, 1, vcc
	v_cndmask_b32_e32 v42, v2, v3, vcc
	v_cmp_gt_u32_e32 vcc, s55, v5
	s_mov_b64 s[12:13], 0
	v_mov_b32_e32 v106, 0
	v_mov_b32_e32 v122, 0
	v_mov_b64_e32 v[78:79], v[40:41]
	v_mov_b32_e32 v121, 0
	v_mov_b64_e32 v[76:77], v[40:41]
	;; [unrolled: 2-line block ×18, first 2 shown]
                                        ; implicit-def: $sgpr14_sgpr15
                                        ; implicit-def: $vgpr2_vgpr3
	s_and_saveexec_b64 s[8:9], vcc
	s_cbranch_execz .LBB113_129
; %bb.90:
	v_mul_u32_u24_e32 v2, 0xa0, v0
	v_add_u32_e32 v28, v4, v2
	ds_read2_b64 v[2:5], v28 offset0:1 offset1:2
	v_cmp_ne_u32_e32 vcc, v26, v27
	v_mov_b32_e32 v26, s59
	v_add_u32_e32 v29, 2, v80
	v_mov_b64_e32 v[40:41], 0
	s_waitcnt lgkmcnt(0)
	v_cndmask_b32_e32 v45, v3, v26, vcc
	v_mov_b32_e32 v3, s58
	v_cndmask_b32_e64 v104, 0, 1, vcc
	v_cndmask_b32_e32 v44, v2, v3, vcc
	v_cmp_gt_u32_e32 vcc, s55, v29
	s_mov_b64 s[14:15], 0
	v_mov_b32_e32 v106, 0
	v_mov_b32_e32 v122, 0
	v_mov_b64_e32 v[78:79], v[40:41]
	v_mov_b32_e32 v121, 0
	v_mov_b64_e32 v[76:77], v[40:41]
	v_mov_b32_e32 v120, 0
	v_mov_b64_e32 v[74:75], v[40:41]
	v_mov_b32_e32 v119, 0
	v_mov_b64_e32 v[72:73], v[40:41]
	v_mov_b32_e32 v118, 0
	v_mov_b64_e32 v[70:71], v[40:41]
	v_mov_b32_e32 v117, 0
	v_mov_b64_e32 v[68:69], v[40:41]
	v_mov_b32_e32 v116, 0
	v_mov_b64_e32 v[66:67], v[40:41]
	v_mov_b32_e32 v115, 0
	v_mov_b64_e32 v[64:65], v[40:41]
	v_mov_b32_e32 v114, 0
	v_mov_b64_e32 v[62:63], v[40:41]
	v_mov_b32_e32 v113, 0
	v_mov_b64_e32 v[60:61], v[40:41]
	v_mov_b32_e32 v112, 0
	v_mov_b64_e32 v[58:59], v[40:41]
	v_mov_b32_e32 v111, 0
	v_mov_b64_e32 v[56:57], v[40:41]
	v_mov_b32_e32 v110, 0
	v_mov_b64_e32 v[54:55], v[40:41]
	v_mov_b32_e32 v109, 0
	v_mov_b64_e32 v[52:53], v[40:41]
	v_mov_b32_e32 v108, 0
	v_mov_b64_e32 v[50:51], v[40:41]
	v_mov_b32_e32 v107, 0
	v_mov_b64_e32 v[48:49], v[40:41]
	v_mov_b32_e32 v105, 0
	v_mov_b64_e32 v[46:47], v[40:41]
                                        ; implicit-def: $sgpr16_sgpr17
                                        ; implicit-def: $vgpr2_vgpr3
	s_and_saveexec_b64 s[10:11], vcc
	s_cbranch_execz .LBB113_128
; %bb.91:
	v_cmp_ne_u32_e32 vcc, v27, v24
	v_mov_b32_e32 v3, s59
	v_add_u32_e32 v2, 3, v80
	v_cndmask_b32_e32 v47, v5, v3, vcc
	v_mov_b32_e32 v3, s58
	v_mov_b64_e32 v[40:41], 0
	v_cndmask_b32_e64 v105, 0, 1, vcc
	v_cndmask_b32_e32 v46, v4, v3, vcc
	v_cmp_gt_u32_e32 vcc, s55, v2
	s_mov_b64 s[16:17], 0
	v_mov_b32_e32 v106, 0
	v_mov_b32_e32 v122, 0
	v_mov_b64_e32 v[78:79], v[40:41]
	v_mov_b32_e32 v121, 0
	v_mov_b64_e32 v[76:77], v[40:41]
	;; [unrolled: 2-line block ×16, first 2 shown]
                                        ; implicit-def: $sgpr18_sgpr19
                                        ; implicit-def: $vgpr2_vgpr3
	s_and_saveexec_b64 s[12:13], vcc
	s_cbranch_execz .LBB113_127
; %bb.92:
	ds_read2_b64 v[2:5], v28 offset0:3 offset1:4
	v_cmp_ne_u32_e32 vcc, v24, v25
	v_mov_b32_e32 v24, s59
	v_add_u32_e32 v26, 4, v80
	v_mov_b64_e32 v[40:41], 0
	s_waitcnt lgkmcnt(0)
	v_cndmask_b32_e32 v49, v3, v24, vcc
	v_mov_b32_e32 v3, s58
	v_cndmask_b32_e64 v107, 0, 1, vcc
	v_cndmask_b32_e32 v48, v2, v3, vcc
	v_cmp_gt_u32_e32 vcc, s55, v26
	s_mov_b64 s[18:19], 0
	v_mov_b32_e32 v106, 0
	v_mov_b32_e32 v122, 0
	v_mov_b64_e32 v[78:79], v[40:41]
	v_mov_b32_e32 v121, 0
	v_mov_b64_e32 v[76:77], v[40:41]
	v_mov_b32_e32 v120, 0
	v_mov_b64_e32 v[74:75], v[40:41]
	v_mov_b32_e32 v119, 0
	v_mov_b64_e32 v[72:73], v[40:41]
	v_mov_b32_e32 v118, 0
	v_mov_b64_e32 v[70:71], v[40:41]
	v_mov_b32_e32 v117, 0
	v_mov_b64_e32 v[68:69], v[40:41]
	v_mov_b32_e32 v116, 0
	v_mov_b64_e32 v[66:67], v[40:41]
	v_mov_b32_e32 v115, 0
	v_mov_b64_e32 v[64:65], v[40:41]
	v_mov_b32_e32 v114, 0
	v_mov_b64_e32 v[62:63], v[40:41]
	v_mov_b32_e32 v113, 0
	v_mov_b64_e32 v[60:61], v[40:41]
	v_mov_b32_e32 v112, 0
	v_mov_b64_e32 v[58:59], v[40:41]
	v_mov_b32_e32 v111, 0
	v_mov_b64_e32 v[56:57], v[40:41]
	v_mov_b32_e32 v110, 0
	v_mov_b64_e32 v[54:55], v[40:41]
	v_mov_b32_e32 v109, 0
	v_mov_b64_e32 v[52:53], v[40:41]
	v_mov_b32_e32 v108, 0
	v_mov_b64_e32 v[50:51], v[40:41]
                                        ; implicit-def: $sgpr20_sgpr21
                                        ; implicit-def: $vgpr2_vgpr3
	s_and_saveexec_b64 s[14:15], vcc
	s_cbranch_execz .LBB113_126
; %bb.93:
	v_cmp_ne_u32_e32 vcc, v25, v22
	v_mov_b32_e32 v3, s59
	v_add_u32_e32 v2, 5, v80
	v_cndmask_b32_e32 v51, v5, v3, vcc
	v_mov_b32_e32 v3, s58
	v_mov_b64_e32 v[40:41], 0
	v_cndmask_b32_e64 v108, 0, 1, vcc
	v_cndmask_b32_e32 v50, v4, v3, vcc
	v_cmp_gt_u32_e32 vcc, s55, v2
	s_mov_b64 s[20:21], 0
	v_mov_b32_e32 v106, 0
	v_mov_b32_e32 v122, 0
	v_mov_b64_e32 v[78:79], v[40:41]
	v_mov_b32_e32 v121, 0
	v_mov_b64_e32 v[76:77], v[40:41]
	;; [unrolled: 2-line block ×14, first 2 shown]
                                        ; implicit-def: $sgpr22_sgpr23
                                        ; implicit-def: $vgpr2_vgpr3
	s_and_saveexec_b64 s[16:17], vcc
	s_cbranch_execz .LBB113_125
; %bb.94:
	ds_read2_b64 v[2:5], v28 offset0:5 offset1:6
	v_cmp_ne_u32_e32 vcc, v22, v23
	v_mov_b32_e32 v22, s59
	v_add_u32_e32 v24, 6, v80
	v_mov_b64_e32 v[40:41], 0
	s_waitcnt lgkmcnt(0)
	v_cndmask_b32_e32 v53, v3, v22, vcc
	v_mov_b32_e32 v3, s58
	v_cndmask_b32_e64 v109, 0, 1, vcc
	v_cndmask_b32_e32 v52, v2, v3, vcc
	v_cmp_gt_u32_e32 vcc, s55, v24
	s_mov_b64 s[22:23], 0
	v_mov_b32_e32 v106, 0
	v_mov_b32_e32 v122, 0
	v_mov_b64_e32 v[78:79], v[40:41]
	v_mov_b32_e32 v121, 0
	v_mov_b64_e32 v[76:77], v[40:41]
	v_mov_b32_e32 v120, 0
	v_mov_b64_e32 v[74:75], v[40:41]
	v_mov_b32_e32 v119, 0
	v_mov_b64_e32 v[72:73], v[40:41]
	v_mov_b32_e32 v118, 0
	v_mov_b64_e32 v[70:71], v[40:41]
	v_mov_b32_e32 v117, 0
	v_mov_b64_e32 v[68:69], v[40:41]
	v_mov_b32_e32 v116, 0
	v_mov_b64_e32 v[66:67], v[40:41]
	v_mov_b32_e32 v115, 0
	v_mov_b64_e32 v[64:65], v[40:41]
	v_mov_b32_e32 v114, 0
	v_mov_b64_e32 v[62:63], v[40:41]
	v_mov_b32_e32 v113, 0
	v_mov_b64_e32 v[60:61], v[40:41]
	v_mov_b32_e32 v112, 0
	v_mov_b64_e32 v[58:59], v[40:41]
	v_mov_b32_e32 v111, 0
	v_mov_b64_e32 v[56:57], v[40:41]
	v_mov_b32_e32 v110, 0
	v_mov_b64_e32 v[54:55], v[40:41]
                                        ; implicit-def: $sgpr24_sgpr25
                                        ; implicit-def: $vgpr2_vgpr3
	s_and_saveexec_b64 s[18:19], vcc
	s_cbranch_execz .LBB113_124
; %bb.95:
	v_cmp_ne_u32_e32 vcc, v23, v20
	v_mov_b32_e32 v3, s59
	v_add_u32_e32 v2, 7, v80
	v_cndmask_b32_e32 v55, v5, v3, vcc
	v_mov_b32_e32 v3, s58
	v_mov_b64_e32 v[40:41], 0
	v_cndmask_b32_e64 v110, 0, 1, vcc
	v_cndmask_b32_e32 v54, v4, v3, vcc
	v_cmp_gt_u32_e32 vcc, s55, v2
	s_mov_b64 s[24:25], 0
	v_mov_b32_e32 v106, 0
	v_mov_b32_e32 v122, 0
	v_mov_b64_e32 v[78:79], v[40:41]
	v_mov_b32_e32 v121, 0
	v_mov_b64_e32 v[76:77], v[40:41]
	;; [unrolled: 2-line block ×12, first 2 shown]
                                        ; implicit-def: $sgpr26_sgpr27
                                        ; implicit-def: $vgpr2_vgpr3
	s_and_saveexec_b64 s[20:21], vcc
	s_cbranch_execz .LBB113_123
; %bb.96:
	ds_read2_b64 v[2:5], v28 offset0:7 offset1:8
	v_cmp_ne_u32_e32 vcc, v20, v21
	v_mov_b32_e32 v20, s59
	v_add_u32_e32 v22, 8, v80
	v_mov_b64_e32 v[40:41], 0
	s_waitcnt lgkmcnt(0)
	v_cndmask_b32_e32 v57, v3, v20, vcc
	v_mov_b32_e32 v3, s58
	v_cndmask_b32_e64 v111, 0, 1, vcc
	v_cndmask_b32_e32 v56, v2, v3, vcc
	v_cmp_gt_u32_e32 vcc, s55, v22
	s_mov_b64 s[26:27], 0
	v_mov_b32_e32 v106, 0
	v_mov_b32_e32 v122, 0
	v_mov_b64_e32 v[78:79], v[40:41]
	v_mov_b32_e32 v121, 0
	v_mov_b64_e32 v[76:77], v[40:41]
	;; [unrolled: 2-line block ×11, first 2 shown]
                                        ; implicit-def: $sgpr28_sgpr29
                                        ; implicit-def: $vgpr2_vgpr3
	s_and_saveexec_b64 s[22:23], vcc
	s_cbranch_execz .LBB113_122
; %bb.97:
	v_cmp_ne_u32_e32 vcc, v21, v18
	v_mov_b32_e32 v3, s59
	v_add_u32_e32 v2, 9, v80
	v_cndmask_b32_e32 v59, v5, v3, vcc
	v_mov_b32_e32 v3, s58
	v_mov_b64_e32 v[40:41], 0
	v_cndmask_b32_e64 v112, 0, 1, vcc
	v_cndmask_b32_e32 v58, v4, v3, vcc
	v_cmp_gt_u32_e32 vcc, s55, v2
	s_mov_b64 s[28:29], 0
	v_mov_b32_e32 v106, 0
	v_mov_b32_e32 v122, 0
	v_mov_b64_e32 v[78:79], v[40:41]
	v_mov_b32_e32 v121, 0
	v_mov_b64_e32 v[76:77], v[40:41]
	;; [unrolled: 2-line block ×10, first 2 shown]
                                        ; implicit-def: $sgpr30_sgpr31
                                        ; implicit-def: $vgpr2_vgpr3
	s_and_saveexec_b64 s[24:25], vcc
	s_cbranch_execz .LBB113_121
; %bb.98:
	ds_read2_b64 v[2:5], v28 offset0:9 offset1:10
	v_cmp_ne_u32_e32 vcc, v18, v19
	v_mov_b32_e32 v18, s59
	v_add_u32_e32 v20, 10, v80
	v_mov_b64_e32 v[40:41], 0
	s_waitcnt lgkmcnt(0)
	v_cndmask_b32_e32 v61, v3, v18, vcc
	v_mov_b32_e32 v3, s58
	v_cndmask_b32_e64 v113, 0, 1, vcc
	v_cndmask_b32_e32 v60, v2, v3, vcc
	v_cmp_gt_u32_e32 vcc, s55, v20
	s_mov_b64 s[30:31], 0
	v_mov_b32_e32 v106, 0
	v_mov_b32_e32 v122, 0
	v_mov_b64_e32 v[78:79], v[40:41]
	v_mov_b32_e32 v121, 0
	v_mov_b64_e32 v[76:77], v[40:41]
	v_mov_b32_e32 v120, 0
	v_mov_b64_e32 v[74:75], v[40:41]
	v_mov_b32_e32 v119, 0
	v_mov_b64_e32 v[72:73], v[40:41]
	v_mov_b32_e32 v118, 0
	v_mov_b64_e32 v[70:71], v[40:41]
	v_mov_b32_e32 v117, 0
	v_mov_b64_e32 v[68:69], v[40:41]
	v_mov_b32_e32 v116, 0
	v_mov_b64_e32 v[66:67], v[40:41]
	v_mov_b32_e32 v115, 0
	v_mov_b64_e32 v[64:65], v[40:41]
	v_mov_b32_e32 v114, 0
	v_mov_b64_e32 v[62:63], v[40:41]
                                        ; implicit-def: $sgpr34_sgpr35
                                        ; implicit-def: $vgpr2_vgpr3
	s_and_saveexec_b64 s[26:27], vcc
	s_cbranch_execz .LBB113_120
; %bb.99:
	v_cmp_ne_u32_e32 vcc, v19, v16
	v_mov_b32_e32 v3, s59
	v_add_u32_e32 v2, 11, v80
	v_cndmask_b32_e32 v63, v5, v3, vcc
	v_mov_b32_e32 v3, s58
	v_mov_b64_e32 v[40:41], 0
	v_cndmask_b32_e64 v114, 0, 1, vcc
	v_cndmask_b32_e32 v62, v4, v3, vcc
	v_cmp_gt_u32_e32 vcc, s55, v2
	s_mov_b64 s[34:35], 0
	v_mov_b32_e32 v106, 0
	v_mov_b32_e32 v122, 0
	v_mov_b64_e32 v[78:79], v[40:41]
	v_mov_b32_e32 v121, 0
	v_mov_b64_e32 v[76:77], v[40:41]
	;; [unrolled: 2-line block ×8, first 2 shown]
                                        ; implicit-def: $sgpr36_sgpr37
                                        ; implicit-def: $vgpr2_vgpr3
	s_and_saveexec_b64 s[28:29], vcc
	s_cbranch_execz .LBB113_119
; %bb.100:
	ds_read2_b64 v[2:5], v28 offset0:11 offset1:12
	v_cmp_ne_u32_e32 vcc, v16, v17
	v_mov_b32_e32 v16, s59
	v_add_u32_e32 v18, 12, v80
	v_mov_b64_e32 v[40:41], 0
	s_waitcnt lgkmcnt(0)
	v_cndmask_b32_e32 v65, v3, v16, vcc
	v_mov_b32_e32 v3, s58
	v_cndmask_b32_e64 v115, 0, 1, vcc
	v_cndmask_b32_e32 v64, v2, v3, vcc
	v_cmp_gt_u32_e32 vcc, s55, v18
	s_mov_b64 s[36:37], 0
	v_mov_b32_e32 v106, 0
	v_mov_b32_e32 v122, 0
	v_mov_b64_e32 v[78:79], v[40:41]
	v_mov_b32_e32 v121, 0
	v_mov_b64_e32 v[76:77], v[40:41]
	;; [unrolled: 2-line block ×7, first 2 shown]
                                        ; implicit-def: $sgpr38_sgpr39
                                        ; implicit-def: $vgpr2_vgpr3
	s_and_saveexec_b64 s[30:31], vcc
	s_cbranch_execz .LBB113_118
; %bb.101:
	v_cmp_ne_u32_e32 vcc, v17, v14
	v_mov_b32_e32 v3, s59
	v_add_u32_e32 v2, 13, v80
	v_cndmask_b32_e32 v67, v5, v3, vcc
	v_mov_b32_e32 v3, s58
	v_mov_b64_e32 v[40:41], 0
	v_cndmask_b32_e64 v116, 0, 1, vcc
	v_cndmask_b32_e32 v66, v4, v3, vcc
	v_cmp_gt_u32_e32 vcc, s55, v2
	s_mov_b64 s[38:39], 0
	v_mov_b32_e32 v106, 0
	v_mov_b32_e32 v122, 0
	v_mov_b64_e32 v[78:79], v[40:41]
	v_mov_b32_e32 v121, 0
	v_mov_b64_e32 v[76:77], v[40:41]
	v_mov_b32_e32 v120, 0
	v_mov_b64_e32 v[74:75], v[40:41]
	v_mov_b32_e32 v119, 0
	v_mov_b64_e32 v[72:73], v[40:41]
	v_mov_b32_e32 v118, 0
	v_mov_b64_e32 v[70:71], v[40:41]
	v_mov_b32_e32 v117, 0
	v_mov_b64_e32 v[68:69], v[40:41]
                                        ; implicit-def: $sgpr40_sgpr41
                                        ; implicit-def: $vgpr2_vgpr3
	s_and_saveexec_b64 s[34:35], vcc
	s_cbranch_execz .LBB113_117
; %bb.102:
	ds_read2_b64 v[2:5], v28 offset0:13 offset1:14
	v_cmp_ne_u32_e32 vcc, v14, v15
	v_mov_b32_e32 v14, s59
	v_add_u32_e32 v16, 14, v80
	v_mov_b64_e32 v[40:41], 0
	s_waitcnt lgkmcnt(0)
	v_cndmask_b32_e32 v69, v3, v14, vcc
	v_mov_b32_e32 v3, s58
	v_cndmask_b32_e64 v117, 0, 1, vcc
	v_cndmask_b32_e32 v68, v2, v3, vcc
	v_cmp_gt_u32_e32 vcc, s55, v16
	s_mov_b64 s[40:41], 0
	v_mov_b32_e32 v106, 0
	v_mov_b32_e32 v122, 0
	v_mov_b64_e32 v[78:79], v[40:41]
	v_mov_b32_e32 v121, 0
	v_mov_b64_e32 v[76:77], v[40:41]
	;; [unrolled: 2-line block ×5, first 2 shown]
                                        ; implicit-def: $sgpr42_sgpr43
                                        ; implicit-def: $vgpr2_vgpr3
	s_and_saveexec_b64 s[36:37], vcc
	s_cbranch_execz .LBB113_116
; %bb.103:
	v_cmp_ne_u32_e32 vcc, v15, v12
	v_mov_b32_e32 v3, s59
	v_add_u32_e32 v2, 15, v80
	v_cndmask_b32_e32 v71, v5, v3, vcc
	v_mov_b32_e32 v3, s58
	v_mov_b64_e32 v[40:41], 0
	v_cndmask_b32_e64 v118, 0, 1, vcc
	v_cndmask_b32_e32 v70, v4, v3, vcc
	v_cmp_gt_u32_e32 vcc, s55, v2
	s_mov_b64 s[42:43], 0
	v_mov_b32_e32 v106, 0
	v_mov_b32_e32 v122, 0
	v_mov_b64_e32 v[78:79], v[40:41]
	v_mov_b32_e32 v121, 0
	v_mov_b64_e32 v[76:77], v[40:41]
	;; [unrolled: 2-line block ×4, first 2 shown]
                                        ; implicit-def: $sgpr44_sgpr45
                                        ; implicit-def: $vgpr2_vgpr3
	s_and_saveexec_b64 s[38:39], vcc
	s_cbranch_execz .LBB113_115
; %bb.104:
	ds_read2_b64 v[2:5], v28 offset0:15 offset1:16
	v_cmp_ne_u32_e32 vcc, v12, v13
	v_mov_b32_e32 v12, s59
	v_add_u32_e32 v14, 16, v80
	v_mov_b64_e32 v[40:41], 0
	s_waitcnt lgkmcnt(0)
	v_cndmask_b32_e32 v73, v3, v12, vcc
	v_mov_b32_e32 v3, s58
	v_cndmask_b32_e64 v119, 0, 1, vcc
	v_cndmask_b32_e32 v72, v2, v3, vcc
	v_cmp_gt_u32_e32 vcc, s55, v14
	s_mov_b64 s[44:45], 0
	v_mov_b32_e32 v106, 0
	v_mov_b32_e32 v122, 0
	v_mov_b64_e32 v[78:79], v[40:41]
	v_mov_b32_e32 v121, 0
	v_mov_b64_e32 v[76:77], v[40:41]
	;; [unrolled: 2-line block ×3, first 2 shown]
                                        ; implicit-def: $sgpr46_sgpr47
                                        ; implicit-def: $vgpr2_vgpr3
	s_and_saveexec_b64 s[40:41], vcc
	s_cbranch_execz .LBB113_114
; %bb.105:
	v_cmp_ne_u32_e32 vcc, v13, v10
	v_mov_b32_e32 v3, s59
	v_add_u32_e32 v2, 17, v80
	v_cndmask_b32_e32 v75, v5, v3, vcc
	v_mov_b32_e32 v3, s58
	v_mov_b64_e32 v[40:41], 0
	v_cndmask_b32_e64 v120, 0, 1, vcc
	v_cndmask_b32_e32 v74, v4, v3, vcc
	v_cmp_gt_u32_e32 vcc, s55, v2
	s_mov_b64 s[46:47], 0
	v_mov_b32_e32 v106, 0
	v_mov_b32_e32 v122, 0
	v_mov_b64_e32 v[78:79], v[40:41]
	v_mov_b32_e32 v121, 0
	v_mov_b64_e32 v[76:77], v[40:41]
                                        ; implicit-def: $sgpr68_sgpr69
                                        ; implicit-def: $vgpr2_vgpr3
	s_and_saveexec_b64 s[42:43], vcc
	s_cbranch_execz .LBB113_113
; %bb.106:
	ds_read2_b64 v[2:5], v28 offset0:17 offset1:18
	v_cmp_ne_u32_e32 vcc, v10, v11
	v_mov_b32_e32 v10, s59
	v_add_u32_e32 v12, 18, v80
	v_mov_b64_e32 v[40:41], 0
	s_waitcnt lgkmcnt(0)
	v_cndmask_b32_e32 v77, v3, v10, vcc
	v_mov_b32_e32 v3, s58
	v_cndmask_b32_e64 v121, 0, 1, vcc
	v_cndmask_b32_e32 v76, v2, v3, vcc
	v_cmp_gt_u32_e32 vcc, s55, v12
	s_mov_b64 s[68:69], 0
	v_mov_b32_e32 v106, 0
	v_mov_b32_e32 v122, 0
	v_mov_b64_e32 v[78:79], v[40:41]
                                        ; implicit-def: $sgpr70_sgpr71
                                        ; implicit-def: $vgpr2_vgpr3
	s_and_saveexec_b64 s[44:45], vcc
	s_cbranch_execz .LBB113_112
; %bb.107:
	v_cmp_ne_u32_e32 vcc, v11, v8
	v_mov_b32_e32 v3, s59
	v_add_u32_e32 v2, 19, v80
	v_cndmask_b32_e32 v79, v5, v3, vcc
	v_mov_b32_e32 v3, s58
	v_cndmask_b32_e64 v122, 0, 1, vcc
	v_cndmask_b32_e32 v78, v4, v3, vcc
	v_cmp_gt_u32_e32 vcc, s55, v2
	v_mov_b32_e32 v106, 0
	v_mov_b64_e32 v[40:41], 0
                                        ; implicit-def: $sgpr70_sgpr71
                                        ; implicit-def: $vgpr2_vgpr3
	s_and_saveexec_b64 s[46:47], vcc
	s_cbranch_execz .LBB113_111
; %bb.108:
	ds_read2_b64 v[2:5], v28 offset0:19 offset1:20
	v_cmp_ne_u32_e32 vcc, v8, v9
	v_mov_b32_e32 v8, s59
	v_add_u32_e32 v10, 20, v80
	v_cndmask_b32_e64 v106, 0, 1, vcc
	s_waitcnt lgkmcnt(0)
	v_cndmask_b32_e32 v41, v3, v8, vcc
	v_mov_b32_e32 v3, s58
	v_cndmask_b32_e32 v40, v2, v3, vcc
	v_cmp_gt_u32_e32 vcc, s55, v10
                                        ; implicit-def: $sgpr70_sgpr71
                                        ; implicit-def: $vgpr2_vgpr3
	s_and_saveexec_b64 s[72:73], vcc
	s_xor_b64 s[72:73], exec, s[72:73]
; %bb.109:
	v_mov_b32_e32 v2, s59
	v_cmp_ne_u32_e32 vcc, v9, v7
	s_mov_b64 s[68:69], exec
	s_and_b64 s[70:71], vcc, exec
	v_cndmask_b32_e32 v3, v5, v2, vcc
	v_mov_b32_e32 v2, s58
	v_cndmask_b32_e32 v2, v4, v2, vcc
; %bb.110:
	s_or_b64 exec, exec, s[72:73]
	s_and_b64 s[70:71], s[70:71], exec
	s_and_b64 s[68:69], s[68:69], exec
.LBB113_111:
	s_or_b64 exec, exec, s[46:47]
	s_and_b64 s[70:71], s[70:71], exec
	s_and_b64 s[46:47], s[68:69], exec
.LBB113_112:
	s_or_b64 exec, exec, s[44:45]
	s_and_b64 s[68:69], s[70:71], exec
	s_and_b64 s[44:45], s[46:47], exec
.LBB113_113:
	s_or_b64 exec, exec, s[42:43]
	s_and_b64 s[46:47], s[68:69], exec
	s_and_b64 s[42:43], s[44:45], exec
.LBB113_114:
	s_or_b64 exec, exec, s[40:41]
	s_and_b64 s[44:45], s[46:47], exec
	s_and_b64 s[40:41], s[42:43], exec
.LBB113_115:
	s_or_b64 exec, exec, s[38:39]
	s_and_b64 s[42:43], s[44:45], exec
	s_and_b64 s[38:39], s[40:41], exec
.LBB113_116:
	s_or_b64 exec, exec, s[36:37]
	s_and_b64 s[40:41], s[42:43], exec
	s_and_b64 s[36:37], s[38:39], exec
.LBB113_117:
	s_or_b64 exec, exec, s[34:35]
	s_and_b64 s[38:39], s[40:41], exec
	s_and_b64 s[34:35], s[36:37], exec
.LBB113_118:
	s_or_b64 exec, exec, s[30:31]
	s_and_b64 s[36:37], s[38:39], exec
	s_and_b64 s[30:31], s[34:35], exec
.LBB113_119:
	s_or_b64 exec, exec, s[28:29]
	s_and_b64 s[34:35], s[36:37], exec
	s_and_b64 s[28:29], s[30:31], exec
.LBB113_120:
	s_or_b64 exec, exec, s[26:27]
	s_and_b64 s[30:31], s[34:35], exec
	s_and_b64 s[26:27], s[28:29], exec
.LBB113_121:
	s_or_b64 exec, exec, s[24:25]
	s_and_b64 s[28:29], s[30:31], exec
	s_and_b64 s[24:25], s[26:27], exec
.LBB113_122:
	s_or_b64 exec, exec, s[22:23]
	s_and_b64 s[26:27], s[28:29], exec
	s_and_b64 s[22:23], s[24:25], exec
.LBB113_123:
	s_or_b64 exec, exec, s[20:21]
	s_and_b64 s[24:25], s[26:27], exec
	s_and_b64 s[20:21], s[22:23], exec
.LBB113_124:
	s_or_b64 exec, exec, s[18:19]
	s_and_b64 s[22:23], s[24:25], exec
	s_and_b64 s[18:19], s[20:21], exec
.LBB113_125:
	s_or_b64 exec, exec, s[16:17]
	s_and_b64 s[20:21], s[22:23], exec
	s_and_b64 s[16:17], s[18:19], exec
.LBB113_126:
	s_or_b64 exec, exec, s[14:15]
	s_and_b64 s[18:19], s[20:21], exec
	s_and_b64 s[14:15], s[16:17], exec
.LBB113_127:
	s_or_b64 exec, exec, s[12:13]
	s_and_b64 s[16:17], s[18:19], exec
	s_and_b64 s[12:13], s[14:15], exec
.LBB113_128:
	s_or_b64 exec, exec, s[10:11]
	s_and_b64 s[14:15], s[16:17], exec
	s_and_b64 s[10:11], s[12:13], exec
.LBB113_129:
	s_or_b64 exec, exec, s[8:9]
	s_and_b64 s[8:9], s[14:15], exec
	s_and_b64 s[10:11], s[10:11], exec
.LBB113_130:
	s_or_b64 exec, exec, s[6:7]
	s_mov_b64 s[6:7], 0
	s_and_b64 vcc, exec, s[4:5]
	s_cbranch_vccz .LBB113_136
.LBB113_131:
	v_mov_b32_e32 v7, 0
	v_lshl_add_u64 v[2:3], s[66:67], 0, v[6:7]
	v_add_co_u32_e32 v4, vcc, 0x1000, v2
	global_load_dword v1, v6, s[66:67]
	global_load_dword v10, v6, s[66:67] offset:1024
	global_load_dword v11, v6, s[66:67] offset:2048
	;; [unrolled: 1-line block ×3, first 2 shown]
	v_addc_co_u32_e32 v5, vcc, 0, v3, vcc
	v_add_co_u32_e32 v8, vcc, 0x2000, v2
	s_movk_i32 s4, 0x50
	s_nop 0
	v_addc_co_u32_e32 v9, vcc, 0, v3, vcc
	global_load_dword v13, v[4:5], off
	global_load_dword v14, v[4:5], off offset:1024
	global_load_dword v15, v[4:5], off offset:2048
	;; [unrolled: 1-line block ×3, first 2 shown]
	global_load_dword v17, v[8:9], off
	global_load_dword v18, v[8:9], off offset:1024
	global_load_dword v19, v[8:9], off offset:2048
	;; [unrolled: 1-line block ×3, first 2 shown]
	v_add_co_u32_e32 v4, vcc, 0x3000, v2
	s_movk_i32 s5, 0xffb0
	s_nop 0
	v_addc_co_u32_e32 v5, vcc, 0, v3, vcc
	v_add_co_u32_e32 v8, vcc, 0x4000, v2
	s_movk_i32 s10, 0xff
	s_nop 0
	v_addc_co_u32_e32 v9, vcc, 0, v3, vcc
	global_load_dword v21, v[4:5], off
	global_load_dword v22, v[4:5], off offset:1024
	global_load_dword v23, v[4:5], off offset:2048
	;; [unrolled: 1-line block ×3, first 2 shown]
	global_load_dword v25, v[8:9], off
	global_load_dword v26, v[8:9], off offset:1024
	global_load_dword v27, v[8:9], off offset:2048
	;; [unrolled: 1-line block ×3, first 2 shown]
	v_add_co_u32_e32 v2, vcc, 0x5000, v2
	v_mad_u32_u24 v4, v0, s4, v6
	s_nop 0
	v_addc_co_u32_e32 v3, vcc, 0, v3, vcc
	global_load_dword v3, v[2:3], off
	s_movk_i32 s9, 0x1000
	s_movk_i32 s8, 0x2000
	;; [unrolled: 1-line block ×5, first 2 shown]
	v_cmp_ne_u32_e32 vcc, s10, v0
	v_mad_i32_i24 v2, v0, s5, v4
	s_waitcnt vmcnt(19)
	ds_write2st64_b32 v6, v1, v10 offset1:4
	s_waitcnt vmcnt(17)
	ds_write2st64_b32 v6, v11, v12 offset0:8 offset1:12
	s_waitcnt vmcnt(15)
	ds_write2st64_b32 v6, v13, v14 offset0:16 offset1:20
	;; [unrolled: 2-line block ×9, first 2 shown]
	s_waitcnt vmcnt(0)
	ds_write_b32 v6, v3 offset:20480
	s_waitcnt lgkmcnt(0)
	s_barrier
	ds_read_b32 v1, v4
	ds_read2_b32 v[60:61], v4 offset0:1 offset1:2
	ds_read2_b32 v[58:59], v4 offset0:3 offset1:4
	;; [unrolled: 1-line block ×10, first 2 shown]
	s_load_dword s4, s[66:67], 0x5400
	s_waitcnt lgkmcnt(0)
	ds_write_b32 v2, v1 offset:22528
	s_waitcnt lgkmcnt(0)
	s_barrier
	v_mov_b32_e32 v82, s4
	s_and_saveexec_b64 s[4:5], vcc
	s_cbranch_execz .LBB113_133
; %bb.132:
	ds_read_b32 v82, v6 offset:22532
.LBB113_133:
	s_or_b64 exec, exec, s[4:5]
	v_lshlrev_b32_e32 v6, 3, v0
	v_lshl_add_u64 v[4:5], s[64:65], 0, v[6:7]
	v_add_co_u32_e32 v8, vcc, s9, v4
	s_waitcnt lgkmcnt(0)
	s_nop 0
	v_addc_co_u32_e32 v9, vcc, 0, v5, vcc
	v_add_co_u32_e32 v10, vcc, s8, v4
	s_barrier
	s_nop 0
	v_addc_co_u32_e32 v11, vcc, 0, v5, vcc
	global_load_dwordx2 v[12:13], v6, s[64:65]
	global_load_dwordx2 v[14:15], v6, s[64:65] offset:2048
	global_load_dwordx2 v[16:17], v[10:11], off offset:-4096
	v_add_co_u32_e32 v6, vcc, s7, v4
	v_lshl_add_u32 v62, v0, 2, v2
	s_nop 0
	v_addc_co_u32_e32 v7, vcc, 0, v5, vcc
	v_add_co_u32_e32 v18, vcc, s6, v4
	v_cmp_eq_u32_e64 s[4:5], v1, v60
	s_nop 0
	v_addc_co_u32_e32 v19, vcc, 0, v5, vcc
	global_load_dwordx2 v[20:21], v[10:11], off
	global_load_dwordx2 v[22:23], v[10:11], off offset:2048
	global_load_dwordx2 v[24:25], v[18:19], off offset:-4096
	global_load_dwordx2 v[26:27], v[18:19], off
	v_add_co_u32_e32 v10, vcc, s3, v4
	s_movk_i32 s3, 0x6000
	s_nop 0
	v_addc_co_u32_e32 v11, vcc, 0, v5, vcc
	v_add_co_u32_e32 v28, vcc, s3, v4
	s_movk_i32 s3, 0x7000
	s_nop 0
	v_addc_co_u32_e32 v29, vcc, 0, v5, vcc
	global_load_dwordx2 v[30:31], v[18:19], off offset:2048
	global_load_dwordx2 v[32:33], v[28:29], off offset:-4096
	global_load_dwordx2 v[34:35], v[28:29], off
	global_load_dwordx2 v[36:37], v[28:29], off offset:2048
	v_add_co_u32_e32 v18, vcc, s3, v4
	s_mov_b32 s3, 0x8000
	s_nop 0
	v_addc_co_u32_e32 v19, vcc, 0, v5, vcc
	v_add_co_u32_e32 v28, vcc, s3, v4
	s_mov_b32 s3, 0x9000
	s_nop 0
	v_addc_co_u32_e32 v29, vcc, 0, v5, vcc
	global_load_dwordx2 v[38:39], v[8:9], off offset:2048
	global_load_dwordx2 v[40:41], v[6:7], off offset:2048
	;; [unrolled: 1-line block ×4, first 2 shown]
	v_add_co_u32_e32 v6, vcc, s3, v4
	s_mov_b32 s3, 0xa000
	s_nop 0
	v_addc_co_u32_e32 v7, vcc, 0, v5, vcc
	v_add_co_u32_e32 v4, vcc, s3, v4
	s_movk_i32 s3, 0xa0
	s_nop 0
	v_addc_co_u32_e32 v5, vcc, 0, v5, vcc
	global_load_dwordx2 v[8:9], v[28:29], off offset:-4096
	global_load_dwordx2 v[10:11], v[28:29], off
	global_load_dwordx2 v[18:19], v[28:29], off offset:2048
	global_load_dwordx2 v[66:67], v[4:5], off offset:-4096
	global_load_dwordx2 v[68:69], v[6:7], off offset:2048
	global_load_dwordx2 v[70:71], v[4:5], off
	v_mad_u32_u24 v2, v0, s3, v62
	v_cmp_ne_u32_e32 vcc, v1, v60
	s_waitcnt vmcnt(19)
	ds_write2st64_b64 v62, v[12:13], v[14:15] offset1:4
	s_waitcnt vmcnt(9)
	ds_write2st64_b64 v62, v[16:17], v[38:39] offset0:8 offset1:12
	ds_write2st64_b64 v62, v[20:21], v[22:23] offset0:16 offset1:20
	s_waitcnt vmcnt(8)
	ds_write2st64_b64 v62, v[24:25], v[40:41] offset0:24 offset1:28
	ds_write2st64_b64 v62, v[26:27], v[30:31] offset0:32 offset1:36
	s_waitcnt vmcnt(7)
	ds_write2st64_b64 v62, v[32:33], v[42:43] offset0:40 offset1:44
	ds_write2st64_b64 v62, v[34:35], v[36:37] offset0:48 offset1:52
	s_waitcnt vmcnt(5)
	ds_write2st64_b64 v62, v[8:9], v[64:65] offset0:56 offset1:60
	s_waitcnt vmcnt(3)
	ds_write2st64_b64 v62, v[10:11], v[18:19] offset0:64 offset1:68
	;; [unrolled: 2-line block ×3, first 2 shown]
	s_waitcnt vmcnt(0)
	ds_write_b64 v62, v[70:71] offset:40960
	s_waitcnt lgkmcnt(0)
	s_barrier
	ds_read2_b64 v[38:41], v2 offset0:1 offset1:2
	ds_read2_b64 v[34:37], v2 offset0:3 offset1:4
	;; [unrolled: 1-line block ×10, first 2 shown]
	v_mov_b64_e32 v[42:43], s[58:59]
	s_and_saveexec_b64 s[6:7], s[4:5]
	s_cbranch_execz .LBB113_135
; %bb.134:
	v_mul_u32_u24_e32 v1, 0xa0, v0
	v_add_u32_e32 v1, v62, v1
	ds_read_b64 v[42:43], v1
.LBB113_135:
	s_or_b64 exec, exec, s[6:7]
	v_cndmask_b32_e64 v1, 0, 1, vcc
	v_cmp_ne_u32_e32 vcc, v60, v61
	v_cmp_ne_u32_e64 s[38:39], v45, v80
	v_cmp_ne_u32_e64 s[40:41], v80, v81
	v_mov_b32_e32 v80, s59
	v_cmp_ne_u32_e64 s[8:9], v59, v56
	v_cmp_ne_u32_e64 s[36:37], v44, v45
	s_waitcnt lgkmcnt(9)
	v_cndmask_b32_e32 v45, v39, v80, vcc
	v_mov_b32_e32 v39, s58
	v_cmp_ne_u32_e64 s[4:5], v61, v58
	v_cmp_ne_u32_e64 s[6:7], v58, v59
	v_cndmask_b32_e64 v108, 0, 1, s[8:9]
	v_cmp_ne_u32_e64 s[10:11], v56, v57
	v_cmp_ne_u32_e64 s[12:13], v57, v54
	;; [unrolled: 1-line block ×12, first 2 shown]
	s_waitcnt lgkmcnt(8)
	v_cndmask_b32_e64 v51, v37, v80, s[8:9]
	v_cndmask_b32_e64 v50, v36, v39, s[8:9]
	v_cmp_ne_u32_e64 s[8:9], v81, v82
	v_cndmask_b32_e64 v104, 0, 1, vcc
	v_cndmask_b32_e64 v105, 0, 1, s[4:5]
	v_cndmask_b32_e64 v107, 0, 1, s[6:7]
	;; [unrolled: 1-line block ×17, first 2 shown]
	v_cndmask_b32_e32 v44, v38, v39, vcc
	v_cndmask_b32_e64 v47, v41, v80, s[4:5]
	v_cndmask_b32_e64 v46, v40, v39, s[4:5]
	v_cndmask_b32_e64 v49, v35, v80, s[6:7]
	v_cndmask_b32_e64 v48, v34, v39, s[6:7]
	s_waitcnt lgkmcnt(7)
	v_cndmask_b32_e64 v53, v31, v80, s[10:11]
	v_cndmask_b32_e64 v52, v30, v39, s[10:11]
	v_cndmask_b32_e64 v55, v33, v80, s[12:13]
	v_cndmask_b32_e64 v54, v32, v39, s[12:13]
	s_waitcnt lgkmcnt(6)
	;; [unrolled: 5-line block ×8, first 2 shown]
	v_cndmask_b32_e64 v41, v3, v80, s[40:41]
	v_cndmask_b32_e64 v40, v2, v39, s[40:41]
	;; [unrolled: 1-line block ×4, first 2 shown]
	s_mov_b64 s[10:11], -1
                                        ; implicit-def: $sgpr3
                                        ; implicit-def: $sgpr6_sgpr7
.LBB113_136:
	v_mov_b64_e32 v[80:81], s[6:7]
	v_mov_b32_e32 v123, s3
	s_and_saveexec_b64 s[4:5], s[10:11]
; %bb.137:
	v_cndmask_b32_e64 v123, 0, 1, s[8:9]
	v_mov_b64_e32 v[80:81], v[2:3]
; %bb.138:
	s_or_b64 exec, exec, s[4:5]
	v_or_b32_e32 v2, v123, v106
	s_cmp_lg_u32 s2, 0
	v_or_b32_e32 v125, v2, v122
	v_mbcnt_lo_u32_b32 v124, -1, 0
	s_barrier
	s_cbranch_scc0 .LBB113_205
; %bb.139:
	v_mov_b32_e32 v4, 0
	v_cmp_eq_u16_sdwa s[44:45], v104, v4 src0_sel:BYTE_0 src1_sel:DWORD
	v_cmp_eq_u16_sdwa s[4:5], v105, v4 src0_sel:BYTE_0 src1_sel:DWORD
	v_cmp_eq_u16_sdwa s[6:7], v107, v4 src0_sel:BYTE_0 src1_sel:DWORD
	v_cndmask_b32_e64 v3, 0, v43, s[44:45]
	v_cndmask_b32_e64 v2, 0, v42, s[44:45]
	v_lshl_add_u64 v[2:3], v[2:3], 0, v[44:45]
	v_cndmask_b32_e64 v3, 0, v3, s[4:5]
	v_cndmask_b32_e64 v2, 0, v2, s[4:5]
	v_lshl_add_u64 v[2:3], v[2:3], 0, v[46:47]
	v_cndmask_b32_e64 v3, 0, v3, s[6:7]
	v_cndmask_b32_e64 v2, 0, v2, s[6:7]
	v_lshl_add_u64 v[2:3], v[2:3], 0, v[48:49]
	v_cmp_eq_u16_sdwa s[8:9], v108, v4 src0_sel:BYTE_0 src1_sel:DWORD
	v_cmp_eq_u16_sdwa s[10:11], v109, v4 src0_sel:BYTE_0 src1_sel:DWORD
	v_cmp_eq_u16_sdwa s[12:13], v110, v4 src0_sel:BYTE_0 src1_sel:DWORD
	v_cndmask_b32_e64 v3, 0, v3, s[8:9]
	v_cndmask_b32_e64 v2, 0, v2, s[8:9]
	v_lshl_add_u64 v[2:3], v[2:3], 0, v[50:51]
	v_cndmask_b32_e64 v3, 0, v3, s[10:11]
	v_cndmask_b32_e64 v2, 0, v2, s[10:11]
	v_lshl_add_u64 v[2:3], v[2:3], 0, v[52:53]
	v_cndmask_b32_e64 v3, 0, v3, s[12:13]
	v_cndmask_b32_e64 v2, 0, v2, s[12:13]
	v_lshl_add_u64 v[2:3], v[2:3], 0, v[54:55]
	;; [unrolled: 12-line block ×3, first 2 shown]
	v_cmp_eq_u16_sdwa s[20:21], v114, v4 src0_sel:BYTE_0 src1_sel:DWORD
	v_cmp_eq_u16_sdwa s[22:23], v115, v4 src0_sel:BYTE_0 src1_sel:DWORD
	;; [unrolled: 1-line block ×3, first 2 shown]
	v_cndmask_b32_e64 v3, 0, v3, s[20:21]
	v_cndmask_b32_e64 v2, 0, v2, s[20:21]
	v_lshl_add_u64 v[2:3], v[2:3], 0, v[62:63]
	v_cndmask_b32_e64 v3, 0, v3, s[22:23]
	v_cndmask_b32_e64 v2, 0, v2, s[22:23]
	v_lshl_add_u64 v[2:3], v[2:3], 0, v[64:65]
	v_cmp_eq_u16_sdwa s[26:27], v117, v4 src0_sel:BYTE_0 src1_sel:DWORD
	v_cmp_eq_u16_sdwa s[28:29], v118, v4 src0_sel:BYTE_0 src1_sel:DWORD
	;; [unrolled: 1-line block ×7, first 2 shown]
	v_cmp_eq_u16_sdwa vcc, v123, v4 src0_sel:BYTE_0 src1_sel:DWORD
	v_or_b32_e32 v4, v125, v121
	v_cndmask_b32_e64 v3, 0, v3, s[24:25]
	v_cndmask_b32_e64 v2, 0, v2, s[24:25]
	v_or_b32_e32 v4, v4, v120
	v_lshl_add_u64 v[2:3], v[2:3], 0, v[66:67]
	v_or_b32_e32 v4, v4, v119
	v_cndmask_b32_e64 v3, 0, v3, s[26:27]
	v_cndmask_b32_e64 v2, 0, v2, s[26:27]
	v_or_b32_e32 v4, v4, v118
	v_lshl_add_u64 v[2:3], v[2:3], 0, v[68:69]
	;; [unrolled: 5-line block ×8, first 2 shown]
	v_or_b32_e32 v4, v4, v104
	v_cndmask_b32_e32 v3, 0, v3, vcc
	v_cndmask_b32_e32 v2, 0, v2, vcc
	v_or_b32_e32 v4, v4, v1
	v_mbcnt_hi_u32_b32 v9, -1, v124
	v_lshl_add_u64 v[2:3], v[2:3], 0, v[80:81]
	v_and_b32_e32 v8, 1, v4
	v_and_b32_e32 v5, 15, v9
	v_cmp_eq_u32_e32 vcc, 1, v8
	v_mov_b32_dpp v6, v2 row_shr:1 row_mask:0xf bank_mask:0xf
	v_mov_b32_dpp v7, v3 row_shr:1 row_mask:0xf bank_mask:0xf
	v_mov_b32_dpp v10, v8 row_shr:1 row_mask:0xf bank_mask:0xf
	v_cmp_ne_u32_e64 s[42:43], 0, v5
	v_mov_b32_e32 v4, v8
	s_and_saveexec_b64 s[46:47], s[42:43]
; %bb.140:
	v_and_b32_e32 v4, 1, v10
	v_or_b32_e32 v8, v4, v8
	v_cndmask_b32_e64 v7, v7, 0, vcc
	v_cndmask_b32_e64 v6, v6, 0, vcc
	v_lshl_add_u64 v[2:3], v[6:7], 0, v[2:3]
	v_and_b32_e32 v4, 0xffff, v8
; %bb.141:
	s_or_b64 exec, exec, s[46:47]
	v_mov_b32_dpp v6, v2 row_shr:2 row_mask:0xf bank_mask:0xf
	v_mov_b32_dpp v7, v3 row_shr:2 row_mask:0xf bank_mask:0xf
	v_mov_b32_dpp v10, v4 row_shr:2 row_mask:0xf bank_mask:0xf
	v_cmp_lt_u32_e32 vcc, 1, v5
	s_and_saveexec_b64 s[46:47], vcc
	s_cbranch_execz .LBB113_143
; %bb.142:
	v_and_b32_e32 v4, 1, v8
	v_cmp_eq_u32_e32 vcc, 1, v4
	v_and_b32_e32 v4, 1, v10
	v_cmp_eq_u32_e64 s[42:43], 1, v4
	s_or_b64 s[42:43], vcc, s[42:43]
	v_cmp_eq_u16_e32 vcc, 0, v8
	v_cndmask_b32_e64 v10, 0, 1, s[42:43]
	v_cndmask_b32_e64 v4, 0, 1, s[42:43]
	v_cndmask_b32_e32 v7, 0, v7, vcc
	v_cndmask_b32_e32 v6, 0, v6, vcc
	v_lshl_add_u64 v[2:3], v[6:7], 0, v[2:3]
	v_mov_b32_e32 v8, v10
.LBB113_143:
	s_or_b64 exec, exec, s[46:47]
	v_mov_b32_dpp v6, v2 row_shr:4 row_mask:0xf bank_mask:0xf
	v_mov_b32_dpp v7, v3 row_shr:4 row_mask:0xf bank_mask:0xf
	;; [unrolled: 1-line block ×3, first 2 shown]
	v_cmp_lt_u32_e32 vcc, 3, v5
	s_and_saveexec_b64 s[46:47], vcc
	s_cbranch_execz .LBB113_145
; %bb.144:
	v_and_b32_e32 v4, 1, v8
	v_cmp_eq_u32_e32 vcc, 1, v4
	v_and_b32_e32 v4, 1, v10
	v_cmp_eq_u32_e64 s[42:43], 1, v4
	s_or_b64 s[42:43], vcc, s[42:43]
	v_cmp_eq_u16_e32 vcc, 0, v8
	v_cndmask_b32_e64 v10, 0, 1, s[42:43]
	v_cndmask_b32_e64 v4, 0, 1, s[42:43]
	v_cndmask_b32_e32 v7, 0, v7, vcc
	v_cndmask_b32_e32 v6, 0, v6, vcc
	v_lshl_add_u64 v[2:3], v[6:7], 0, v[2:3]
	v_mov_b32_e32 v8, v10
.LBB113_145:
	s_or_b64 exec, exec, s[46:47]
	v_mov_b32_dpp v6, v2 row_shr:8 row_mask:0xf bank_mask:0xf
	v_mov_b32_dpp v7, v3 row_shr:8 row_mask:0xf bank_mask:0xf
	;; [unrolled: 1-line block ×3, first 2 shown]
	v_cmp_lt_u32_e32 vcc, 7, v5
	s_and_saveexec_b64 s[46:47], vcc
	s_cbranch_execz .LBB113_147
; %bb.146:
	v_and_b32_e32 v4, 1, v8
	v_cmp_eq_u32_e32 vcc, 1, v4
	v_and_b32_e32 v4, 1, v10
	v_cmp_eq_u32_e64 s[42:43], 1, v4
	s_or_b64 s[42:43], vcc, s[42:43]
	v_cmp_eq_u16_e32 vcc, 0, v8
	v_cndmask_b32_e64 v10, 0, 1, s[42:43]
	v_mov_b32_e32 v8, v10
	v_cndmask_b32_e32 v5, 0, v7, vcc
	v_cndmask_b32_e32 v4, 0, v6, vcc
	v_lshl_add_u64 v[2:3], v[4:5], 0, v[2:3]
	v_cndmask_b32_e64 v4, 0, 1, s[42:43]
.LBB113_147:
	s_or_b64 exec, exec, s[46:47]
	v_and_b32_e32 v10, 16, v9
	v_mov_b32_dpp v5, v2 row_bcast:15 row_mask:0xf bank_mask:0xf
	v_mov_b32_dpp v6, v3 row_bcast:15 row_mask:0xf bank_mask:0xf
	;; [unrolled: 1-line block ×3, first 2 shown]
	v_cmp_ne_u32_e32 vcc, 0, v10
	s_and_saveexec_b64 s[46:47], vcc
	s_cbranch_execz .LBB113_149
; %bb.148:
	v_and_b32_e32 v4, 1, v8
	v_cmp_eq_u32_e32 vcc, 1, v4
	v_and_b32_e32 v4, 1, v7
	v_cmp_eq_u32_e64 s[42:43], 1, v4
	s_or_b64 s[42:43], vcc, s[42:43]
	v_cmp_eq_u16_e32 vcc, 0, v8
	v_cndmask_b32_e64 v10, 0, 1, s[42:43]
	v_cndmask_b32_e64 v4, 0, 1, s[42:43]
	v_cndmask_b32_e32 v7, 0, v6, vcc
	v_cndmask_b32_e32 v6, 0, v5, vcc
	v_lshl_add_u64 v[2:3], v[6:7], 0, v[2:3]
	v_mov_b32_e32 v8, v10
.LBB113_149:
	s_or_b64 exec, exec, s[46:47]
	v_mov_b32_dpp v5, v2 row_bcast:31 row_mask:0xf bank_mask:0xf
	v_mov_b32_dpp v6, v3 row_bcast:31 row_mask:0xf bank_mask:0xf
	;; [unrolled: 1-line block ×3, first 2 shown]
	v_cmp_lt_u32_e32 vcc, 31, v9
	s_and_saveexec_b64 s[46:47], vcc
; %bb.150:
	v_and_b32_e32 v7, 1, v8
	v_and_b32_e32 v4, 1, v4
	v_cmp_eq_u32_e32 vcc, 1, v7
	v_cmp_eq_u32_e64 s[42:43], 1, v4
	s_or_b64 s[42:43], vcc, s[42:43]
	v_cmp_eq_u16_e32 vcc, 0, v8
	v_cndmask_b32_e64 v4, 0, 1, s[42:43]
	v_mov_b32_e32 v8, v4
	v_cndmask_b32_e32 v7, 0, v6, vcc
	v_cndmask_b32_e32 v6, 0, v5, vcc
	v_lshl_add_u64 v[2:3], v[6:7], 0, v[2:3]
; %bb.151:
	s_or_b64 exec, exec, s[46:47]
	v_or_b32_e32 v4, 63, v0
	v_lshrrev_b32_e32 v10, 6, v0
	v_cmp_eq_u32_e32 vcc, v4, v0
	s_and_saveexec_b64 s[42:43], vcc
	s_cbranch_execz .LBB113_153
; %bb.152:
	v_lshlrev_b32_e32 v4, 4, v10
	ds_write_b64 v4, v[2:3]
	ds_write_b8 v4, v8 offset:8
.LBB113_153:
	s_or_b64 exec, exec, s[42:43]
	v_cmp_gt_u32_e32 vcc, 4, v0
	s_waitcnt lgkmcnt(0)
	s_barrier
	s_and_saveexec_b64 s[46:47], vcc
	s_cbranch_execz .LBB113_159
; %bb.154:
	v_lshlrev_b32_e32 v6, 4, v0
	ds_read_b64 v[4:5], v6
	ds_read_b32 v11, v6 offset:8
	v_and_b32_e32 v12, 3, v9
	v_cmp_ne_u32_e32 vcc, 0, v12
	s_waitcnt lgkmcnt(1)
	v_mov_b32_dpp v14, v4 row_shr:1 row_mask:0xf bank_mask:0xf
	v_mov_b32_dpp v15, v5 row_shr:1 row_mask:0xf bank_mask:0xf
	s_waitcnt lgkmcnt(0)
	v_mov_b32_dpp v16, v11 row_shr:1 row_mask:0xf bank_mask:0xf
	v_mov_b32_e32 v7, v11
	v_mov_b32_e32 v13, v11
	s_and_saveexec_b64 s[42:43], vcc
; %bb.155:
	v_or_b32_e32 v13, v16, v11
	v_mov_b32_e32 v16, 0
	v_cmp_eq_u16_sdwa vcc, v11, v16 src0_sel:BYTE_0 src1_sel:DWORD
	v_and_b32_e32 v7, 1, v13
	v_and_b32_e32 v13, 1, v13
	v_cndmask_b32_e32 v15, 0, v15, vcc
	v_cndmask_b32_e32 v14, 0, v14, vcc
	s_movk_i32 s3, 0xff00
	v_lshl_add_u64 v[4:5], v[14:15], 0, v[4:5]
	v_and_or_b32 v11, v11, s3, v13
; %bb.156:
	s_or_b64 exec, exec, s[42:43]
	v_mov_b32_dpp v14, v4 row_shr:2 row_mask:0xf bank_mask:0xf
	v_mov_b32_dpp v15, v5 row_shr:2 row_mask:0xf bank_mask:0xf
	;; [unrolled: 1-line block ×3, first 2 shown]
	v_cmp_lt_u32_e32 vcc, 1, v12
	s_and_saveexec_b64 s[64:65], vcc
; %bb.157:
	v_and_b32_e32 v7, 1, v13
	v_cmp_eq_u32_e32 vcc, 1, v7
	v_and_b32_e32 v7, 1, v11
	v_cmp_eq_u32_e64 s[42:43], 1, v7
	v_mov_b32_e32 v11, 0
	s_or_b64 s[42:43], vcc, s[42:43]
	v_cmp_eq_u16_sdwa vcc, v13, v11 src0_sel:BYTE_0 src1_sel:DWORD
	v_cndmask_b32_e64 v7, 0, 1, s[42:43]
	s_nop 0
	v_cndmask_b32_e32 v13, 0, v15, vcc
	v_cndmask_b32_e32 v12, 0, v14, vcc
	v_lshl_add_u64 v[4:5], v[12:13], 0, v[4:5]
; %bb.158:
	s_or_b64 exec, exec, s[64:65]
	ds_write_b64 v6, v[4:5]
	ds_write_b8 v6, v7 offset:8
.LBB113_159:
	s_or_b64 exec, exec, s[46:47]
	v_cmp_gt_u32_e32 vcc, 64, v0
	v_cmp_lt_u32_e64 s[42:43], 63, v0
	v_mov_b32_e32 v16, 0
	v_mov_b64_e32 v[6:7], 0
	s_waitcnt lgkmcnt(0)
	s_barrier
	s_and_saveexec_b64 s[46:47], s[42:43]
	s_cbranch_execz .LBB113_161
; %bb.160:
	v_lshl_add_u32 v4, v10, 4, -16
	ds_read_b64 v[6:7], v4
	ds_read_u8 v16, v4 offset:8
	v_cmp_eq_u16_e64 s[42:43], 0, v8
	s_waitcnt lgkmcnt(0)
	v_or_b32_e32 v8, v8, v16
	v_cndmask_b32_e64 v5, 0, v7, s[42:43]
	v_cndmask_b32_e64 v4, 0, v6, s[42:43]
	v_lshl_add_u64 v[2:3], v[2:3], 0, v[4:5]
	v_and_b32_e32 v8, 1, v8
.LBB113_161:
	s_or_b64 exec, exec, s[46:47]
	v_add_u32_e32 v4, -1, v9
	v_and_b32_e32 v5, 64, v9
	v_cmp_lt_i32_e64 s[42:43], v4, v5
	s_nop 1
	v_cndmask_b32_e64 v4, v4, v9, s[42:43]
	v_lshlrev_b32_e32 v4, 2, v4
	ds_bpermute_b32 v17, v4, v2
	v_and_b32_e32 v2, 0xffff, v8
	ds_bpermute_b32 v18, v4, v3
	ds_bpermute_b32 v19, v4, v2
	v_cmp_eq_u32_e64 s[42:43], 0, v9
	s_and_saveexec_b64 s[64:65], vcc
	s_cbranch_execz .LBB113_204
; %bb.162:
	v_mov_b32_e32 v11, 0
	ds_read2_b64 v[2:5], v11 offset0:6 offset1:7
	s_and_saveexec_b64 s[46:47], s[42:43]
	s_cbranch_execz .LBB113_164
; %bb.163:
	s_add_i32 s66, s2, 64
	s_mov_b32 s67, 0
	s_lshl_b64 s[68:69], s[66:67], 4
	s_add_u32 s68, s48, s68
	s_addc_u32 s69, s49, s69
	s_waitcnt lgkmcnt(0)
	global_store_dword v11, v2, s[68:69] sc1
	global_store_dword v11, v3, s[68:69] offset:4 sc1
	global_store_dword v11, v4, s[68:69] offset:8 sc1
	;; [unrolled: 1-line block ×3, first 2 shown]
	v_mov_b32_e32 v5, s66
	v_mov_b32_e32 v8, 1
	s_waitcnt vmcnt(0)
	global_store_byte v5, v8, s[52:53] sc1
.LBB113_164:
	s_or_b64 exec, exec, s[46:47]
	v_xad_u32 v8, v9, -1, s2
	v_add_u32_e32 v10, 64, v8
	s_waitcnt lgkmcnt(0)
	global_load_ubyte v5, v10, s[52:53] sc1
	s_waitcnt vmcnt(0)
	v_cmp_eq_u16_e32 vcc, 0, v5
	s_and_saveexec_b64 s[46:47], vcc
	s_cbranch_execz .LBB113_168
; %bb.165:
	v_lshl_add_u64 v[12:13], s[52:53], 0, v[10:11]
	s_mov_b64 s[66:67], 0
.LBB113_166:                            ; =>This Inner Loop Header: Depth=1
	global_load_ubyte v5, v[12:13], off sc1
	s_waitcnt vmcnt(0)
	v_cmp_ne_u16_e32 vcc, 0, v5
	s_or_b64 s[66:67], vcc, s[66:67]
	s_andn2_b64 exec, exec, s[66:67]
	s_cbranch_execnz .LBB113_166
; %bb.167:
	s_or_b64 exec, exec, s[66:67]
.LBB113_168:
	s_or_b64 exec, exec, s[46:47]
	v_mov_b32_e32 v12, s51
	v_mov_b32_e32 v13, s49
	v_cmp_eq_u16_e32 vcc, 1, v5
	v_mov_b32_e32 v14, s48
	s_nop 0
	v_cndmask_b32_e32 v13, v12, v13, vcc
	v_mov_b32_e32 v12, s50
	v_cndmask_b32_e32 v12, v12, v14, vcc
	v_lshl_add_u64 v[10:11], v[10:11], 4, v[12:13]
	global_load_dword v14, v[10:11], off sc1
	global_load_dword v15, v[10:11], off offset:4 sc1
	global_load_dword v34, v[10:11], off offset:8 sc1
	s_nop 0
	global_load_dword v10, v[10:11], off offset:12 sc1
	v_cmp_eq_u16_e32 vcc, 2, v5
	s_waitcnt vmcnt(0)
	v_lshlrev_b64 v[10:11], v9, -1
	v_and_b32_e32 v12, 63, v9
	v_and_b32_e32 v13, vcc_hi, v11
	v_and_b32_e32 v21, vcc_lo, v10
	v_cmp_ne_u32_e32 vcc, 63, v12
	v_or_b32_e32 v13, 0x80000000, v13
	v_ffbl_b32_e32 v13, v13
	v_addc_co_u32_e32 v20, vcc, 0, v9, vcc
	v_lshlrev_b32_e32 v20, 2, v20
	v_add_u32_e32 v13, 32, v13
	v_ffbl_b32_e32 v21, v21
	v_min_u32_e32 v13, v21, v13
	v_add_u32_e32 v21, 1, v9
	v_cmp_le_u32_e32 vcc, v21, v13
	ds_bpermute_b32 v23, v20, v14
	ds_bpermute_b32 v24, v20, v15
	v_and_b32_e32 v30, 0xff, v34
	ds_bpermute_b32 v22, v20, v30
	s_and_saveexec_b64 s[46:47], vcc
	s_cbranch_execz .LBB113_170
; %bb.169:
	v_mov_b32_e32 v25, 0
	v_cmp_eq_u16_sdwa vcc, v34, v25 src0_sel:BYTE_0 src1_sel:DWORD
	s_waitcnt lgkmcnt(0)
	v_or_b32_e32 v22, v22, v34
	v_and_b32_e32 v34, 1, v22
	v_cndmask_b32_e32 v25, 0, v24, vcc
	v_cndmask_b32_e32 v24, 0, v23, vcc
	v_lshl_add_u64 v[14:15], v[24:25], 0, v[14:15]
	v_and_b32_e32 v30, 1, v22
.LBB113_170:
	s_or_b64 exec, exec, s[46:47]
	v_cmp_gt_u32_e32 vcc, 62, v12
	s_waitcnt lgkmcnt(2)
	v_add_u32_e32 v23, 2, v9
	s_waitcnt lgkmcnt(0)
	v_cndmask_b32_e64 v22, 0, 1, vcc
	v_lshlrev_b32_e32 v22, 1, v22
	v_add_lshl_u32 v22, v22, v9, 2
	ds_bpermute_b32 v25, v22, v14
	ds_bpermute_b32 v26, v22, v15
	ds_bpermute_b32 v24, v22, v30
	v_cmp_le_u32_e32 vcc, v23, v13
	s_and_saveexec_b64 s[66:67], vcc
	s_cbranch_execz .LBB113_172
; %bb.171:
	v_mov_b32_e32 v27, 0
	v_cmp_eq_u16_sdwa vcc, v34, v27 src0_sel:BYTE_0 src1_sel:DWORD
	s_waitcnt lgkmcnt(0)
	v_and_b32_e32 v24, 1, v24
	v_cmp_eq_u32_e64 s[46:47], 1, v24
	v_cndmask_b32_e32 v27, 0, v26, vcc
	v_cndmask_b32_e32 v26, 0, v25, vcc
	v_and_b32_e32 v25, 1, v34
	v_cmp_eq_u32_e32 vcc, 1, v25
	s_or_b64 s[46:47], vcc, s[46:47]
	v_lshl_add_u64 v[14:15], v[26:27], 0, v[14:15]
	v_cndmask_b32_e64 v34, 0, 1, s[46:47]
	v_cndmask_b32_e64 v30, 0, 1, s[46:47]
.LBB113_172:
	s_or_b64 exec, exec, s[66:67]
	v_cmp_gt_u32_e32 vcc, 60, v12
	s_waitcnt lgkmcnt(2)
	v_add_u32_e32 v25, 4, v9
	s_waitcnt lgkmcnt(0)
	v_cndmask_b32_e64 v24, 0, 1, vcc
	v_lshlrev_b32_e32 v24, 2, v24
	v_add_lshl_u32 v24, v24, v9, 2
	ds_bpermute_b32 v27, v24, v14
	ds_bpermute_b32 v28, v24, v15
	;; [unrolled: 1-line block ×3, first 2 shown]
	v_cmp_le_u32_e32 vcc, v25, v13
	s_and_saveexec_b64 s[66:67], vcc
	s_cbranch_execz .LBB113_174
; %bb.173:
	v_mov_b32_e32 v29, 0
	v_cmp_eq_u16_sdwa vcc, v34, v29 src0_sel:BYTE_0 src1_sel:DWORD
	s_waitcnt lgkmcnt(0)
	v_and_b32_e32 v26, 1, v26
	v_cmp_eq_u32_e64 s[46:47], 1, v26
	v_cndmask_b32_e32 v29, 0, v28, vcc
	v_cndmask_b32_e32 v28, 0, v27, vcc
	v_and_b32_e32 v27, 1, v34
	v_cmp_eq_u32_e32 vcc, 1, v27
	s_or_b64 s[46:47], vcc, s[46:47]
	v_lshl_add_u64 v[14:15], v[28:29], 0, v[14:15]
	v_cndmask_b32_e64 v34, 0, 1, s[46:47]
	v_cndmask_b32_e64 v30, 0, 1, s[46:47]
.LBB113_174:
	s_or_b64 exec, exec, s[66:67]
	v_cmp_gt_u32_e32 vcc, 56, v12
	s_waitcnt lgkmcnt(2)
	v_add_u32_e32 v27, 8, v9
	s_waitcnt lgkmcnt(0)
	v_cndmask_b32_e64 v26, 0, 1, vcc
	v_lshlrev_b32_e32 v26, 3, v26
	v_add_lshl_u32 v26, v26, v9, 2
	ds_bpermute_b32 v29, v26, v14
	ds_bpermute_b32 v31, v26, v15
	;; [unrolled: 1-line block ×3, first 2 shown]
	v_cmp_le_u32_e32 vcc, v27, v13
	s_and_saveexec_b64 s[66:67], vcc
	s_cbranch_execz .LBB113_176
; %bb.175:
	v_mov_b32_e32 v30, 0
	v_cmp_eq_u16_sdwa vcc, v34, v30 src0_sel:BYTE_0 src1_sel:DWORD
	s_waitcnt lgkmcnt(0)
	v_and_b32_e32 v28, 1, v28
	v_cmp_eq_u32_e64 s[46:47], 1, v28
	v_cndmask_b32_e32 v30, 0, v29, vcc
	v_and_b32_e32 v29, 1, v34
	v_cndmask_b32_e32 v31, 0, v31, vcc
	v_cmp_eq_u32_e32 vcc, 1, v29
	s_or_b64 s[46:47], vcc, s[46:47]
	v_lshl_add_u64 v[14:15], v[30:31], 0, v[14:15]
	v_cndmask_b32_e64 v34, 0, 1, s[46:47]
	v_cndmask_b32_e64 v30, 0, 1, s[46:47]
.LBB113_176:
	s_or_b64 exec, exec, s[66:67]
	v_cmp_gt_u32_e32 vcc, 48, v12
	s_waitcnt lgkmcnt(2)
	v_add_u32_e32 v29, 16, v9
	s_waitcnt lgkmcnt(0)
	v_cndmask_b32_e64 v28, 0, 1, vcc
	v_lshlrev_b32_e32 v28, 4, v28
	v_add_lshl_u32 v28, v28, v9, 2
	ds_bpermute_b32 v32, v28, v14
	ds_bpermute_b32 v33, v28, v15
	;; [unrolled: 1-line block ×3, first 2 shown]
	v_cmp_le_u32_e32 vcc, v29, v13
	s_and_saveexec_b64 s[66:67], vcc
	s_cbranch_execz .LBB113_178
; %bb.177:
	v_mov_b32_e32 v30, 0
	v_cmp_eq_u16_sdwa vcc, v34, v30 src0_sel:BYTE_0 src1_sel:DWORD
	v_and_b32_e32 v30, 1, v34
	s_waitcnt lgkmcnt(1)
	v_cndmask_b32_e32 v33, 0, v33, vcc
	v_cndmask_b32_e32 v32, 0, v32, vcc
	v_cmp_eq_u32_e32 vcc, 1, v30
	s_waitcnt lgkmcnt(0)
	v_and_b32_e32 v30, 1, v31
	v_cmp_eq_u32_e64 s[46:47], 1, v30
	s_or_b64 s[46:47], vcc, s[46:47]
	v_lshl_add_u64 v[14:15], v[32:33], 0, v[14:15]
	v_cndmask_b32_e64 v34, 0, 1, s[46:47]
	v_cndmask_b32_e64 v30, 0, 1, s[46:47]
.LBB113_178:
	s_or_b64 exec, exec, s[66:67]
	v_cmp_gt_u32_e32 vcc, 32, v12
	s_waitcnt lgkmcnt(2)
	v_add_u32_e32 v32, 32, v9
	v_cndmask_b32_e64 v12, 0, 1, vcc
	v_lshlrev_b32_e32 v12, 5, v12
	s_waitcnt lgkmcnt(0)
	v_add_lshl_u32 v31, v12, v9, 2
	ds_bpermute_b32 v33, v31, v14
	ds_bpermute_b32 v35, v31, v15
	;; [unrolled: 1-line block ×3, first 2 shown]
	v_cmp_le_u32_e32 vcc, v32, v13
	s_and_saveexec_b64 s[66:67], vcc
	s_cbranch_execz .LBB113_180
; %bb.179:
	v_mov_b32_e32 v9, 0
	v_cmp_eq_u16_sdwa vcc, v34, v9 src0_sel:BYTE_0 src1_sel:DWORD
	v_and_b32_e32 v9, 1, v34
	s_waitcnt lgkmcnt(1)
	v_cndmask_b32_e32 v37, 0, v35, vcc
	v_cndmask_b32_e32 v36, 0, v33, vcc
	v_cmp_eq_u32_e32 vcc, 1, v9
	s_waitcnt lgkmcnt(0)
	v_and_b32_e32 v9, 1, v12
	v_cmp_eq_u32_e64 s[46:47], 1, v9
	s_or_b64 s[46:47], vcc, s[46:47]
	v_lshl_add_u64 v[14:15], v[36:37], 0, v[14:15]
	v_cndmask_b32_e64 v34, 0, 1, s[46:47]
.LBB113_180:
	s_or_b64 exec, exec, s[66:67]
	v_mov_b32_e32 v9, 0
	s_waitcnt lgkmcnt(2)
	v_mov_b32_e32 v33, 2
	s_branch .LBB113_182
.LBB113_181:                            ;   in Loop: Header=BB113_182 Depth=1
	s_or_b64 exec, exec, s[68:69]
	v_cmp_eq_u16_sdwa vcc, v30, v9 src0_sel:BYTE_0 src1_sel:DWORD
	v_and_b32_e32 v34, 1, v30
	v_subrev_u32_e32 v8, 64, v8
	v_cndmask_b32_e32 v15, 0, v15, vcc
	v_cndmask_b32_e32 v14, 0, v14, vcc
	v_cmp_eq_u32_e32 vcc, 1, v34
	s_or_b64 s[46:47], vcc, s[66:67]
	v_lshl_add_u64 v[14:15], v[14:15], 0, v[12:13]
	v_cndmask_b32_e64 v34, 0, 1, s[46:47]
.LBB113_182:                            ; =>This Loop Header: Depth=1
                                        ;     Child Loop BB113_185 Depth 2
	v_cmp_ne_u16_sdwa s[46:47], v5, v33 src0_sel:BYTE_0 src1_sel:DWORD
	v_mov_b32_e32 v30, v34
	s_waitcnt lgkmcnt(0)
	v_mov_b64_e32 v[12:13], v[14:15]
	v_cndmask_b32_e64 v5, 0, 1, s[46:47]
	;;#ASMSTART
	;;#ASMEND
	s_nop 0
	v_cmp_ne_u32_e32 vcc, 0, v5
	s_cmp_lg_u64 vcc, exec
	s_cbranch_scc1 .LBB113_199
; %bb.183:                              ;   in Loop: Header=BB113_182 Depth=1
	global_load_ubyte v5, v8, s[52:53] sc1
	s_waitcnt vmcnt(0)
	v_cmp_eq_u16_e32 vcc, 0, v5
	s_and_saveexec_b64 s[46:47], vcc
	s_cbranch_execz .LBB113_187
; %bb.184:                              ;   in Loop: Header=BB113_182 Depth=1
	v_lshl_add_u64 v[14:15], s[52:53], 0, v[8:9]
	s_mov_b64 s[66:67], 0
.LBB113_185:                            ;   Parent Loop BB113_182 Depth=1
                                        ; =>  This Inner Loop Header: Depth=2
	global_load_ubyte v5, v[14:15], off sc1
	s_waitcnt vmcnt(0)
	v_cmp_ne_u16_e32 vcc, 0, v5
	s_or_b64 s[66:67], vcc, s[66:67]
	s_andn2_b64 exec, exec, s[66:67]
	s_cbranch_execnz .LBB113_185
; %bb.186:                              ;   in Loop: Header=BB113_182 Depth=1
	s_or_b64 exec, exec, s[66:67]
.LBB113_187:                            ;   in Loop: Header=BB113_182 Depth=1
	s_or_b64 exec, exec, s[46:47]
	v_mov_b32_e32 v14, s51
	v_mov_b32_e32 v15, s49
	v_cmp_eq_u16_e32 vcc, 1, v5
	v_mov_b32_e32 v34, s48
	s_nop 0
	v_cndmask_b32_e32 v15, v14, v15, vcc
	v_mov_b32_e32 v14, s50
	v_cndmask_b32_e32 v14, v14, v34, vcc
	v_lshl_add_u64 v[34:35], v[8:9], 4, v[14:15]
	global_load_dword v14, v[34:35], off sc1
	global_load_dword v15, v[34:35], off offset:4 sc1
	global_load_dword v37, v[34:35], off offset:8 sc1
	s_nop 0
	global_load_dword v34, v[34:35], off offset:12 sc1
	v_cmp_eq_u16_e32 vcc, 2, v5
	s_waitcnt vmcnt(3)
	ds_bpermute_b32 v39, v20, v14
	s_waitcnt vmcnt(0)
	v_and_b32_e32 v34, vcc_hi, v11
	v_and_b32_e32 v36, 0xff, v37
	v_or_b32_e32 v34, 0x80000000, v34
	ds_bpermute_b32 v82, v20, v15
	ds_bpermute_b32 v38, v20, v36
	v_and_b32_e32 v35, vcc_lo, v10
	v_ffbl_b32_e32 v34, v34
	v_add_u32_e32 v34, 32, v34
	v_ffbl_b32_e32 v35, v35
	v_min_u32_e32 v34, v35, v34
	v_cmp_le_u32_e32 vcc, v21, v34
	v_mov_b32_e32 v35, v37
	s_and_saveexec_b64 s[46:47], vcc
	s_cbranch_execz .LBB113_189
; %bb.188:                              ;   in Loop: Header=BB113_182 Depth=1
	v_cmp_eq_u16_sdwa vcc, v37, v9 src0_sel:BYTE_0 src1_sel:DWORD
	s_waitcnt lgkmcnt(0)
	v_or_b32_e32 v37, v38, v37
	v_and_b32_e32 v35, 1, v37
	v_cndmask_b32_e32 v83, 0, v82, vcc
	v_cndmask_b32_e32 v82, 0, v39, vcc
	v_lshl_add_u64 v[14:15], v[82:83], 0, v[14:15]
	v_and_b32_e32 v36, 1, v37
.LBB113_189:                            ;   in Loop: Header=BB113_182 Depth=1
	s_or_b64 exec, exec, s[46:47]
	s_waitcnt lgkmcnt(2)
	ds_bpermute_b32 v39, v22, v14
	s_waitcnt lgkmcnt(2)
	ds_bpermute_b32 v82, v22, v15
	;; [unrolled: 2-line block ×3, first 2 shown]
	v_and_b32_e32 v37, 1, v37
	v_cmp_eq_u32_e64 s[66:67], 1, v37
	v_cmp_le_u32_e32 vcc, v23, v34
	s_and_saveexec_b64 s[68:69], vcc
	s_cbranch_execz .LBB113_191
; %bb.190:                              ;   in Loop: Header=BB113_182 Depth=1
	v_cmp_eq_u16_sdwa vcc, v35, v9 src0_sel:BYTE_0 src1_sel:DWORD
	v_and_b32_e32 v35, 1, v35
	s_andn2_b64 s[66:67], s[66:67], exec
	s_waitcnt lgkmcnt(1)
	v_cndmask_b32_e32 v37, 0, v82, vcc
	v_cndmask_b32_e32 v36, 0, v39, vcc
	v_cmp_eq_u32_e32 vcc, 1, v35
	s_waitcnt lgkmcnt(0)
	v_and_b32_e32 v35, 1, v38
	v_cmp_eq_u32_e64 s[46:47], 1, v35
	s_or_b64 s[46:47], vcc, s[46:47]
	v_lshl_add_u64 v[14:15], v[36:37], 0, v[14:15]
	v_cndmask_b32_e64 v35, 0, 1, s[46:47]
	v_cndmask_b32_e64 v36, 0, 1, s[46:47]
	s_and_b64 s[46:47], s[46:47], exec
	s_or_b64 s[66:67], s[66:67], s[46:47]
.LBB113_191:                            ;   in Loop: Header=BB113_182 Depth=1
	s_or_b64 exec, exec, s[68:69]
	s_waitcnt lgkmcnt(0)
	ds_bpermute_b32 v38, v24, v14
	ds_bpermute_b32 v39, v24, v15
	ds_bpermute_b32 v37, v24, v36
	v_cmp_le_u32_e32 vcc, v25, v34
	s_and_saveexec_b64 s[68:69], vcc
	s_cbranch_execz .LBB113_193
; %bb.192:                              ;   in Loop: Header=BB113_182 Depth=1
	v_cmp_eq_u16_sdwa vcc, v35, v9 src0_sel:BYTE_0 src1_sel:DWORD
	v_and_b32_e32 v35, 1, v35
	s_andn2_b64 s[66:67], s[66:67], exec
	s_waitcnt lgkmcnt(1)
	v_cndmask_b32_e32 v39, 0, v39, vcc
	v_cndmask_b32_e32 v38, 0, v38, vcc
	v_cmp_eq_u32_e32 vcc, 1, v35
	s_waitcnt lgkmcnt(0)
	v_and_b32_e32 v35, 1, v37
	v_cmp_eq_u32_e64 s[46:47], 1, v35
	s_or_b64 s[46:47], vcc, s[46:47]
	v_lshl_add_u64 v[14:15], v[38:39], 0, v[14:15]
	v_cndmask_b32_e64 v35, 0, 1, s[46:47]
	v_cndmask_b32_e64 v36, 0, 1, s[46:47]
	s_and_b64 s[46:47], s[46:47], exec
	s_or_b64 s[66:67], s[66:67], s[46:47]
.LBB113_193:                            ;   in Loop: Header=BB113_182 Depth=1
	s_or_b64 exec, exec, s[68:69]
	s_waitcnt lgkmcnt(2)
	ds_bpermute_b32 v38, v26, v14
	s_waitcnt lgkmcnt(2)
	ds_bpermute_b32 v39, v26, v15
	;; [unrolled: 2-line block ×3, first 2 shown]
	v_cmp_le_u32_e32 vcc, v27, v34
	s_and_saveexec_b64 s[68:69], vcc
	s_cbranch_execz .LBB113_195
; %bb.194:                              ;   in Loop: Header=BB113_182 Depth=1
	v_cmp_eq_u16_sdwa vcc, v35, v9 src0_sel:BYTE_0 src1_sel:DWORD
	v_and_b32_e32 v35, 1, v35
	s_andn2_b64 s[66:67], s[66:67], exec
	s_waitcnt lgkmcnt(1)
	v_cndmask_b32_e32 v39, 0, v39, vcc
	v_cndmask_b32_e32 v38, 0, v38, vcc
	v_cmp_eq_u32_e32 vcc, 1, v35
	s_waitcnt lgkmcnt(0)
	v_and_b32_e32 v35, 1, v37
	v_cmp_eq_u32_e64 s[46:47], 1, v35
	s_or_b64 s[46:47], vcc, s[46:47]
	v_lshl_add_u64 v[14:15], v[38:39], 0, v[14:15]
	v_cndmask_b32_e64 v35, 0, 1, s[46:47]
	v_cndmask_b32_e64 v36, 0, 1, s[46:47]
	s_and_b64 s[46:47], s[46:47], exec
	s_or_b64 s[66:67], s[66:67], s[46:47]
.LBB113_195:                            ;   in Loop: Header=BB113_182 Depth=1
	s_or_b64 exec, exec, s[68:69]
	s_waitcnt lgkmcnt(2)
	ds_bpermute_b32 v38, v28, v14
	s_waitcnt lgkmcnt(2)
	ds_bpermute_b32 v39, v28, v15
	;; [unrolled: 2-line block ×3, first 2 shown]
	v_cmp_le_u32_e32 vcc, v29, v34
	s_and_saveexec_b64 s[68:69], vcc
	s_cbranch_execz .LBB113_197
; %bb.196:                              ;   in Loop: Header=BB113_182 Depth=1
	v_cmp_eq_u16_sdwa vcc, v35, v9 src0_sel:BYTE_0 src1_sel:DWORD
	v_and_b32_e32 v35, 1, v35
	s_andn2_b64 s[66:67], s[66:67], exec
	s_waitcnt lgkmcnt(1)
	v_cndmask_b32_e32 v39, 0, v39, vcc
	v_cndmask_b32_e32 v38, 0, v38, vcc
	v_cmp_eq_u32_e32 vcc, 1, v35
	s_waitcnt lgkmcnt(0)
	v_and_b32_e32 v35, 1, v37
	v_cmp_eq_u32_e64 s[46:47], 1, v35
	s_or_b64 s[46:47], vcc, s[46:47]
	v_lshl_add_u64 v[14:15], v[38:39], 0, v[14:15]
	v_cndmask_b32_e64 v35, 0, 1, s[46:47]
	v_cndmask_b32_e64 v36, 0, 1, s[46:47]
	s_and_b64 s[46:47], s[46:47], exec
	s_or_b64 s[66:67], s[66:67], s[46:47]
.LBB113_197:                            ;   in Loop: Header=BB113_182 Depth=1
	s_or_b64 exec, exec, s[68:69]
	s_waitcnt lgkmcnt(0)
	ds_bpermute_b32 v37, v31, v14
	ds_bpermute_b32 v38, v31, v15
	;; [unrolled: 1-line block ×3, first 2 shown]
	v_cmp_le_u32_e32 vcc, v32, v34
	s_and_saveexec_b64 s[68:69], vcc
	s_cbranch_execz .LBB113_181
; %bb.198:                              ;   in Loop: Header=BB113_182 Depth=1
	v_cmp_eq_u16_sdwa vcc, v35, v9 src0_sel:BYTE_0 src1_sel:DWORD
	v_and_b32_e32 v34, 1, v35
	s_andn2_b64 s[66:67], s[66:67], exec
	s_waitcnt lgkmcnt(1)
	v_cndmask_b32_e32 v39, 0, v38, vcc
	v_cndmask_b32_e32 v38, 0, v37, vcc
	v_cmp_eq_u32_e32 vcc, 1, v34
	s_waitcnt lgkmcnt(0)
	v_and_b32_e32 v34, 1, v36
	v_cmp_eq_u32_e64 s[46:47], 1, v34
	s_or_b64 s[46:47], vcc, s[46:47]
	s_and_b64 s[46:47], s[46:47], exec
	v_lshl_add_u64 v[14:15], v[38:39], 0, v[14:15]
	s_or_b64 s[66:67], s[66:67], s[46:47]
	s_branch .LBB113_181
.LBB113_199:                            ;   in Loop: Header=BB113_182 Depth=1
                                        ; implicit-def: $vgpr34
                                        ; implicit-def: $vgpr14_vgpr15
                                        ; implicit-def: $vgpr5
	s_cbranch_execz .LBB113_182
; %bb.200:
	s_and_saveexec_b64 s[46:47], s[42:43]
	s_cbranch_execz .LBB113_202
; %bb.201:
	s_mov_b32 s3, 0
	v_mov_b32_e32 v5, 0
	s_add_i32 s2, s2, 64
	v_cmp_eq_u32_sdwa vcc, v4, v5 src0_sel:BYTE_0 src1_sel:DWORD
	s_lshl_b64 s[48:49], s[2:3], 4
	v_and_b32_e32 v4, 1, v4
	v_cndmask_b32_e32 v9, 0, v13, vcc
	v_cndmask_b32_e32 v8, 0, v12, vcc
	s_add_u32 s48, s50, s48
	v_lshl_add_u64 v[2:3], v[8:9], 0, v[2:3]
	v_and_b32_e32 v8, 1, v30
	v_cmp_eq_u32_e32 vcc, 1, v4
	s_addc_u32 s49, s51, s49
	s_nop 0
	v_cndmask_b32_e64 v4, v8, 1, vcc
	global_store_dword v5, v2, s[48:49] sc1
	global_store_dword v5, v3, s[48:49] offset:4 sc1
	global_store_dword v5, v4, s[48:49] offset:8 sc1
	;; [unrolled: 1-line block ×3, first 2 shown]
	v_mov_b32_e32 v2, s2
	v_mov_b32_e32 v3, 2
	s_waitcnt vmcnt(0) lgkmcnt(0)
	global_store_byte v2, v3, s[52:53] sc1
.LBB113_202:
	s_or_b64 exec, exec, s[46:47]
	v_cmp_eq_u32_e32 vcc, 0, v0
	s_and_b64 exec, exec, vcc
	s_cbranch_execz .LBB113_204
; %bb.203:
	v_mov_b32_e32 v2, 0
	ds_write_b64 v2, v[12:13] offset:48
	ds_write_b8 v2, v30 offset:56
.LBB113_204:
	s_or_b64 exec, exec, s[64:65]
	v_mov_b32_e32 v8, 0
	s_waitcnt lgkmcnt(0)
	s_barrier
	ds_read_b64 v[2:3], v8 offset:48
	v_cndmask_b32_e64 v9, v19, v16, s[42:43]
	v_cmp_eq_u16_sdwa vcc, v9, v8 src0_sel:BYTE_0 src1_sel:DWORD
	v_cndmask_b32_e64 v4, v17, v6, s[42:43]
	v_cndmask_b32_e64 v5, v18, v7, s[42:43]
	s_waitcnt lgkmcnt(0)
	v_cndmask_b32_e32 v7, 0, v3, vcc
	v_cndmask_b32_e32 v6, 0, v2, vcc
	v_lshl_add_u64 v[4:5], v[4:5], 0, v[6:7]
	v_cmp_eq_u32_e32 vcc, 0, v0
	s_nop 1
	v_cndmask_b32_e32 v83, v5, v3, vcc
	v_cndmask_b32_e32 v82, v4, v2, vcc
	v_cmp_eq_u16_sdwa vcc, v1, v8 src0_sel:BYTE_0 src1_sel:DWORD
	s_nop 1
	v_cndmask_b32_e32 v3, 0, v83, vcc
	v_cndmask_b32_e32 v2, 0, v82, vcc
	v_lshl_add_u64 v[6:7], v[2:3], 0, v[42:43]
	v_cndmask_b32_e64 v3, 0, v7, s[44:45]
	v_cndmask_b32_e64 v2, 0, v6, s[44:45]
	v_lshl_add_u64 v[2:3], v[2:3], 0, v[44:45]
	v_cndmask_b32_e64 v5, 0, v3, s[4:5]
	v_cndmask_b32_e64 v4, 0, v2, s[4:5]
	;; [unrolled: 3-line block ×19, first 2 shown]
	s_branch .LBB113_233
.LBB113_205:
                                        ; implicit-def: $vgpr2_vgpr3_vgpr4_vgpr5
                                        ; implicit-def: $vgpr82_vgpr83
                                        ; implicit-def: $vgpr102_vgpr103
                                        ; implicit-def: $vgpr100_vgpr101
                                        ; implicit-def: $vgpr98_vgpr99
                                        ; implicit-def: $vgpr96_vgpr97
                                        ; implicit-def: $vgpr94_vgpr95
                                        ; implicit-def: $vgpr92_vgpr93
                                        ; implicit-def: $vgpr90_vgpr91
                                        ; implicit-def: $vgpr88_vgpr89
                                        ; implicit-def: $vgpr86_vgpr87
                                        ; implicit-def: $vgpr84_vgpr85
                                        ; implicit-def: $vgpr36_vgpr37_vgpr38_vgpr39
                                        ; implicit-def: $vgpr32_vgpr33_vgpr34_vgpr35
                                        ; implicit-def: $vgpr28_vgpr29_vgpr30_vgpr31
                                        ; implicit-def: $vgpr24_vgpr25_vgpr26_vgpr27
                                        ; implicit-def: $vgpr20_vgpr21_vgpr22_vgpr23
                                        ; implicit-def: $vgpr16_vgpr17_vgpr18_vgpr19
                                        ; implicit-def: $vgpr12_vgpr13_vgpr14_vgpr15
                                        ; implicit-def: $vgpr8_vgpr9_vgpr10_vgpr11
                                        ; implicit-def: $vgpr4_vgpr5_vgpr6_vgpr7
	s_cbranch_execz .LBB113_233
; %bb.206:
	s_cmp_eq_u64 s[62:63], 0
	s_cbranch_scc1 .LBB113_208
; %bb.207:
	s_load_dwordx2 s[58:59], s[62:63], 0x0
.LBB113_208:
	v_mov_b32_e32 v4, 0
	v_cmp_eq_u16_sdwa vcc, v104, v4 src0_sel:BYTE_0 src1_sel:DWORD
	v_cmp_eq_u16_sdwa s[2:3], v105, v4 src0_sel:BYTE_0 src1_sel:DWORD
	v_cmp_eq_u16_sdwa s[4:5], v107, v4 src0_sel:BYTE_0 src1_sel:DWORD
	v_cndmask_b32_e32 v3, 0, v43, vcc
	v_cndmask_b32_e32 v2, 0, v42, vcc
	v_lshl_add_u64 v[2:3], v[2:3], 0, v[44:45]
	v_cndmask_b32_e64 v3, 0, v3, s[2:3]
	v_cndmask_b32_e64 v2, 0, v2, s[2:3]
	v_lshl_add_u64 v[2:3], v[2:3], 0, v[46:47]
	v_cndmask_b32_e64 v3, 0, v3, s[4:5]
	v_cndmask_b32_e64 v2, 0, v2, s[4:5]
	v_lshl_add_u64 v[2:3], v[2:3], 0, v[48:49]
	v_cmp_eq_u16_sdwa s[6:7], v108, v4 src0_sel:BYTE_0 src1_sel:DWORD
	v_cmp_eq_u16_sdwa s[8:9], v109, v4 src0_sel:BYTE_0 src1_sel:DWORD
	v_cmp_eq_u16_sdwa s[10:11], v110, v4 src0_sel:BYTE_0 src1_sel:DWORD
	v_cndmask_b32_e64 v3, 0, v3, s[6:7]
	v_cndmask_b32_e64 v2, 0, v2, s[6:7]
	v_lshl_add_u64 v[2:3], v[2:3], 0, v[50:51]
	v_cndmask_b32_e64 v3, 0, v3, s[8:9]
	v_cndmask_b32_e64 v2, 0, v2, s[8:9]
	v_lshl_add_u64 v[2:3], v[2:3], 0, v[52:53]
	v_cndmask_b32_e64 v3, 0, v3, s[10:11]
	v_cndmask_b32_e64 v2, 0, v2, s[10:11]
	v_lshl_add_u64 v[2:3], v[2:3], 0, v[54:55]
	v_cmp_eq_u16_sdwa s[12:13], v111, v4 src0_sel:BYTE_0 src1_sel:DWORD
	v_cmp_eq_u16_sdwa s[14:15], v112, v4 src0_sel:BYTE_0 src1_sel:DWORD
	v_cmp_eq_u16_sdwa s[16:17], v113, v4 src0_sel:BYTE_0 src1_sel:DWORD
	v_cndmask_b32_e64 v3, 0, v3, s[12:13]
	v_cndmask_b32_e64 v2, 0, v2, s[12:13]
	;; [unrolled: 12-line block ×3, first 2 shown]
	v_lshl_add_u64 v[2:3], v[2:3], 0, v[62:63]
	v_cndmask_b32_e64 v3, 0, v3, s[20:21]
	v_cndmask_b32_e64 v2, 0, v2, s[20:21]
	v_lshl_add_u64 v[2:3], v[2:3], 0, v[64:65]
	v_cmp_eq_u16_sdwa s[24:25], v117, v4 src0_sel:BYTE_0 src1_sel:DWORD
	v_cmp_eq_u16_sdwa s[26:27], v118, v4 src0_sel:BYTE_0 src1_sel:DWORD
	;; [unrolled: 1-line block ×8, first 2 shown]
	v_or_b32_e32 v4, v125, v121
	v_cndmask_b32_e64 v3, 0, v3, s[22:23]
	v_cndmask_b32_e64 v2, 0, v2, s[22:23]
	v_or_b32_e32 v4, v4, v120
	v_lshl_add_u64 v[2:3], v[2:3], 0, v[66:67]
	v_or_b32_e32 v4, v4, v119
	v_cndmask_b32_e64 v3, 0, v3, s[24:25]
	v_cndmask_b32_e64 v2, 0, v2, s[24:25]
	v_or_b32_e32 v4, v4, v118
	v_lshl_add_u64 v[2:3], v[2:3], 0, v[68:69]
	v_or_b32_e32 v4, v4, v117
	v_cndmask_b32_e64 v3, 0, v3, s[26:27]
	v_cndmask_b32_e64 v2, 0, v2, s[26:27]
	v_or_b32_e32 v4, v4, v116
	v_lshl_add_u64 v[2:3], v[2:3], 0, v[70:71]
	v_or_b32_e32 v4, v4, v115
	v_cndmask_b32_e64 v3, 0, v3, s[28:29]
	v_cndmask_b32_e64 v2, 0, v2, s[28:29]
	v_or_b32_e32 v4, v4, v114
	v_lshl_add_u64 v[2:3], v[2:3], 0, v[72:73]
	v_or_b32_e32 v4, v4, v113
	v_cndmask_b32_e64 v3, 0, v3, s[30:31]
	v_cndmask_b32_e64 v2, 0, v2, s[30:31]
	v_or_b32_e32 v4, v4, v112
	v_lshl_add_u64 v[2:3], v[2:3], 0, v[74:75]
	v_or_b32_e32 v4, v4, v111
	v_cndmask_b32_e64 v3, 0, v3, s[34:35]
	v_cndmask_b32_e64 v2, 0, v2, s[34:35]
	v_or_b32_e32 v4, v4, v110
	v_lshl_add_u64 v[2:3], v[2:3], 0, v[76:77]
	v_or_b32_e32 v4, v4, v109
	v_cndmask_b32_e64 v3, 0, v3, s[36:37]
	v_cndmask_b32_e64 v2, 0, v2, s[36:37]
	v_or_b32_e32 v4, v4, v108
	v_lshl_add_u64 v[2:3], v[2:3], 0, v[78:79]
	v_or_b32_e32 v4, v4, v107
	v_cndmask_b32_e64 v3, 0, v3, s[38:39]
	v_cndmask_b32_e64 v2, 0, v2, s[38:39]
	v_or_b32_e32 v4, v4, v105
	v_lshl_add_u64 v[2:3], v[2:3], 0, v[40:41]
	v_or_b32_e32 v4, v4, v104
	v_cndmask_b32_e64 v3, 0, v3, s[40:41]
	v_cndmask_b32_e64 v2, 0, v2, s[40:41]
	v_or_b32_e32 v4, v4, v1
	v_mbcnt_hi_u32_b32 v6, -1, v124
	v_lshl_add_u64 v[2:3], v[2:3], 0, v[80:81]
	v_and_b32_e32 v7, 1, v4
	v_and_b32_e32 v5, 15, v6
	v_cmp_eq_u32_e64 s[40:41], 1, v7
	v_mov_b32_dpp v8, v2 row_shr:1 row_mask:0xf bank_mask:0xf
	v_mov_b32_dpp v9, v3 row_shr:1 row_mask:0xf bank_mask:0xf
	;; [unrolled: 1-line block ×3, first 2 shown]
	v_cmp_ne_u32_e64 s[42:43], 0, v5
	v_mov_b32_e32 v4, v7
	s_and_saveexec_b64 s[44:45], s[42:43]
; %bb.209:
	v_and_b32_e32 v4, 1, v10
	v_or_b32_e32 v7, v4, v7
	v_cndmask_b32_e64 v9, v9, 0, s[40:41]
	v_cndmask_b32_e64 v8, v8, 0, s[40:41]
	v_lshl_add_u64 v[2:3], v[8:9], 0, v[2:3]
	v_and_b32_e32 v4, 0xffff, v7
; %bb.210:
	s_or_b64 exec, exec, s[44:45]
	v_mov_b32_dpp v8, v2 row_shr:2 row_mask:0xf bank_mask:0xf
	v_mov_b32_dpp v9, v3 row_shr:2 row_mask:0xf bank_mask:0xf
	;; [unrolled: 1-line block ×3, first 2 shown]
	v_cmp_lt_u32_e64 s[40:41], 1, v5
	s_and_saveexec_b64 s[44:45], s[40:41]
	s_cbranch_execz .LBB113_212
; %bb.211:
	v_and_b32_e32 v4, 1, v7
	v_cmp_eq_u32_e64 s[40:41], 1, v4
	v_and_b32_e32 v4, 1, v10
	v_cmp_eq_u32_e64 s[42:43], 1, v4
	s_or_b64 s[42:43], s[40:41], s[42:43]
	v_cmp_eq_u16_e64 s[40:41], 0, v7
	v_cndmask_b32_e64 v10, 0, 1, s[42:43]
	v_cndmask_b32_e64 v4, 0, 1, s[42:43]
	;; [unrolled: 1-line block ×4, first 2 shown]
	v_lshl_add_u64 v[2:3], v[8:9], 0, v[2:3]
	v_mov_b32_e32 v7, v10
.LBB113_212:
	s_or_b64 exec, exec, s[44:45]
	v_mov_b32_dpp v8, v2 row_shr:4 row_mask:0xf bank_mask:0xf
	v_mov_b32_dpp v9, v3 row_shr:4 row_mask:0xf bank_mask:0xf
	;; [unrolled: 1-line block ×3, first 2 shown]
	v_cmp_lt_u32_e64 s[40:41], 3, v5
	s_and_saveexec_b64 s[44:45], s[40:41]
	s_cbranch_execz .LBB113_214
; %bb.213:
	v_and_b32_e32 v4, 1, v7
	v_cmp_eq_u32_e64 s[40:41], 1, v4
	v_and_b32_e32 v4, 1, v10
	v_cmp_eq_u32_e64 s[42:43], 1, v4
	s_or_b64 s[42:43], s[40:41], s[42:43]
	v_cmp_eq_u16_e64 s[40:41], 0, v7
	v_cndmask_b32_e64 v10, 0, 1, s[42:43]
	v_cndmask_b32_e64 v4, 0, 1, s[42:43]
	;; [unrolled: 1-line block ×4, first 2 shown]
	v_lshl_add_u64 v[2:3], v[8:9], 0, v[2:3]
	v_mov_b32_e32 v7, v10
.LBB113_214:
	s_or_b64 exec, exec, s[44:45]
	v_mov_b32_dpp v8, v2 row_shr:8 row_mask:0xf bank_mask:0xf
	v_mov_b32_dpp v9, v3 row_shr:8 row_mask:0xf bank_mask:0xf
	;; [unrolled: 1-line block ×3, first 2 shown]
	v_cmp_lt_u32_e64 s[40:41], 7, v5
	s_and_saveexec_b64 s[44:45], s[40:41]
	s_cbranch_execz .LBB113_216
; %bb.215:
	v_and_b32_e32 v4, 1, v7
	v_cmp_eq_u32_e64 s[40:41], 1, v4
	v_and_b32_e32 v4, 1, v10
	v_cmp_eq_u32_e64 s[42:43], 1, v4
	s_or_b64 s[42:43], s[40:41], s[42:43]
	v_cmp_eq_u16_e64 s[40:41], 0, v7
	v_cndmask_b32_e64 v10, 0, 1, s[42:43]
	v_mov_b32_e32 v7, v10
	v_cndmask_b32_e64 v5, 0, v9, s[40:41]
	v_cndmask_b32_e64 v4, 0, v8, s[40:41]
	v_lshl_add_u64 v[2:3], v[4:5], 0, v[2:3]
	v_cndmask_b32_e64 v4, 0, 1, s[42:43]
.LBB113_216:
	s_or_b64 exec, exec, s[44:45]
	v_and_b32_e32 v10, 16, v6
	v_mov_b32_dpp v5, v2 row_bcast:15 row_mask:0xf bank_mask:0xf
	v_mov_b32_dpp v8, v3 row_bcast:15 row_mask:0xf bank_mask:0xf
	;; [unrolled: 1-line block ×3, first 2 shown]
	v_cmp_ne_u32_e64 s[40:41], 0, v10
	s_and_saveexec_b64 s[44:45], s[40:41]
	s_cbranch_execz .LBB113_218
; %bb.217:
	v_and_b32_e32 v4, 1, v7
	v_cmp_eq_u32_e64 s[40:41], 1, v4
	v_and_b32_e32 v4, 1, v9
	v_cmp_eq_u32_e64 s[42:43], 1, v4
	s_or_b64 s[42:43], s[40:41], s[42:43]
	v_cmp_eq_u16_e64 s[40:41], 0, v7
	v_cndmask_b32_e64 v10, 0, 1, s[42:43]
	v_cndmask_b32_e64 v4, 0, 1, s[42:43]
	;; [unrolled: 1-line block ×4, first 2 shown]
	v_lshl_add_u64 v[2:3], v[8:9], 0, v[2:3]
	v_mov_b32_e32 v7, v10
.LBB113_218:
	s_or_b64 exec, exec, s[44:45]
	v_mov_b32_dpp v5, v2 row_bcast:31 row_mask:0xf bank_mask:0xf
	v_mov_b32_dpp v8, v3 row_bcast:31 row_mask:0xf bank_mask:0xf
	;; [unrolled: 1-line block ×3, first 2 shown]
	v_cmp_lt_u32_e64 s[40:41], 31, v6
	s_and_saveexec_b64 s[44:45], s[40:41]
; %bb.219:
	v_and_b32_e32 v9, 1, v7
	v_and_b32_e32 v4, 1, v4
	v_cmp_eq_u32_e64 s[40:41], 1, v9
	v_cmp_eq_u32_e64 s[42:43], 1, v4
	s_or_b64 s[40:41], s[40:41], s[42:43]
	v_cndmask_b32_e64 v4, 0, 1, s[40:41]
	v_cmp_eq_u16_e64 s[40:41], 0, v7
	v_mov_b32_e32 v7, v4
	s_nop 0
	v_cndmask_b32_e64 v9, 0, v8, s[40:41]
	v_cndmask_b32_e64 v8, 0, v5, s[40:41]
	v_lshl_add_u64 v[2:3], v[8:9], 0, v[2:3]
; %bb.220:
	s_or_b64 exec, exec, s[44:45]
	v_or_b32_e32 v4, 63, v0
	v_lshrrev_b32_e32 v8, 6, v0
	v_cmp_eq_u32_e64 s[40:41], v4, v0
	s_and_saveexec_b64 s[42:43], s[40:41]
	s_cbranch_execz .LBB113_222
; %bb.221:
	v_lshlrev_b32_e32 v4, 4, v8
	ds_write_b64 v4, v[2:3]
	ds_write_b8 v4, v7 offset:8
.LBB113_222:
	s_or_b64 exec, exec, s[42:43]
	v_cmp_gt_u32_e64 s[40:41], 4, v0
	s_waitcnt lgkmcnt(0)
	s_barrier
	s_and_saveexec_b64 s[44:45], s[40:41]
	s_cbranch_execz .LBB113_228
; %bb.223:
	v_lshlrev_b32_e32 v9, 4, v0
	ds_read_b64 v[4:5], v9
	ds_read_b32 v11, v9 offset:8
	v_and_b32_e32 v12, 3, v6
	v_cmp_ne_u32_e64 s[40:41], 0, v12
	s_waitcnt lgkmcnt(1)
	v_mov_b32_dpp v14, v4 row_shr:1 row_mask:0xf bank_mask:0xf
	v_mov_b32_dpp v15, v5 row_shr:1 row_mask:0xf bank_mask:0xf
	s_waitcnt lgkmcnt(0)
	v_mov_b32_dpp v16, v11 row_shr:1 row_mask:0xf bank_mask:0xf
	v_mov_b32_e32 v10, v11
	v_mov_b32_e32 v13, v11
	s_and_saveexec_b64 s[42:43], s[40:41]
; %bb.224:
	v_or_b32_e32 v13, v16, v11
	v_mov_b32_e32 v16, 0
	v_cmp_eq_u16_sdwa s[40:41], v11, v16 src0_sel:BYTE_0 src1_sel:DWORD
	v_and_b32_e32 v10, 1, v13
	v_and_b32_e32 v13, 1, v13
	v_cndmask_b32_e64 v15, 0, v15, s[40:41]
	v_cndmask_b32_e64 v14, 0, v14, s[40:41]
	s_movk_i32 s40, 0xff00
	v_lshl_add_u64 v[4:5], v[14:15], 0, v[4:5]
	v_and_or_b32 v11, v11, s40, v13
; %bb.225:
	s_or_b64 exec, exec, s[42:43]
	v_mov_b32_dpp v14, v4 row_shr:2 row_mask:0xf bank_mask:0xf
	v_mov_b32_dpp v15, v5 row_shr:2 row_mask:0xf bank_mask:0xf
	;; [unrolled: 1-line block ×3, first 2 shown]
	v_cmp_lt_u32_e64 s[40:41], 1, v12
	s_and_saveexec_b64 s[46:47], s[40:41]
; %bb.226:
	v_and_b32_e32 v10, 1, v13
	v_cmp_eq_u32_e64 s[40:41], 1, v10
	v_and_b32_e32 v10, 1, v11
	v_cmp_eq_u32_e64 s[42:43], 1, v10
	s_or_b64 s[40:41], s[40:41], s[42:43]
	v_mov_b32_e32 v11, 0
	v_cndmask_b32_e64 v10, 0, 1, s[40:41]
	v_cmp_eq_u16_sdwa s[40:41], v13, v11 src0_sel:BYTE_0 src1_sel:DWORD
	s_nop 1
	v_cndmask_b32_e64 v13, 0, v15, s[40:41]
	v_cndmask_b32_e64 v12, 0, v14, s[40:41]
	v_lshl_add_u64 v[4:5], v[12:13], 0, v[4:5]
; %bb.227:
	s_or_b64 exec, exec, s[46:47]
	ds_write_b64 v9, v[4:5]
	ds_write_b8 v9, v10 offset:8
.LBB113_228:
	s_or_b64 exec, exec, s[44:45]
	v_cmp_lt_u32_e64 s[40:41], 63, v0
	v_mov_b64_e32 v[4:5], s[58:59]
	s_waitcnt lgkmcnt(0)
	s_barrier
	s_and_saveexec_b64 s[42:43], s[40:41]
	s_cbranch_execz .LBB113_230
; %bb.229:
	v_lshl_add_u32 v4, v8, 4, -16
	ds_read_u8 v8, v4 offset:8
	ds_read_b64 v[4:5], v4
	v_mov_b32_e32 v9, s59
	s_waitcnt lgkmcnt(1)
	v_cmp_eq_u16_e64 s[40:41], 0, v8
	v_mov_b32_e32 v8, s58
	s_nop 0
	v_cndmask_b32_e64 v9, 0, v9, s[40:41]
	v_cndmask_b32_e64 v8, 0, v8, s[40:41]
	s_waitcnt lgkmcnt(0)
	v_lshl_add_u64 v[4:5], v[8:9], 0, v[4:5]
.LBB113_230:
	s_or_b64 exec, exec, s[42:43]
	v_cmp_eq_u16_e64 s[40:41], 0, v7
	v_add_u32_e32 v7, -1, v6
	s_nop 0
	v_cndmask_b32_e64 v9, 0, v5, s[40:41]
	v_cndmask_b32_e64 v8, 0, v4, s[40:41]
	v_lshl_add_u64 v[2:3], v[8:9], 0, v[2:3]
	v_and_b32_e32 v8, 64, v6
	v_cmp_lt_i32_e64 s[40:41], v7, v8
	s_nop 1
	v_cndmask_b32_e64 v7, v7, v6, s[40:41]
	v_lshlrev_b32_e32 v7, 2, v7
	ds_bpermute_b32 v3, v7, v3
	ds_bpermute_b32 v2, v7, v2
	v_cmp_eq_u32_e64 s[40:41], 0, v6
	s_waitcnt lgkmcnt(1)
	s_nop 0
	v_cndmask_b32_e64 v83, v3, v5, s[40:41]
	s_waitcnt lgkmcnt(0)
	v_cndmask_b32_e64 v82, v2, v4, s[40:41]
	v_mov_b32_e32 v2, s58
	v_cmp_eq_u32_e64 s[40:41], 0, v0
	v_mov_b32_e32 v3, s59
	v_mov_b32_e32 v4, 0
	v_cndmask_b32_e64 v2, v82, v2, s[40:41]
	v_cndmask_b32_e64 v3, v83, v3, s[40:41]
	v_cmp_eq_u16_sdwa s[42:43], v1, v4 src0_sel:BYTE_0 src1_sel:DWORD
	s_nop 1
	v_cndmask_b32_e64 v3, 0, v3, s[42:43]
	v_cndmask_b32_e64 v2, 0, v2, s[42:43]
	v_lshl_add_u64 v[6:7], v[2:3], 0, v[42:43]
	v_cndmask_b32_e32 v3, 0, v7, vcc
	v_cndmask_b32_e32 v2, 0, v6, vcc
	v_lshl_add_u64 v[2:3], v[2:3], 0, v[44:45]
	v_cndmask_b32_e64 v9, 0, v3, s[2:3]
	v_cndmask_b32_e64 v8, 0, v2, s[2:3]
	v_lshl_add_u64 v[84:85], v[8:9], 0, v[46:47]
	v_cndmask_b32_e64 v9, 0, v85, s[4:5]
	v_cndmask_b32_e64 v8, 0, v84, s[4:5]
	;; [unrolled: 3-line block ×18, first 2 shown]
	s_and_saveexec_b64 s[2:3], s[40:41]
	s_cbranch_execz .LBB113_232
; %bb.231:
	ds_read_u8 v1, v4 offset:56
	ds_read_b64 v[10:11], v4 offset:48
	v_mov_b32_e32 v5, s59
	v_mov_b32_e32 v14, s58
	v_mov_b64_e32 v[82:83], s[58:59]
	s_waitcnt lgkmcnt(1)
	v_cmp_eq_u32_e32 vcc, 0, v1
	s_nop 1
	v_cndmask_b32_e32 v15, 0, v5, vcc
	v_cndmask_b32_e32 v14, 0, v14, vcc
	s_waitcnt lgkmcnt(0)
	v_lshl_add_u64 v[10:11], v[14:15], 0, v[10:11]
	global_store_dword v4, v10, s[50:51] offset:1024 sc1
	global_store_dword v4, v11, s[50:51] offset:1028 sc1
	;; [unrolled: 1-line block ×4, first 2 shown]
	v_mov_b32_e32 v1, 2
	s_waitcnt vmcnt(0)
	global_store_byte v4, v1, s[52:53] offset:64 sc1
.LBB113_232:
	s_or_b64 exec, exec, s[2:3]
.LBB113_233:
	s_add_u32 s2, s56, s60
	v_lshl_add_u64 v[10:11], v[102:103], 0, v[40:41]
	s_addc_u32 s3, s57, s61
	s_and_b64 vcc, exec, s[0:1]
	v_lshlrev_b32_e32 v4, 3, v0
	s_cbranch_vccz .LBB113_275
; %bb.234:
	s_movk_i32 s0, 0xa8
	v_mul_i32_i24_e32 v18, 0xffffff60, v0
	v_mul_u32_u24_e32 v1, 0xa8, v0
	v_mad_u32_u24 v5, v0, s0, v18
	s_barrier
	ds_write2_b64 v1, v[82:83], v[6:7] offset1:1
	ds_write2_b64 v1, v[2:3], v[84:85] offset0:2 offset1:3
	ds_write2_b64 v1, v[8:9], v[86:87] offset0:4 offset1:5
	;; [unrolled: 1-line block ×9, first 2 shown]
	ds_write_b64 v1, v[10:11] offset:160
	s_waitcnt lgkmcnt(0)
	s_barrier
	ds_read2st64_b64 v[74:77], v5 offset0:4 offset1:8
	ds_read2st64_b64 v[70:73], v5 offset0:12 offset1:16
	ds_read2st64_b64 v[66:69], v5 offset0:20 offset1:24
	ds_read2st64_b64 v[62:65], v5 offset0:28 offset1:32
	ds_read2st64_b64 v[58:61], v5 offset0:36 offset1:40
	ds_read2st64_b64 v[54:57], v5 offset0:44 offset1:48
	ds_read2st64_b64 v[50:53], v5 offset0:52 offset1:56
	ds_read2st64_b64 v[46:49], v5 offset0:60 offset1:64
	ds_read2st64_b64 v[42:45], v5 offset0:68 offset1:72
	ds_read2st64_b64 v[38:41], v5 offset0:76 offset1:80
	s_add_i32 s33, s33, s54
	v_mov_b32_e32 v5, 0
	v_lshl_add_u64 v[14:15], s[2:3], 0, v[4:5]
	v_cmp_gt_u32_e32 vcc, s33, v0
	s_and_saveexec_b64 s[0:1], vcc
	s_cbranch_execz .LBB113_236
; %bb.235:
	v_add_u32_e32 v1, v1, v18
	ds_read_b64 v[18:19], v1
	s_waitcnt lgkmcnt(0)
	global_store_dwordx2 v[14:15], v[18:19], off
.LBB113_236:
	s_or_b64 exec, exec, s[0:1]
	v_or_b32_e32 v1, 0x100, v0
	v_cmp_gt_u32_e32 vcc, s33, v1
	s_and_saveexec_b64 s[0:1], vcc
	s_cbranch_execz .LBB113_238
; %bb.237:
	s_waitcnt lgkmcnt(9)
	global_store_dwordx2 v[14:15], v[74:75], off offset:2048
.LBB113_238:
	s_or_b64 exec, exec, s[0:1]
	v_or_b32_e32 v1, 0x200, v0
	v_cmp_gt_u32_e32 vcc, s33, v1
	s_and_saveexec_b64 s[0:1], vcc
	s_cbranch_execz .LBB113_240
; %bb.239:
	v_add_co_u32_e32 v18, vcc, 0x1000, v14
	s_nop 1
	v_addc_co_u32_e32 v19, vcc, 0, v15, vcc
	s_waitcnt lgkmcnt(9)
	global_store_dwordx2 v[18:19], v[76:77], off
.LBB113_240:
	s_or_b64 exec, exec, s[0:1]
	v_or_b32_e32 v1, 0x300, v0
	v_cmp_gt_u32_e32 vcc, s33, v1
	s_and_saveexec_b64 s[0:1], vcc
	s_cbranch_execz .LBB113_242
; %bb.241:
	v_add_co_u32_e32 v18, vcc, 0x1000, v14
	s_nop 1
	v_addc_co_u32_e32 v19, vcc, 0, v15, vcc
	s_waitcnt lgkmcnt(8)
	global_store_dwordx2 v[18:19], v[70:71], off offset:2048
.LBB113_242:
	s_or_b64 exec, exec, s[0:1]
	v_or_b32_e32 v1, 0x400, v0
	v_cmp_gt_u32_e32 vcc, s33, v1
	s_and_saveexec_b64 s[0:1], vcc
	s_cbranch_execz .LBB113_244
; %bb.243:
	v_add_co_u32_e32 v18, vcc, 0x2000, v14
	s_nop 1
	v_addc_co_u32_e32 v19, vcc, 0, v15, vcc
	s_waitcnt lgkmcnt(8)
	global_store_dwordx2 v[18:19], v[72:73], off
.LBB113_244:
	s_or_b64 exec, exec, s[0:1]
	v_or_b32_e32 v1, 0x500, v0
	v_cmp_gt_u32_e32 vcc, s33, v1
	s_and_saveexec_b64 s[0:1], vcc
	s_cbranch_execz .LBB113_246
; %bb.245:
	v_add_co_u32_e32 v18, vcc, 0x2000, v14
	s_nop 1
	v_addc_co_u32_e32 v19, vcc, 0, v15, vcc
	s_waitcnt lgkmcnt(7)
	global_store_dwordx2 v[18:19], v[66:67], off offset:2048
.LBB113_246:
	;; [unrolled: 24-line block ×9, first 2 shown]
	s_or_b64 exec, exec, s[0:1]
	v_mov_b32_e32 v1, v5
	v_or_b32_e32 v5, 0x1400, v0
	v_cmp_gt_u32_e64 s[0:1], s33, v5
	s_branch .LBB113_277
.LBB113_275:
	s_mov_b64 s[0:1], 0
                                        ; implicit-def: $vgpr40_vgpr41
	s_cbranch_execz .LBB113_277
; %bb.276:
	v_mul_u32_u24_e32 v1, 0xa8, v0
	s_waitcnt lgkmcnt(0)
	s_barrier
	s_movk_i32 s4, 0xa8
	ds_write2_b64 v1, v[82:83], v[6:7] offset1:1
	ds_write2_b64 v1, v[2:3], v[84:85] offset0:2 offset1:3
	ds_write2_b64 v1, v[8:9], v[86:87] offset0:4 offset1:5
	;; [unrolled: 1-line block ×9, first 2 shown]
	ds_write_b64 v1, v[10:11] offset:160
	v_mov_b32_e32 v1, 0
	v_mul_i32_i24_e32 v2, 0xffffff60, v0
	v_mad_u32_u24 v2, v0, s4, v2
	v_mov_b32_e32 v5, v1
	s_waitcnt lgkmcnt(0)
	s_barrier
	ds_read2st64_b64 v[6:9], v2 offset1:4
	ds_read2st64_b64 v[10:13], v2 offset0:8 offset1:12
	ds_read2st64_b64 v[14:17], v2 offset0:16 offset1:20
	;; [unrolled: 1-line block ×9, first 2 shown]
	ds_read_b64 v[40:41], v2 offset:40960
	v_lshl_add_u64 v[2:3], s[2:3], 0, v[4:5]
	s_movk_i32 s4, 0x1000
	s_waitcnt lgkmcnt(10)
	global_store_dwordx2 v4, v[6:7], s[2:3]
	global_store_dwordx2 v4, v[8:9], s[2:3] offset:2048
	v_add_co_u32_e32 v4, vcc, s4, v2
	s_movk_i32 s4, 0x2000
	s_nop 0
	v_addc_co_u32_e32 v5, vcc, 0, v3, vcc
	v_add_co_u32_e32 v6, vcc, s4, v2
	s_movk_i32 s4, 0x3000
	s_nop 0
	v_addc_co_u32_e32 v7, vcc, 0, v3, vcc
	s_waitcnt lgkmcnt(9)
	global_store_dwordx2 v[6:7], v[10:11], off offset:-4096
	global_store_dwordx2 v[4:5], v[12:13], off offset:2048
	s_waitcnt lgkmcnt(8)
	global_store_dwordx2 v[6:7], v[14:15], off
	global_store_dwordx2 v[6:7], v[16:17], off offset:2048
	v_add_co_u32_e32 v4, vcc, s4, v2
	s_movk_i32 s4, 0x4000
	s_nop 0
	v_addc_co_u32_e32 v5, vcc, 0, v3, vcc
	v_add_co_u32_e32 v6, vcc, s4, v2
	s_movk_i32 s4, 0x5000
	s_nop 0
	v_addc_co_u32_e32 v7, vcc, 0, v3, vcc
	s_waitcnt lgkmcnt(7)
	global_store_dwordx2 v[6:7], v[18:19], off offset:-4096
	global_store_dwordx2 v[4:5], v[20:21], off offset:2048
	s_waitcnt lgkmcnt(6)
	global_store_dwordx2 v[6:7], v[22:23], off
	global_store_dwordx2 v[6:7], v[24:25], off offset:2048
	v_add_co_u32_e32 v4, vcc, s4, v2
	s_movk_i32 s4, 0x6000
	s_nop 0
	v_addc_co_u32_e32 v5, vcc, 0, v3, vcc
	v_add_co_u32_e32 v6, vcc, s4, v2
	s_movk_i32 s4, 0x7000
	s_nop 0
	v_addc_co_u32_e32 v7, vcc, 0, v3, vcc
	s_waitcnt lgkmcnt(5)
	global_store_dwordx2 v[6:7], v[26:27], off offset:-4096
	global_store_dwordx2 v[4:5], v[28:29], off offset:2048
	s_waitcnt lgkmcnt(4)
	global_store_dwordx2 v[6:7], v[30:31], off
	global_store_dwordx2 v[6:7], v[32:33], off offset:2048
	v_add_co_u32_e32 v4, vcc, s4, v2
	s_or_b64 s[0:1], s[0:1], exec
	s_nop 0
	v_addc_co_u32_e32 v5, vcc, 0, v3, vcc
	s_waitcnt lgkmcnt(3)
	global_store_dwordx2 v[4:5], v[34:35], off
	global_store_dwordx2 v[4:5], v[36:37], off offset:2048
	v_add_co_u32_e32 v4, vcc, 0x8000, v2
	s_nop 1
	v_addc_co_u32_e32 v5, vcc, 0, v3, vcc
	v_add_co_u32_e32 v2, vcc, 0x9000, v2
	s_waitcnt lgkmcnt(2)
	global_store_dwordx2 v[4:5], v[42:43], off
	global_store_dwordx2 v[4:5], v[44:45], off offset:2048
	v_addc_co_u32_e32 v3, vcc, 0, v3, vcc
	s_waitcnt lgkmcnt(1)
	global_store_dwordx2 v[2:3], v[46:47], off
	global_store_dwordx2 v[2:3], v[48:49], off offset:2048
.LBB113_277:
	s_and_saveexec_b64 s[4:5], s[0:1]
	s_cbranch_execz .LBB113_279
; %bb.278:
	v_lshl_add_u64 v[0:1], v[0:1], 3, s[2:3]
	v_add_co_u32_e32 v0, vcc, 0xa000, v0
	s_nop 1
	v_addc_co_u32_e32 v1, vcc, 0, v1, vcc
	s_waitcnt lgkmcnt(0)
	global_store_dwordx2 v[0:1], v[40:41], off
	s_endpgm
.LBB113_279:
	s_endpgm
	.section	.rodata,"a",@progbits
	.p2align	6, 0x0
	.amdhsa_kernel _ZN7rocprim6detail25device_scan_by_key_kernelILNS0_25lookback_scan_determinismE0ELb1ENS0_26wrapped_scan_by_key_configINS_14default_configEiyEEPiN6hipcub22TransformInputIteratorIyNS7_6CastOpIyEEPylEESB_yNS7_8EqualityENS7_3SumENS0_19lookback_scan_stateINS_5tupleIJybEEELb0ELb0EEEyEEvT2_T3_T4_T5_T6_T7_T8_mmmPKNSG_IJT9_bEEE
		.amdhsa_group_segment_fixed_size 43008
		.amdhsa_private_segment_fixed_size 0
		.amdhsa_kernarg_size 104
		.amdhsa_user_sgpr_count 2
		.amdhsa_user_sgpr_dispatch_ptr 0
		.amdhsa_user_sgpr_queue_ptr 0
		.amdhsa_user_sgpr_kernarg_segment_ptr 1
		.amdhsa_user_sgpr_dispatch_id 0
		.amdhsa_user_sgpr_kernarg_preload_length 0
		.amdhsa_user_sgpr_kernarg_preload_offset 0
		.amdhsa_user_sgpr_private_segment_size 0
		.amdhsa_uses_dynamic_stack 0
		.amdhsa_enable_private_segment 0
		.amdhsa_system_sgpr_workgroup_id_x 1
		.amdhsa_system_sgpr_workgroup_id_y 0
		.amdhsa_system_sgpr_workgroup_id_z 0
		.amdhsa_system_sgpr_workgroup_info 0
		.amdhsa_system_vgpr_workitem_id 0
		.amdhsa_next_free_vgpr 126
		.amdhsa_next_free_sgpr 74
		.amdhsa_accum_offset 128
		.amdhsa_reserve_vcc 1
		.amdhsa_float_round_mode_32 0
		.amdhsa_float_round_mode_16_64 0
		.amdhsa_float_denorm_mode_32 3
		.amdhsa_float_denorm_mode_16_64 3
		.amdhsa_dx10_clamp 1
		.amdhsa_ieee_mode 1
		.amdhsa_fp16_overflow 0
		.amdhsa_tg_split 0
		.amdhsa_exception_fp_ieee_invalid_op 0
		.amdhsa_exception_fp_denorm_src 0
		.amdhsa_exception_fp_ieee_div_zero 0
		.amdhsa_exception_fp_ieee_overflow 0
		.amdhsa_exception_fp_ieee_underflow 0
		.amdhsa_exception_fp_ieee_inexact 0
		.amdhsa_exception_int_div_zero 0
	.end_amdhsa_kernel
	.section	.text._ZN7rocprim6detail25device_scan_by_key_kernelILNS0_25lookback_scan_determinismE0ELb1ENS0_26wrapped_scan_by_key_configINS_14default_configEiyEEPiN6hipcub22TransformInputIteratorIyNS7_6CastOpIyEEPylEESB_yNS7_8EqualityENS7_3SumENS0_19lookback_scan_stateINS_5tupleIJybEEELb0ELb0EEEyEEvT2_T3_T4_T5_T6_T7_T8_mmmPKNSG_IJT9_bEEE,"axG",@progbits,_ZN7rocprim6detail25device_scan_by_key_kernelILNS0_25lookback_scan_determinismE0ELb1ENS0_26wrapped_scan_by_key_configINS_14default_configEiyEEPiN6hipcub22TransformInputIteratorIyNS7_6CastOpIyEEPylEESB_yNS7_8EqualityENS7_3SumENS0_19lookback_scan_stateINS_5tupleIJybEEELb0ELb0EEEyEEvT2_T3_T4_T5_T6_T7_T8_mmmPKNSG_IJT9_bEEE,comdat
.Lfunc_end113:
	.size	_ZN7rocprim6detail25device_scan_by_key_kernelILNS0_25lookback_scan_determinismE0ELb1ENS0_26wrapped_scan_by_key_configINS_14default_configEiyEEPiN6hipcub22TransformInputIteratorIyNS7_6CastOpIyEEPylEESB_yNS7_8EqualityENS7_3SumENS0_19lookback_scan_stateINS_5tupleIJybEEELb0ELb0EEEyEEvT2_T3_T4_T5_T6_T7_T8_mmmPKNSG_IJT9_bEEE, .Lfunc_end113-_ZN7rocprim6detail25device_scan_by_key_kernelILNS0_25lookback_scan_determinismE0ELb1ENS0_26wrapped_scan_by_key_configINS_14default_configEiyEEPiN6hipcub22TransformInputIteratorIyNS7_6CastOpIyEEPylEESB_yNS7_8EqualityENS7_3SumENS0_19lookback_scan_stateINS_5tupleIJybEEELb0ELb0EEEyEEvT2_T3_T4_T5_T6_T7_T8_mmmPKNSG_IJT9_bEEE
                                        ; -- End function
	.section	.AMDGPU.csdata,"",@progbits
; Kernel info:
; codeLenInByte = 17064
; NumSgprs: 80
; NumVgprs: 126
; NumAgprs: 0
; TotalNumVgprs: 126
; ScratchSize: 0
; MemoryBound: 0
; FloatMode: 240
; IeeeMode: 1
; LDSByteSize: 43008 bytes/workgroup (compile time only)
; SGPRBlocks: 9
; VGPRBlocks: 15
; NumSGPRsForWavesPerEU: 80
; NumVGPRsForWavesPerEU: 126
; AccumOffset: 128
; Occupancy: 1
; WaveLimiterHint : 1
; COMPUTE_PGM_RSRC2:SCRATCH_EN: 0
; COMPUTE_PGM_RSRC2:USER_SGPR: 2
; COMPUTE_PGM_RSRC2:TRAP_HANDLER: 0
; COMPUTE_PGM_RSRC2:TGID_X_EN: 1
; COMPUTE_PGM_RSRC2:TGID_Y_EN: 0
; COMPUTE_PGM_RSRC2:TGID_Z_EN: 0
; COMPUTE_PGM_RSRC2:TIDIG_COMP_CNT: 0
; COMPUTE_PGM_RSRC3_GFX90A:ACCUM_OFFSET: 31
; COMPUTE_PGM_RSRC3_GFX90A:TG_SPLIT: 0
	.section	.text._ZN7rocprim6detail25device_scan_by_key_kernelILNS0_25lookback_scan_determinismE0ELb1ENS0_26wrapped_scan_by_key_configINS_14default_configEiyEEPiN6hipcub22TransformInputIteratorIyNS7_6CastOpIyEEPylEESB_yNS7_8EqualityENS7_3MinENS0_19lookback_scan_stateINS_5tupleIJybEEELb1ELb0EEEyEEvT2_T3_T4_T5_T6_T7_T8_mmmPKNSG_IJT9_bEEE,"axG",@progbits,_ZN7rocprim6detail25device_scan_by_key_kernelILNS0_25lookback_scan_determinismE0ELb1ENS0_26wrapped_scan_by_key_configINS_14default_configEiyEEPiN6hipcub22TransformInputIteratorIyNS7_6CastOpIyEEPylEESB_yNS7_8EqualityENS7_3MinENS0_19lookback_scan_stateINS_5tupleIJybEEELb1ELb0EEEyEEvT2_T3_T4_T5_T6_T7_T8_mmmPKNSG_IJT9_bEEE,comdat
	.protected	_ZN7rocprim6detail25device_scan_by_key_kernelILNS0_25lookback_scan_determinismE0ELb1ENS0_26wrapped_scan_by_key_configINS_14default_configEiyEEPiN6hipcub22TransformInputIteratorIyNS7_6CastOpIyEEPylEESB_yNS7_8EqualityENS7_3MinENS0_19lookback_scan_stateINS_5tupleIJybEEELb1ELb0EEEyEEvT2_T3_T4_T5_T6_T7_T8_mmmPKNSG_IJT9_bEEE ; -- Begin function _ZN7rocprim6detail25device_scan_by_key_kernelILNS0_25lookback_scan_determinismE0ELb1ENS0_26wrapped_scan_by_key_configINS_14default_configEiyEEPiN6hipcub22TransformInputIteratorIyNS7_6CastOpIyEEPylEESB_yNS7_8EqualityENS7_3MinENS0_19lookback_scan_stateINS_5tupleIJybEEELb1ELb0EEEyEEvT2_T3_T4_T5_T6_T7_T8_mmmPKNSG_IJT9_bEEE
	.globl	_ZN7rocprim6detail25device_scan_by_key_kernelILNS0_25lookback_scan_determinismE0ELb1ENS0_26wrapped_scan_by_key_configINS_14default_configEiyEEPiN6hipcub22TransformInputIteratorIyNS7_6CastOpIyEEPylEESB_yNS7_8EqualityENS7_3MinENS0_19lookback_scan_stateINS_5tupleIJybEEELb1ELb0EEEyEEvT2_T3_T4_T5_T6_T7_T8_mmmPKNSG_IJT9_bEEE
	.p2align	8
	.type	_ZN7rocprim6detail25device_scan_by_key_kernelILNS0_25lookback_scan_determinismE0ELb1ENS0_26wrapped_scan_by_key_configINS_14default_configEiyEEPiN6hipcub22TransformInputIteratorIyNS7_6CastOpIyEEPylEESB_yNS7_8EqualityENS7_3MinENS0_19lookback_scan_stateINS_5tupleIJybEEELb1ELb0EEEyEEvT2_T3_T4_T5_T6_T7_T8_mmmPKNSG_IJT9_bEEE,@function
_ZN7rocprim6detail25device_scan_by_key_kernelILNS0_25lookback_scan_determinismE0ELb1ENS0_26wrapped_scan_by_key_configINS_14default_configEiyEEPiN6hipcub22TransformInputIteratorIyNS7_6CastOpIyEEPylEESB_yNS7_8EqualityENS7_3MinENS0_19lookback_scan_stateINS_5tupleIJybEEELb1ELb0EEEyEEvT2_T3_T4_T5_T6_T7_T8_mmmPKNSG_IJT9_bEEE: ; @_ZN7rocprim6detail25device_scan_by_key_kernelILNS0_25lookback_scan_determinismE0ELb1ENS0_26wrapped_scan_by_key_configINS_14default_configEiyEEPiN6hipcub22TransformInputIteratorIyNS7_6CastOpIyEEPylEESB_yNS7_8EqualityENS7_3MinENS0_19lookback_scan_stateINS_5tupleIJybEEELb1ELb0EEEyEEvT2_T3_T4_T5_T6_T7_T8_mmmPKNSG_IJT9_bEEE
; %bb.0:
	s_endpgm
	.section	.rodata,"a",@progbits
	.p2align	6, 0x0
	.amdhsa_kernel _ZN7rocprim6detail25device_scan_by_key_kernelILNS0_25lookback_scan_determinismE0ELb1ENS0_26wrapped_scan_by_key_configINS_14default_configEiyEEPiN6hipcub22TransformInputIteratorIyNS7_6CastOpIyEEPylEESB_yNS7_8EqualityENS7_3MinENS0_19lookback_scan_stateINS_5tupleIJybEEELb1ELb0EEEyEEvT2_T3_T4_T5_T6_T7_T8_mmmPKNSG_IJT9_bEEE
		.amdhsa_group_segment_fixed_size 0
		.amdhsa_private_segment_fixed_size 0
		.amdhsa_kernarg_size 104
		.amdhsa_user_sgpr_count 2
		.amdhsa_user_sgpr_dispatch_ptr 0
		.amdhsa_user_sgpr_queue_ptr 0
		.amdhsa_user_sgpr_kernarg_segment_ptr 1
		.amdhsa_user_sgpr_dispatch_id 0
		.amdhsa_user_sgpr_kernarg_preload_length 0
		.amdhsa_user_sgpr_kernarg_preload_offset 0
		.amdhsa_user_sgpr_private_segment_size 0
		.amdhsa_uses_dynamic_stack 0
		.amdhsa_enable_private_segment 0
		.amdhsa_system_sgpr_workgroup_id_x 1
		.amdhsa_system_sgpr_workgroup_id_y 0
		.amdhsa_system_sgpr_workgroup_id_z 0
		.amdhsa_system_sgpr_workgroup_info 0
		.amdhsa_system_vgpr_workitem_id 0
		.amdhsa_next_free_vgpr 1
		.amdhsa_next_free_sgpr 0
		.amdhsa_accum_offset 4
		.amdhsa_reserve_vcc 0
		.amdhsa_float_round_mode_32 0
		.amdhsa_float_round_mode_16_64 0
		.amdhsa_float_denorm_mode_32 3
		.amdhsa_float_denorm_mode_16_64 3
		.amdhsa_dx10_clamp 1
		.amdhsa_ieee_mode 1
		.amdhsa_fp16_overflow 0
		.amdhsa_tg_split 0
		.amdhsa_exception_fp_ieee_invalid_op 0
		.amdhsa_exception_fp_denorm_src 0
		.amdhsa_exception_fp_ieee_div_zero 0
		.amdhsa_exception_fp_ieee_overflow 0
		.amdhsa_exception_fp_ieee_underflow 0
		.amdhsa_exception_fp_ieee_inexact 0
		.amdhsa_exception_int_div_zero 0
	.end_amdhsa_kernel
	.section	.text._ZN7rocprim6detail25device_scan_by_key_kernelILNS0_25lookback_scan_determinismE0ELb1ENS0_26wrapped_scan_by_key_configINS_14default_configEiyEEPiN6hipcub22TransformInputIteratorIyNS7_6CastOpIyEEPylEESB_yNS7_8EqualityENS7_3MinENS0_19lookback_scan_stateINS_5tupleIJybEEELb1ELb0EEEyEEvT2_T3_T4_T5_T6_T7_T8_mmmPKNSG_IJT9_bEEE,"axG",@progbits,_ZN7rocprim6detail25device_scan_by_key_kernelILNS0_25lookback_scan_determinismE0ELb1ENS0_26wrapped_scan_by_key_configINS_14default_configEiyEEPiN6hipcub22TransformInputIteratorIyNS7_6CastOpIyEEPylEESB_yNS7_8EqualityENS7_3MinENS0_19lookback_scan_stateINS_5tupleIJybEEELb1ELb0EEEyEEvT2_T3_T4_T5_T6_T7_T8_mmmPKNSG_IJT9_bEEE,comdat
.Lfunc_end114:
	.size	_ZN7rocprim6detail25device_scan_by_key_kernelILNS0_25lookback_scan_determinismE0ELb1ENS0_26wrapped_scan_by_key_configINS_14default_configEiyEEPiN6hipcub22TransformInputIteratorIyNS7_6CastOpIyEEPylEESB_yNS7_8EqualityENS7_3MinENS0_19lookback_scan_stateINS_5tupleIJybEEELb1ELb0EEEyEEvT2_T3_T4_T5_T6_T7_T8_mmmPKNSG_IJT9_bEEE, .Lfunc_end114-_ZN7rocprim6detail25device_scan_by_key_kernelILNS0_25lookback_scan_determinismE0ELb1ENS0_26wrapped_scan_by_key_configINS_14default_configEiyEEPiN6hipcub22TransformInputIteratorIyNS7_6CastOpIyEEPylEESB_yNS7_8EqualityENS7_3MinENS0_19lookback_scan_stateINS_5tupleIJybEEELb1ELb0EEEyEEvT2_T3_T4_T5_T6_T7_T8_mmmPKNSG_IJT9_bEEE
                                        ; -- End function
	.section	.AMDGPU.csdata,"",@progbits
; Kernel info:
; codeLenInByte = 4
; NumSgprs: 6
; NumVgprs: 0
; NumAgprs: 0
; TotalNumVgprs: 0
; ScratchSize: 0
; MemoryBound: 0
; FloatMode: 240
; IeeeMode: 1
; LDSByteSize: 0 bytes/workgroup (compile time only)
; SGPRBlocks: 0
; VGPRBlocks: 0
; NumSGPRsForWavesPerEU: 6
; NumVGPRsForWavesPerEU: 1
; AccumOffset: 4
; Occupancy: 8
; WaveLimiterHint : 0
; COMPUTE_PGM_RSRC2:SCRATCH_EN: 0
; COMPUTE_PGM_RSRC2:USER_SGPR: 2
; COMPUTE_PGM_RSRC2:TRAP_HANDLER: 0
; COMPUTE_PGM_RSRC2:TGID_X_EN: 1
; COMPUTE_PGM_RSRC2:TGID_Y_EN: 0
; COMPUTE_PGM_RSRC2:TGID_Z_EN: 0
; COMPUTE_PGM_RSRC2:TIDIG_COMP_CNT: 0
; COMPUTE_PGM_RSRC3_GFX90A:ACCUM_OFFSET: 0
; COMPUTE_PGM_RSRC3_GFX90A:TG_SPLIT: 0
	.section	.text._ZN7rocprim6detail25device_scan_by_key_kernelILNS0_25lookback_scan_determinismE0ELb1ENS0_26wrapped_scan_by_key_configINS_14default_configEiyEEPiN6hipcub22TransformInputIteratorIyNS7_6CastOpIyEEPylEESB_yNS7_8EqualityENS7_3MinENS0_19lookback_scan_stateINS_5tupleIJybEEELb0ELb0EEEyEEvT2_T3_T4_T5_T6_T7_T8_mmmPKNSG_IJT9_bEEE,"axG",@progbits,_ZN7rocprim6detail25device_scan_by_key_kernelILNS0_25lookback_scan_determinismE0ELb1ENS0_26wrapped_scan_by_key_configINS_14default_configEiyEEPiN6hipcub22TransformInputIteratorIyNS7_6CastOpIyEEPylEESB_yNS7_8EqualityENS7_3MinENS0_19lookback_scan_stateINS_5tupleIJybEEELb0ELb0EEEyEEvT2_T3_T4_T5_T6_T7_T8_mmmPKNSG_IJT9_bEEE,comdat
	.protected	_ZN7rocprim6detail25device_scan_by_key_kernelILNS0_25lookback_scan_determinismE0ELb1ENS0_26wrapped_scan_by_key_configINS_14default_configEiyEEPiN6hipcub22TransformInputIteratorIyNS7_6CastOpIyEEPylEESB_yNS7_8EqualityENS7_3MinENS0_19lookback_scan_stateINS_5tupleIJybEEELb0ELb0EEEyEEvT2_T3_T4_T5_T6_T7_T8_mmmPKNSG_IJT9_bEEE ; -- Begin function _ZN7rocprim6detail25device_scan_by_key_kernelILNS0_25lookback_scan_determinismE0ELb1ENS0_26wrapped_scan_by_key_configINS_14default_configEiyEEPiN6hipcub22TransformInputIteratorIyNS7_6CastOpIyEEPylEESB_yNS7_8EqualityENS7_3MinENS0_19lookback_scan_stateINS_5tupleIJybEEELb0ELb0EEEyEEvT2_T3_T4_T5_T6_T7_T8_mmmPKNSG_IJT9_bEEE
	.globl	_ZN7rocprim6detail25device_scan_by_key_kernelILNS0_25lookback_scan_determinismE0ELb1ENS0_26wrapped_scan_by_key_configINS_14default_configEiyEEPiN6hipcub22TransformInputIteratorIyNS7_6CastOpIyEEPylEESB_yNS7_8EqualityENS7_3MinENS0_19lookback_scan_stateINS_5tupleIJybEEELb0ELb0EEEyEEvT2_T3_T4_T5_T6_T7_T8_mmmPKNSG_IJT9_bEEE
	.p2align	8
	.type	_ZN7rocprim6detail25device_scan_by_key_kernelILNS0_25lookback_scan_determinismE0ELb1ENS0_26wrapped_scan_by_key_configINS_14default_configEiyEEPiN6hipcub22TransformInputIteratorIyNS7_6CastOpIyEEPylEESB_yNS7_8EqualityENS7_3MinENS0_19lookback_scan_stateINS_5tupleIJybEEELb0ELb0EEEyEEvT2_T3_T4_T5_T6_T7_T8_mmmPKNSG_IJT9_bEEE,@function
_ZN7rocprim6detail25device_scan_by_key_kernelILNS0_25lookback_scan_determinismE0ELb1ENS0_26wrapped_scan_by_key_configINS_14default_configEiyEEPiN6hipcub22TransformInputIteratorIyNS7_6CastOpIyEEPylEESB_yNS7_8EqualityENS7_3MinENS0_19lookback_scan_stateINS_5tupleIJybEEELb0ELb0EEEyEEvT2_T3_T4_T5_T6_T7_T8_mmmPKNSG_IJT9_bEEE: ; @_ZN7rocprim6detail25device_scan_by_key_kernelILNS0_25lookback_scan_determinismE0ELb1ENS0_26wrapped_scan_by_key_configINS_14default_configEiyEEPiN6hipcub22TransformInputIteratorIyNS7_6CastOpIyEEPylEESB_yNS7_8EqualityENS7_3MinENS0_19lookback_scan_stateINS_5tupleIJybEEELb0ELb0EEEyEEvT2_T3_T4_T5_T6_T7_T8_mmmPKNSG_IJT9_bEEE
; %bb.0:
	s_load_dwordx4 s[4:7], s[0:1], 0x0
	s_load_dwordx4 s[56:59], s[0:1], 0x18
	s_load_dwordx8 s[48:55], s[0:1], 0x30
	s_load_dwordx2 s[62:63], s[0:1], 0x60
	s_load_dwordx4 s[8:11], s[0:1], 0x50
	s_mul_i32 s0, s2, 0x1500
	s_mov_b32 s1, 0
	s_lshl_b64 s[12:13], s[0:1], 2
	s_waitcnt lgkmcnt(0)
	s_add_u32 s66, s4, s12
	s_addc_u32 s67, s5, s13
	s_lshl_b64 s[60:61], s[0:1], 3
	s_add_u32 s64, s6, s60
	s_addc_u32 s65, s7, s61
	s_add_u32 s0, s2, s8
	s_addc_u32 s1, 0, s9
	s_add_u32 s6, s10, -1
	s_addc_u32 s7, s11, -1
	v_mov_b64_e32 v[2:3], s[6:7]
	v_cmp_ge_u64_e64 s[0:1], s[0:1], v[2:3]
	s_mov_b64 s[4:5], -1
	s_and_b64 vcc, exec, s[0:1]
	s_mul_i32 s33, s6, 0xffffeb00
	v_lshlrev_b32_e32 v6, 2, v0
	s_cbranch_vccz .LBB115_65
; %bb.1:
	s_load_dword s3, s[66:67], 0x0
	s_add_i32 s55, s33, s54
	v_mov_b32_e32 v7, 0
	v_lshl_add_u64 v[2:3], s[66:67], 0, v[6:7]
	v_cmp_gt_u32_e64 s[46:47], s55, v0
	s_waitcnt lgkmcnt(0)
	v_mov_b32_e32 v1, s3
	s_and_saveexec_b64 s[4:5], s[46:47]
	s_cbranch_execz .LBB115_3
; %bb.2:
	global_load_dword v1, v[2:3], off
.LBB115_3:
	s_or_b64 exec, exec, s[4:5]
	v_or_b32_e32 v4, 0x100, v0
	v_cmp_gt_u32_e64 s[6:7], s55, v4
	v_mov_b32_e32 v4, s3
	s_and_saveexec_b64 s[4:5], s[6:7]
	s_cbranch_execz .LBB115_5
; %bb.4:
	global_load_dword v4, v[2:3], off offset:1024
.LBB115_5:
	s_or_b64 exec, exec, s[4:5]
	v_or_b32_e32 v5, 0x200, v0
	v_cmp_gt_u32_e64 s[12:13], s55, v5
	v_mov_b32_e32 v5, s3
	s_and_saveexec_b64 s[4:5], s[12:13]
	s_cbranch_execz .LBB115_7
; %bb.6:
	global_load_dword v5, v[2:3], off offset:2048
.LBB115_7:
	;; [unrolled: 9-line block ×3, first 2 shown]
	s_or_b64 exec, exec, s[4:5]
	v_or_b32_e32 v8, 0x400, v0
	v_cmp_gt_u32_e64 s[4:5], s55, v8
	v_mov_b32_e32 v8, s3
	s_and_saveexec_b64 s[10:11], s[4:5]
	s_cbranch_execz .LBB115_11
; %bb.10:
	v_add_co_u32_e32 v8, vcc, 0x1000, v2
	s_nop 1
	v_addc_co_u32_e32 v9, vcc, 0, v3, vcc
	global_load_dword v8, v[8:9], off
.LBB115_11:
	s_or_b64 exec, exec, s[10:11]
	v_or_b32_e32 v9, 0x500, v0
	v_cmp_gt_u32_e64 s[10:11], s55, v9
	v_mov_b32_e32 v9, s3
	s_and_saveexec_b64 s[14:15], s[10:11]
	s_cbranch_execz .LBB115_13
; %bb.12:
	v_add_co_u32_e32 v10, vcc, 0x1000, v2
	s_nop 1
	v_addc_co_u32_e32 v11, vcc, 0, v3, vcc
	global_load_dword v9, v[10:11], off offset:1024
.LBB115_13:
	s_or_b64 exec, exec, s[14:15]
	v_or_b32_e32 v10, 0x600, v0
	v_cmp_gt_u32_e64 s[14:15], s55, v10
	v_mov_b32_e32 v10, s3
	s_and_saveexec_b64 s[16:17], s[14:15]
	s_cbranch_execz .LBB115_15
; %bb.14:
	v_add_co_u32_e32 v10, vcc, 0x1000, v2
	s_nop 1
	v_addc_co_u32_e32 v11, vcc, 0, v3, vcc
	global_load_dword v10, v[10:11], off offset:2048
.LBB115_15:
	s_or_b64 exec, exec, s[16:17]
	v_or_b32_e32 v11, 0x700, v0
	v_cmp_gt_u32_e64 s[16:17], s55, v11
	v_mov_b32_e32 v11, s3
	s_and_saveexec_b64 s[18:19], s[16:17]
	s_cbranch_execz .LBB115_17
; %bb.16:
	v_add_co_u32_e32 v12, vcc, 0x1000, v2
	s_nop 1
	v_addc_co_u32_e32 v13, vcc, 0, v3, vcc
	global_load_dword v11, v[12:13], off offset:3072
.LBB115_17:
	s_or_b64 exec, exec, s[18:19]
	v_or_b32_e32 v12, 0x800, v0
	v_cmp_gt_u32_e64 s[18:19], s55, v12
	v_mov_b32_e32 v12, s3
	s_and_saveexec_b64 s[20:21], s[18:19]
	s_cbranch_execz .LBB115_19
; %bb.18:
	v_add_co_u32_e32 v12, vcc, 0x2000, v2
	s_nop 1
	v_addc_co_u32_e32 v13, vcc, 0, v3, vcc
	global_load_dword v12, v[12:13], off
.LBB115_19:
	s_or_b64 exec, exec, s[20:21]
	v_or_b32_e32 v13, 0x900, v0
	v_cmp_gt_u32_e64 s[20:21], s55, v13
	v_mov_b32_e32 v13, s3
	s_and_saveexec_b64 s[22:23], s[20:21]
	s_cbranch_execz .LBB115_21
; %bb.20:
	v_add_co_u32_e32 v14, vcc, 0x2000, v2
	s_nop 1
	v_addc_co_u32_e32 v15, vcc, 0, v3, vcc
	global_load_dword v13, v[14:15], off offset:1024
.LBB115_21:
	s_or_b64 exec, exec, s[22:23]
	v_or_b32_e32 v14, 0xa00, v0
	v_cmp_gt_u32_e64 s[22:23], s55, v14
	v_mov_b32_e32 v14, s3
	s_and_saveexec_b64 s[24:25], s[22:23]
	s_cbranch_execz .LBB115_23
; %bb.22:
	v_add_co_u32_e32 v14, vcc, 0x2000, v2
	s_nop 1
	v_addc_co_u32_e32 v15, vcc, 0, v3, vcc
	global_load_dword v14, v[14:15], off offset:2048
.LBB115_23:
	s_or_b64 exec, exec, s[24:25]
	v_or_b32_e32 v15, 0xb00, v0
	v_cmp_gt_u32_e64 s[24:25], s55, v15
	v_mov_b32_e32 v15, s3
	s_and_saveexec_b64 s[26:27], s[24:25]
	s_cbranch_execz .LBB115_25
; %bb.24:
	v_add_co_u32_e32 v16, vcc, 0x2000, v2
	s_nop 1
	v_addc_co_u32_e32 v17, vcc, 0, v3, vcc
	global_load_dword v15, v[16:17], off offset:3072
.LBB115_25:
	;; [unrolled: 48-line block ×4, first 2 shown]
	s_or_b64 exec, exec, s[44:45]
	v_or_b32_e32 v24, 0x1400, v0
	v_cmp_gt_u32_e64 s[44:45], s55, v24
	v_mov_b32_e32 v24, s3
	s_and_saveexec_b64 s[68:69], s[44:45]
	s_cbranch_execz .LBB115_43
; %bb.42:
	v_add_co_u32_e32 v2, vcc, 0x5000, v2
	s_nop 1
	v_addc_co_u32_e32 v3, vcc, 0, v3, vcc
	global_load_dword v24, v[2:3], off
.LBB115_43:
	s_or_b64 exec, exec, s[68:69]
	s_movk_i32 s3, 0x50
	s_waitcnt vmcnt(0)
	ds_write2st64_b32 v6, v1, v4 offset1:4
	ds_write2st64_b32 v6, v5, v7 offset0:8 offset1:12
	ds_write2st64_b32 v6, v8, v9 offset0:16 offset1:20
	;; [unrolled: 1-line block ×9, first 2 shown]
	ds_write_b32 v6, v24 offset:20480
	v_mad_u32_u24 v1, v0, s3, v6
	s_waitcnt lgkmcnt(0)
	s_barrier
	ds_read_b32 v83, v1
	ds_read2_b32 v[26:27], v1 offset0:1 offset1:2
	ds_read2_b32 v[24:25], v1 offset0:3 offset1:4
	;; [unrolled: 1-line block ×10, first 2 shown]
	s_load_dword s3, s[66:67], 0x0
	s_movk_i32 s68, 0xffb0
	v_mad_i32_i24 v1, v0, s68, v1
	s_movk_i32 s68, 0xff
	v_cmp_ne_u32_e32 vcc, s68, v0
	s_waitcnt lgkmcnt(0)
	v_mov_b32_e32 v7, s3
	ds_write_b32 v1, v83 offset:22528
	s_waitcnt lgkmcnt(0)
	s_barrier
	s_and_saveexec_b64 s[68:69], vcc
	s_cbranch_execz .LBB115_45
; %bb.44:
	ds_read_b32 v7, v6 offset:22532
.LBB115_45:
	s_or_b64 exec, exec, s[68:69]
	v_lshlrev_b32_e32 v2, 3, v0
	v_mov_b32_e32 v3, 0
	v_lshl_add_u64 v[4:5], s[64:65], 0, v[2:3]
	s_waitcnt lgkmcnt(0)
	s_barrier
	s_waitcnt lgkmcnt(0)
                                        ; implicit-def: $vgpr2_vgpr3
	s_and_saveexec_b64 s[68:69], s[46:47]
	s_cbranch_execz .LBB115_66
; %bb.46:
	global_load_dwordx2 v[2:3], v[4:5], off
	s_or_b64 exec, exec, s[68:69]
                                        ; implicit-def: $vgpr28_vgpr29
	s_and_saveexec_b64 s[46:47], s[6:7]
	s_cbranch_execnz .LBB115_67
.LBB115_47:
	s_or_b64 exec, exec, s[46:47]
                                        ; implicit-def: $vgpr30_vgpr31
	s_and_saveexec_b64 s[6:7], s[12:13]
	s_cbranch_execz .LBB115_68
.LBB115_48:
	v_add_co_u32_e32 v30, vcc, 0x1000, v4
	s_nop 1
	v_addc_co_u32_e32 v31, vcc, 0, v5, vcc
	global_load_dwordx2 v[30:31], v[30:31], off
	s_or_b64 exec, exec, s[6:7]
                                        ; implicit-def: $vgpr32_vgpr33
	s_and_saveexec_b64 s[6:7], s[8:9]
	s_cbranch_execnz .LBB115_69
.LBB115_49:
	s_or_b64 exec, exec, s[6:7]
                                        ; implicit-def: $vgpr34_vgpr35
	s_and_saveexec_b64 s[6:7], s[4:5]
	s_cbranch_execz .LBB115_70
.LBB115_50:
	v_add_co_u32_e32 v34, vcc, 0x2000, v4
	s_nop 1
	v_addc_co_u32_e32 v35, vcc, 0, v5, vcc
	global_load_dwordx2 v[34:35], v[34:35], off
	s_or_b64 exec, exec, s[6:7]
                                        ; implicit-def: $vgpr36_vgpr37
	s_and_saveexec_b64 s[4:5], s[10:11]
	s_cbranch_execnz .LBB115_71
.LBB115_51:
	s_or_b64 exec, exec, s[4:5]
                                        ; implicit-def: $vgpr38_vgpr39
	s_and_saveexec_b64 s[4:5], s[14:15]
	s_cbranch_execz .LBB115_72
.LBB115_52:
	v_add_co_u32_e32 v38, vcc, 0x3000, v4
	s_nop 1
	v_addc_co_u32_e32 v39, vcc, 0, v5, vcc
	global_load_dwordx2 v[38:39], v[38:39], off
	s_or_b64 exec, exec, s[4:5]
                                        ; implicit-def: $vgpr40_vgpr41
	s_and_saveexec_b64 s[4:5], s[16:17]
	s_cbranch_execnz .LBB115_73
.LBB115_53:
	s_or_b64 exec, exec, s[4:5]
                                        ; implicit-def: $vgpr42_vgpr43
	s_and_saveexec_b64 s[4:5], s[18:19]
	s_cbranch_execz .LBB115_74
.LBB115_54:
	v_add_co_u32_e32 v42, vcc, 0x4000, v4
	s_nop 1
	v_addc_co_u32_e32 v43, vcc, 0, v5, vcc
	global_load_dwordx2 v[42:43], v[42:43], off
	s_or_b64 exec, exec, s[4:5]
                                        ; implicit-def: $vgpr44_vgpr45
	s_and_saveexec_b64 s[4:5], s[20:21]
	s_cbranch_execnz .LBB115_75
.LBB115_55:
	s_or_b64 exec, exec, s[4:5]
                                        ; implicit-def: $vgpr46_vgpr47
	s_and_saveexec_b64 s[4:5], s[22:23]
	s_cbranch_execz .LBB115_76
.LBB115_56:
	v_add_co_u32_e32 v46, vcc, 0x5000, v4
	s_nop 1
	v_addc_co_u32_e32 v47, vcc, 0, v5, vcc
	global_load_dwordx2 v[46:47], v[46:47], off
	s_or_b64 exec, exec, s[4:5]
                                        ; implicit-def: $vgpr48_vgpr49
	s_and_saveexec_b64 s[4:5], s[24:25]
	s_cbranch_execnz .LBB115_77
.LBB115_57:
	s_or_b64 exec, exec, s[4:5]
                                        ; implicit-def: $vgpr50_vgpr51
	s_and_saveexec_b64 s[4:5], s[26:27]
	s_cbranch_execz .LBB115_78
.LBB115_58:
	v_add_co_u32_e32 v50, vcc, 0x6000, v4
	s_nop 1
	v_addc_co_u32_e32 v51, vcc, 0, v5, vcc
	global_load_dwordx2 v[50:51], v[50:51], off
	s_or_b64 exec, exec, s[4:5]
                                        ; implicit-def: $vgpr52_vgpr53
	s_and_saveexec_b64 s[4:5], s[28:29]
	s_cbranch_execnz .LBB115_79
.LBB115_59:
	s_or_b64 exec, exec, s[4:5]
                                        ; implicit-def: $vgpr54_vgpr55
	s_and_saveexec_b64 s[4:5], s[30:31]
	s_cbranch_execz .LBB115_80
.LBB115_60:
	v_add_co_u32_e32 v54, vcc, 0x7000, v4
	s_nop 1
	v_addc_co_u32_e32 v55, vcc, 0, v5, vcc
	global_load_dwordx2 v[54:55], v[54:55], off
	s_or_b64 exec, exec, s[4:5]
                                        ; implicit-def: $vgpr56_vgpr57
	s_and_saveexec_b64 s[4:5], s[34:35]
	s_cbranch_execnz .LBB115_81
.LBB115_61:
	s_or_b64 exec, exec, s[4:5]
                                        ; implicit-def: $vgpr58_vgpr59
	s_and_saveexec_b64 s[4:5], s[36:37]
	s_cbranch_execz .LBB115_82
.LBB115_62:
	v_add_co_u32_e32 v58, vcc, 0x8000, v4
	s_nop 1
	v_addc_co_u32_e32 v59, vcc, 0, v5, vcc
	global_load_dwordx2 v[58:59], v[58:59], off
	s_or_b64 exec, exec, s[4:5]
                                        ; implicit-def: $vgpr60_vgpr61
	s_and_saveexec_b64 s[4:5], s[38:39]
	s_cbranch_execnz .LBB115_83
.LBB115_63:
	s_or_b64 exec, exec, s[4:5]
                                        ; implicit-def: $vgpr62_vgpr63
	s_and_saveexec_b64 s[4:5], s[40:41]
	s_cbranch_execz .LBB115_84
.LBB115_64:
	v_add_co_u32_e32 v62, vcc, 0x9000, v4
	s_nop 1
	v_addc_co_u32_e32 v63, vcc, 0, v5, vcc
	global_load_dwordx2 v[62:63], v[62:63], off
	s_or_b64 exec, exec, s[4:5]
                                        ; implicit-def: $vgpr64_vgpr65
	s_and_saveexec_b64 s[4:5], s[42:43]
	s_cbranch_execz .LBB115_86
	s_branch .LBB115_85
.LBB115_65:
	s_mov_b64 s[10:11], 0
                                        ; implicit-def: $sgpr8_sgpr9
                                        ; implicit-def: $vgpr2_vgpr3
                                        ; implicit-def: $vgpr42_vgpr43
                                        ; implicit-def: $vgpr108
                                        ; implicit-def: $vgpr46_vgpr47
                                        ; implicit-def: $vgpr124
                                        ; implicit-def: $vgpr80_vgpr81
                                        ; implicit-def: $vgpr123
                                        ; implicit-def: $vgpr78_vgpr79
                                        ; implicit-def: $vgpr122
                                        ; implicit-def: $vgpr76_vgpr77
                                        ; implicit-def: $vgpr121
                                        ; implicit-def: $vgpr74_vgpr75
                                        ; implicit-def: $vgpr120
                                        ; implicit-def: $vgpr72_vgpr73
                                        ; implicit-def: $vgpr119
                                        ; implicit-def: $vgpr70_vgpr71
                                        ; implicit-def: $vgpr118
                                        ; implicit-def: $vgpr68_vgpr69
                                        ; implicit-def: $vgpr117
                                        ; implicit-def: $vgpr66_vgpr67
                                        ; implicit-def: $vgpr116
                                        ; implicit-def: $vgpr64_vgpr65
                                        ; implicit-def: $vgpr115
                                        ; implicit-def: $vgpr62_vgpr63
                                        ; implicit-def: $vgpr114
                                        ; implicit-def: $vgpr60_vgpr61
                                        ; implicit-def: $vgpr113
                                        ; implicit-def: $vgpr58_vgpr59
                                        ; implicit-def: $vgpr112
                                        ; implicit-def: $vgpr56_vgpr57
                                        ; implicit-def: $vgpr111
                                        ; implicit-def: $vgpr54_vgpr55
                                        ; implicit-def: $vgpr110
                                        ; implicit-def: $vgpr52_vgpr53
                                        ; implicit-def: $vgpr109
                                        ; implicit-def: $vgpr50_vgpr51
                                        ; implicit-def: $vgpr107
                                        ; implicit-def: $vgpr48_vgpr49
                                        ; implicit-def: $vgpr106
                                        ; implicit-def: $vgpr44_vgpr45
                                        ; implicit-def: $vgpr1
                                        ; implicit-def: $sgpr3
                                        ; implicit-def: $sgpr6_sgpr7
	s_and_b64 vcc, exec, s[4:5]
	s_cbranch_vccz .LBB115_136
	s_branch .LBB115_131
.LBB115_66:
	s_or_b64 exec, exec, s[68:69]
                                        ; implicit-def: $vgpr28_vgpr29
	s_and_saveexec_b64 s[46:47], s[6:7]
	s_cbranch_execz .LBB115_47
.LBB115_67:
	global_load_dwordx2 v[28:29], v[4:5], off offset:2048
	s_or_b64 exec, exec, s[46:47]
                                        ; implicit-def: $vgpr30_vgpr31
	s_and_saveexec_b64 s[6:7], s[12:13]
	s_cbranch_execnz .LBB115_48
.LBB115_68:
	s_or_b64 exec, exec, s[6:7]
                                        ; implicit-def: $vgpr32_vgpr33
	s_and_saveexec_b64 s[6:7], s[8:9]
	s_cbranch_execz .LBB115_49
.LBB115_69:
	v_add_co_u32_e32 v32, vcc, 0x1000, v4
	s_nop 1
	v_addc_co_u32_e32 v33, vcc, 0, v5, vcc
	global_load_dwordx2 v[32:33], v[32:33], off offset:2048
	s_or_b64 exec, exec, s[6:7]
                                        ; implicit-def: $vgpr34_vgpr35
	s_and_saveexec_b64 s[6:7], s[4:5]
	s_cbranch_execnz .LBB115_50
.LBB115_70:
	s_or_b64 exec, exec, s[6:7]
                                        ; implicit-def: $vgpr36_vgpr37
	s_and_saveexec_b64 s[4:5], s[10:11]
	s_cbranch_execz .LBB115_51
.LBB115_71:
	v_add_co_u32_e32 v36, vcc, 0x2000, v4
	s_nop 1
	v_addc_co_u32_e32 v37, vcc, 0, v5, vcc
	global_load_dwordx2 v[36:37], v[36:37], off offset:2048
	s_or_b64 exec, exec, s[4:5]
                                        ; implicit-def: $vgpr38_vgpr39
	s_and_saveexec_b64 s[4:5], s[14:15]
	s_cbranch_execnz .LBB115_52
.LBB115_72:
	s_or_b64 exec, exec, s[4:5]
                                        ; implicit-def: $vgpr40_vgpr41
	s_and_saveexec_b64 s[4:5], s[16:17]
	s_cbranch_execz .LBB115_53
.LBB115_73:
	v_add_co_u32_e32 v40, vcc, 0x3000, v4
	s_nop 1
	v_addc_co_u32_e32 v41, vcc, 0, v5, vcc
	global_load_dwordx2 v[40:41], v[40:41], off offset:2048
	s_or_b64 exec, exec, s[4:5]
                                        ; implicit-def: $vgpr42_vgpr43
	s_and_saveexec_b64 s[4:5], s[18:19]
	s_cbranch_execnz .LBB115_54
.LBB115_74:
	s_or_b64 exec, exec, s[4:5]
                                        ; implicit-def: $vgpr44_vgpr45
	s_and_saveexec_b64 s[4:5], s[20:21]
	s_cbranch_execz .LBB115_55
.LBB115_75:
	v_add_co_u32_e32 v44, vcc, 0x4000, v4
	s_nop 1
	v_addc_co_u32_e32 v45, vcc, 0, v5, vcc
	global_load_dwordx2 v[44:45], v[44:45], off offset:2048
	s_or_b64 exec, exec, s[4:5]
                                        ; implicit-def: $vgpr46_vgpr47
	s_and_saveexec_b64 s[4:5], s[22:23]
	s_cbranch_execnz .LBB115_56
.LBB115_76:
	s_or_b64 exec, exec, s[4:5]
                                        ; implicit-def: $vgpr48_vgpr49
	s_and_saveexec_b64 s[4:5], s[24:25]
	s_cbranch_execz .LBB115_57
.LBB115_77:
	v_add_co_u32_e32 v48, vcc, 0x5000, v4
	s_nop 1
	v_addc_co_u32_e32 v49, vcc, 0, v5, vcc
	global_load_dwordx2 v[48:49], v[48:49], off offset:2048
	s_or_b64 exec, exec, s[4:5]
                                        ; implicit-def: $vgpr50_vgpr51
	s_and_saveexec_b64 s[4:5], s[26:27]
	s_cbranch_execnz .LBB115_58
.LBB115_78:
	s_or_b64 exec, exec, s[4:5]
                                        ; implicit-def: $vgpr52_vgpr53
	s_and_saveexec_b64 s[4:5], s[28:29]
	s_cbranch_execz .LBB115_59
.LBB115_79:
	v_add_co_u32_e32 v52, vcc, 0x6000, v4
	s_nop 1
	v_addc_co_u32_e32 v53, vcc, 0, v5, vcc
	global_load_dwordx2 v[52:53], v[52:53], off offset:2048
	s_or_b64 exec, exec, s[4:5]
                                        ; implicit-def: $vgpr54_vgpr55
	s_and_saveexec_b64 s[4:5], s[30:31]
	s_cbranch_execnz .LBB115_60
.LBB115_80:
	s_or_b64 exec, exec, s[4:5]
                                        ; implicit-def: $vgpr56_vgpr57
	s_and_saveexec_b64 s[4:5], s[34:35]
	s_cbranch_execz .LBB115_61
.LBB115_81:
	v_add_co_u32_e32 v56, vcc, 0x7000, v4
	s_nop 1
	v_addc_co_u32_e32 v57, vcc, 0, v5, vcc
	global_load_dwordx2 v[56:57], v[56:57], off offset:2048
	s_or_b64 exec, exec, s[4:5]
                                        ; implicit-def: $vgpr58_vgpr59
	s_and_saveexec_b64 s[4:5], s[36:37]
	s_cbranch_execnz .LBB115_62
.LBB115_82:
	s_or_b64 exec, exec, s[4:5]
                                        ; implicit-def: $vgpr60_vgpr61
	s_and_saveexec_b64 s[4:5], s[38:39]
	s_cbranch_execz .LBB115_63
.LBB115_83:
	v_add_co_u32_e32 v60, vcc, 0x8000, v4
	s_nop 1
	v_addc_co_u32_e32 v61, vcc, 0, v5, vcc
	global_load_dwordx2 v[60:61], v[60:61], off offset:2048
	s_or_b64 exec, exec, s[4:5]
                                        ; implicit-def: $vgpr62_vgpr63
	s_and_saveexec_b64 s[4:5], s[40:41]
	s_cbranch_execnz .LBB115_64
.LBB115_84:
	s_or_b64 exec, exec, s[4:5]
                                        ; implicit-def: $vgpr64_vgpr65
	s_and_saveexec_b64 s[4:5], s[42:43]
	s_cbranch_execz .LBB115_86
.LBB115_85:
	v_add_co_u32_e32 v64, vcc, 0x9000, v4
	s_nop 1
	v_addc_co_u32_e32 v65, vcc, 0, v5, vcc
	global_load_dwordx2 v[64:65], v[64:65], off offset:2048
.LBB115_86:
	s_or_b64 exec, exec, s[4:5]
	v_mul_u32_u24_e32 v82, 21, v0
                                        ; implicit-def: $vgpr66_vgpr67
	s_and_saveexec_b64 s[4:5], s[44:45]
	s_cbranch_execz .LBB115_88
; %bb.87:
	v_add_co_u32_e32 v4, vcc, 0xa000, v4
	s_nop 1
	v_addc_co_u32_e32 v5, vcc, 0, v5, vcc
	global_load_dwordx2 v[66:67], v[4:5], off
.LBB115_88:
	s_or_b64 exec, exec, s[4:5]
	v_lshl_add_u32 v4, v0, 2, v1
	s_waitcnt vmcnt(0)
	ds_write2st64_b64 v4, v[2:3], v[28:29] offset1:4
	ds_write2st64_b64 v4, v[30:31], v[32:33] offset0:8 offset1:12
	ds_write2st64_b64 v4, v[34:35], v[36:37] offset0:16 offset1:20
	;; [unrolled: 1-line block ×9, first 2 shown]
	ds_write_b64 v4, v[66:67] offset:40960
	v_mov_b64_e32 v[42:43], 0
	v_cmp_gt_u32_e32 vcc, s55, v82
	s_mov_b64 s[10:11], 0
	s_mov_b32 s3, 0
	s_mov_b64 s[4:5], 0
	v_mov_b32_e32 v108, 0
	v_mov_b64_e32 v[46:47], v[42:43]
	v_mov_b32_e32 v124, 0
	v_mov_b64_e32 v[80:81], v[42:43]
	;; [unrolled: 2-line block ×19, first 2 shown]
	v_mov_b32_e32 v1, 0
	s_waitcnt lgkmcnt(0)
	s_barrier
	s_waitcnt lgkmcnt(0)
                                        ; implicit-def: $sgpr8_sgpr9
                                        ; implicit-def: $vgpr2_vgpr3
	s_and_saveexec_b64 s[6:7], vcc
	s_cbranch_execz .LBB115_130
; %bb.89:
	s_movk_i32 s8, 0xa0
	v_mad_u32_u24 v1, v0, s8, v4
	ds_read_b64 v[2:3], v1
	v_cmp_ne_u32_e32 vcc, v83, v26
	v_mov_b32_e32 v28, s59
	v_add_u32_e32 v5, 1, v82
	v_mov_b64_e32 v[46:47], 0
	s_waitcnt lgkmcnt(0)
	v_cndmask_b32_e32 v43, v3, v28, vcc
	v_mov_b32_e32 v3, s58
	v_cndmask_b32_e64 v1, 0, 1, vcc
	v_cndmask_b32_e32 v42, v2, v3, vcc
	v_cmp_gt_u32_e32 vcc, s55, v5
	s_mov_b64 s[12:13], 0
	v_mov_b32_e32 v108, 0
	v_mov_b32_e32 v124, 0
	v_mov_b64_e32 v[80:81], v[46:47]
	v_mov_b32_e32 v123, 0
	v_mov_b64_e32 v[78:79], v[46:47]
	;; [unrolled: 2-line block ×18, first 2 shown]
                                        ; implicit-def: $sgpr14_sgpr15
                                        ; implicit-def: $vgpr2_vgpr3
	s_and_saveexec_b64 s[8:9], vcc
	s_cbranch_execz .LBB115_129
; %bb.90:
	v_mul_u32_u24_e32 v2, 0xa0, v0
	v_add_u32_e32 v28, v4, v2
	ds_read2_b64 v[2:5], v28 offset0:1 offset1:2
	v_cmp_ne_u32_e32 vcc, v26, v27
	v_mov_b32_e32 v26, s59
	v_add_u32_e32 v29, 2, v82
	v_mov_b64_e32 v[46:47], 0
	s_waitcnt lgkmcnt(0)
	v_cndmask_b32_e32 v45, v3, v26, vcc
	v_mov_b32_e32 v3, s58
	v_cndmask_b32_e64 v106, 0, 1, vcc
	v_cndmask_b32_e32 v44, v2, v3, vcc
	v_cmp_gt_u32_e32 vcc, s55, v29
	s_mov_b64 s[14:15], 0
	v_mov_b32_e32 v108, 0
	v_mov_b32_e32 v124, 0
	v_mov_b64_e32 v[80:81], v[46:47]
	v_mov_b32_e32 v123, 0
	v_mov_b64_e32 v[78:79], v[46:47]
	;; [unrolled: 2-line block ×17, first 2 shown]
                                        ; implicit-def: $sgpr16_sgpr17
                                        ; implicit-def: $vgpr2_vgpr3
	s_and_saveexec_b64 s[10:11], vcc
	s_cbranch_execz .LBB115_128
; %bb.91:
	v_cmp_ne_u32_e32 vcc, v27, v24
	v_mov_b32_e32 v3, s59
	v_add_u32_e32 v2, 3, v82
	v_cndmask_b32_e32 v49, v5, v3, vcc
	v_mov_b32_e32 v3, s58
	v_mov_b64_e32 v[46:47], 0
	v_cndmask_b32_e64 v107, 0, 1, vcc
	v_cndmask_b32_e32 v48, v4, v3, vcc
	v_cmp_gt_u32_e32 vcc, s55, v2
	s_mov_b64 s[16:17], 0
	v_mov_b32_e32 v108, 0
	v_mov_b32_e32 v124, 0
	v_mov_b64_e32 v[80:81], v[46:47]
	v_mov_b32_e32 v123, 0
	v_mov_b64_e32 v[78:79], v[46:47]
	;; [unrolled: 2-line block ×16, first 2 shown]
                                        ; implicit-def: $sgpr18_sgpr19
                                        ; implicit-def: $vgpr2_vgpr3
	s_and_saveexec_b64 s[12:13], vcc
	s_cbranch_execz .LBB115_127
; %bb.92:
	ds_read2_b64 v[2:5], v28 offset0:3 offset1:4
	v_cmp_ne_u32_e32 vcc, v24, v25
	v_mov_b32_e32 v24, s59
	v_add_u32_e32 v26, 4, v82
	v_mov_b64_e32 v[46:47], 0
	s_waitcnt lgkmcnt(0)
	v_cndmask_b32_e32 v51, v3, v24, vcc
	v_mov_b32_e32 v3, s58
	v_cndmask_b32_e64 v109, 0, 1, vcc
	v_cndmask_b32_e32 v50, v2, v3, vcc
	v_cmp_gt_u32_e32 vcc, s55, v26
	s_mov_b64 s[18:19], 0
	v_mov_b32_e32 v108, 0
	v_mov_b32_e32 v124, 0
	v_mov_b64_e32 v[80:81], v[46:47]
	v_mov_b32_e32 v123, 0
	v_mov_b64_e32 v[78:79], v[46:47]
	;; [unrolled: 2-line block ×15, first 2 shown]
                                        ; implicit-def: $sgpr20_sgpr21
                                        ; implicit-def: $vgpr2_vgpr3
	s_and_saveexec_b64 s[14:15], vcc
	s_cbranch_execz .LBB115_126
; %bb.93:
	v_cmp_ne_u32_e32 vcc, v25, v22
	v_mov_b32_e32 v3, s59
	v_add_u32_e32 v2, 5, v82
	v_cndmask_b32_e32 v53, v5, v3, vcc
	v_mov_b32_e32 v3, s58
	v_mov_b64_e32 v[46:47], 0
	v_cndmask_b32_e64 v110, 0, 1, vcc
	v_cndmask_b32_e32 v52, v4, v3, vcc
	v_cmp_gt_u32_e32 vcc, s55, v2
	s_mov_b64 s[20:21], 0
	v_mov_b32_e32 v108, 0
	v_mov_b32_e32 v124, 0
	v_mov_b64_e32 v[80:81], v[46:47]
	v_mov_b32_e32 v123, 0
	v_mov_b64_e32 v[78:79], v[46:47]
	;; [unrolled: 2-line block ×14, first 2 shown]
                                        ; implicit-def: $sgpr22_sgpr23
                                        ; implicit-def: $vgpr2_vgpr3
	s_and_saveexec_b64 s[16:17], vcc
	s_cbranch_execz .LBB115_125
; %bb.94:
	ds_read2_b64 v[2:5], v28 offset0:5 offset1:6
	v_cmp_ne_u32_e32 vcc, v22, v23
	v_mov_b32_e32 v22, s59
	v_add_u32_e32 v24, 6, v82
	v_mov_b64_e32 v[46:47], 0
	s_waitcnt lgkmcnt(0)
	v_cndmask_b32_e32 v55, v3, v22, vcc
	v_mov_b32_e32 v3, s58
	v_cndmask_b32_e64 v111, 0, 1, vcc
	v_cndmask_b32_e32 v54, v2, v3, vcc
	v_cmp_gt_u32_e32 vcc, s55, v24
	s_mov_b64 s[22:23], 0
	v_mov_b32_e32 v108, 0
	v_mov_b32_e32 v124, 0
	v_mov_b64_e32 v[80:81], v[46:47]
	v_mov_b32_e32 v123, 0
	v_mov_b64_e32 v[78:79], v[46:47]
	;; [unrolled: 2-line block ×13, first 2 shown]
                                        ; implicit-def: $sgpr24_sgpr25
                                        ; implicit-def: $vgpr2_vgpr3
	s_and_saveexec_b64 s[18:19], vcc
	s_cbranch_execz .LBB115_124
; %bb.95:
	v_cmp_ne_u32_e32 vcc, v23, v20
	v_mov_b32_e32 v3, s59
	v_add_u32_e32 v2, 7, v82
	v_cndmask_b32_e32 v57, v5, v3, vcc
	v_mov_b32_e32 v3, s58
	v_mov_b64_e32 v[46:47], 0
	v_cndmask_b32_e64 v112, 0, 1, vcc
	v_cndmask_b32_e32 v56, v4, v3, vcc
	v_cmp_gt_u32_e32 vcc, s55, v2
	s_mov_b64 s[24:25], 0
	v_mov_b32_e32 v108, 0
	v_mov_b32_e32 v124, 0
	v_mov_b64_e32 v[80:81], v[46:47]
	v_mov_b32_e32 v123, 0
	v_mov_b64_e32 v[78:79], v[46:47]
	;; [unrolled: 2-line block ×12, first 2 shown]
                                        ; implicit-def: $sgpr26_sgpr27
                                        ; implicit-def: $vgpr2_vgpr3
	s_and_saveexec_b64 s[20:21], vcc
	s_cbranch_execz .LBB115_123
; %bb.96:
	ds_read2_b64 v[2:5], v28 offset0:7 offset1:8
	v_cmp_ne_u32_e32 vcc, v20, v21
	v_mov_b32_e32 v20, s59
	v_add_u32_e32 v22, 8, v82
	v_mov_b64_e32 v[46:47], 0
	s_waitcnt lgkmcnt(0)
	v_cndmask_b32_e32 v59, v3, v20, vcc
	v_mov_b32_e32 v3, s58
	v_cndmask_b32_e64 v113, 0, 1, vcc
	v_cndmask_b32_e32 v58, v2, v3, vcc
	v_cmp_gt_u32_e32 vcc, s55, v22
	s_mov_b64 s[26:27], 0
	v_mov_b32_e32 v108, 0
	v_mov_b32_e32 v124, 0
	v_mov_b64_e32 v[80:81], v[46:47]
	v_mov_b32_e32 v123, 0
	v_mov_b64_e32 v[78:79], v[46:47]
	;; [unrolled: 2-line block ×11, first 2 shown]
                                        ; implicit-def: $sgpr28_sgpr29
                                        ; implicit-def: $vgpr2_vgpr3
	s_and_saveexec_b64 s[22:23], vcc
	s_cbranch_execz .LBB115_122
; %bb.97:
	v_cmp_ne_u32_e32 vcc, v21, v18
	v_mov_b32_e32 v3, s59
	v_add_u32_e32 v2, 9, v82
	v_cndmask_b32_e32 v61, v5, v3, vcc
	v_mov_b32_e32 v3, s58
	v_mov_b64_e32 v[46:47], 0
	v_cndmask_b32_e64 v114, 0, 1, vcc
	v_cndmask_b32_e32 v60, v4, v3, vcc
	v_cmp_gt_u32_e32 vcc, s55, v2
	s_mov_b64 s[28:29], 0
	v_mov_b32_e32 v108, 0
	v_mov_b32_e32 v124, 0
	v_mov_b64_e32 v[80:81], v[46:47]
	v_mov_b32_e32 v123, 0
	v_mov_b64_e32 v[78:79], v[46:47]
	;; [unrolled: 2-line block ×10, first 2 shown]
                                        ; implicit-def: $sgpr30_sgpr31
                                        ; implicit-def: $vgpr2_vgpr3
	s_and_saveexec_b64 s[24:25], vcc
	s_cbranch_execz .LBB115_121
; %bb.98:
	ds_read2_b64 v[2:5], v28 offset0:9 offset1:10
	v_cmp_ne_u32_e32 vcc, v18, v19
	v_mov_b32_e32 v18, s59
	v_add_u32_e32 v20, 10, v82
	v_mov_b64_e32 v[46:47], 0
	s_waitcnt lgkmcnt(0)
	v_cndmask_b32_e32 v63, v3, v18, vcc
	v_mov_b32_e32 v3, s58
	v_cndmask_b32_e64 v115, 0, 1, vcc
	v_cndmask_b32_e32 v62, v2, v3, vcc
	v_cmp_gt_u32_e32 vcc, s55, v20
	s_mov_b64 s[30:31], 0
	v_mov_b32_e32 v108, 0
	v_mov_b32_e32 v124, 0
	v_mov_b64_e32 v[80:81], v[46:47]
	v_mov_b32_e32 v123, 0
	v_mov_b64_e32 v[78:79], v[46:47]
	;; [unrolled: 2-line block ×9, first 2 shown]
                                        ; implicit-def: $sgpr34_sgpr35
                                        ; implicit-def: $vgpr2_vgpr3
	s_and_saveexec_b64 s[26:27], vcc
	s_cbranch_execz .LBB115_120
; %bb.99:
	v_cmp_ne_u32_e32 vcc, v19, v16
	v_mov_b32_e32 v3, s59
	v_add_u32_e32 v2, 11, v82
	v_cndmask_b32_e32 v65, v5, v3, vcc
	v_mov_b32_e32 v3, s58
	v_mov_b64_e32 v[46:47], 0
	v_cndmask_b32_e64 v116, 0, 1, vcc
	v_cndmask_b32_e32 v64, v4, v3, vcc
	v_cmp_gt_u32_e32 vcc, s55, v2
	s_mov_b64 s[34:35], 0
	v_mov_b32_e32 v108, 0
	v_mov_b32_e32 v124, 0
	v_mov_b64_e32 v[80:81], v[46:47]
	v_mov_b32_e32 v123, 0
	v_mov_b64_e32 v[78:79], v[46:47]
	;; [unrolled: 2-line block ×8, first 2 shown]
                                        ; implicit-def: $sgpr36_sgpr37
                                        ; implicit-def: $vgpr2_vgpr3
	s_and_saveexec_b64 s[28:29], vcc
	s_cbranch_execz .LBB115_119
; %bb.100:
	ds_read2_b64 v[2:5], v28 offset0:11 offset1:12
	v_cmp_ne_u32_e32 vcc, v16, v17
	v_mov_b32_e32 v16, s59
	v_add_u32_e32 v18, 12, v82
	v_mov_b64_e32 v[46:47], 0
	s_waitcnt lgkmcnt(0)
	v_cndmask_b32_e32 v67, v3, v16, vcc
	v_mov_b32_e32 v3, s58
	v_cndmask_b32_e64 v117, 0, 1, vcc
	v_cndmask_b32_e32 v66, v2, v3, vcc
	v_cmp_gt_u32_e32 vcc, s55, v18
	s_mov_b64 s[36:37], 0
	v_mov_b32_e32 v108, 0
	v_mov_b32_e32 v124, 0
	v_mov_b64_e32 v[80:81], v[46:47]
	v_mov_b32_e32 v123, 0
	v_mov_b64_e32 v[78:79], v[46:47]
	;; [unrolled: 2-line block ×7, first 2 shown]
                                        ; implicit-def: $sgpr38_sgpr39
                                        ; implicit-def: $vgpr2_vgpr3
	s_and_saveexec_b64 s[30:31], vcc
	s_cbranch_execz .LBB115_118
; %bb.101:
	v_cmp_ne_u32_e32 vcc, v17, v14
	v_mov_b32_e32 v3, s59
	v_add_u32_e32 v2, 13, v82
	v_cndmask_b32_e32 v69, v5, v3, vcc
	v_mov_b32_e32 v3, s58
	v_mov_b64_e32 v[46:47], 0
	v_cndmask_b32_e64 v118, 0, 1, vcc
	v_cndmask_b32_e32 v68, v4, v3, vcc
	v_cmp_gt_u32_e32 vcc, s55, v2
	s_mov_b64 s[38:39], 0
	v_mov_b32_e32 v108, 0
	v_mov_b32_e32 v124, 0
	v_mov_b64_e32 v[80:81], v[46:47]
	v_mov_b32_e32 v123, 0
	v_mov_b64_e32 v[78:79], v[46:47]
	;; [unrolled: 2-line block ×6, first 2 shown]
                                        ; implicit-def: $sgpr40_sgpr41
                                        ; implicit-def: $vgpr2_vgpr3
	s_and_saveexec_b64 s[34:35], vcc
	s_cbranch_execz .LBB115_117
; %bb.102:
	ds_read2_b64 v[2:5], v28 offset0:13 offset1:14
	v_cmp_ne_u32_e32 vcc, v14, v15
	v_mov_b32_e32 v14, s59
	v_add_u32_e32 v16, 14, v82
	v_mov_b64_e32 v[46:47], 0
	s_waitcnt lgkmcnt(0)
	v_cndmask_b32_e32 v71, v3, v14, vcc
	v_mov_b32_e32 v3, s58
	v_cndmask_b32_e64 v119, 0, 1, vcc
	v_cndmask_b32_e32 v70, v2, v3, vcc
	v_cmp_gt_u32_e32 vcc, s55, v16
	s_mov_b64 s[40:41], 0
	v_mov_b32_e32 v108, 0
	v_mov_b32_e32 v124, 0
	v_mov_b64_e32 v[80:81], v[46:47]
	v_mov_b32_e32 v123, 0
	v_mov_b64_e32 v[78:79], v[46:47]
	;; [unrolled: 2-line block ×5, first 2 shown]
                                        ; implicit-def: $sgpr42_sgpr43
                                        ; implicit-def: $vgpr2_vgpr3
	s_and_saveexec_b64 s[36:37], vcc
	s_cbranch_execz .LBB115_116
; %bb.103:
	v_cmp_ne_u32_e32 vcc, v15, v12
	v_mov_b32_e32 v3, s59
	v_add_u32_e32 v2, 15, v82
	v_cndmask_b32_e32 v73, v5, v3, vcc
	v_mov_b32_e32 v3, s58
	v_mov_b64_e32 v[46:47], 0
	v_cndmask_b32_e64 v120, 0, 1, vcc
	v_cndmask_b32_e32 v72, v4, v3, vcc
	v_cmp_gt_u32_e32 vcc, s55, v2
	s_mov_b64 s[42:43], 0
	v_mov_b32_e32 v108, 0
	v_mov_b32_e32 v124, 0
	v_mov_b64_e32 v[80:81], v[46:47]
	v_mov_b32_e32 v123, 0
	v_mov_b64_e32 v[78:79], v[46:47]
	;; [unrolled: 2-line block ×4, first 2 shown]
                                        ; implicit-def: $sgpr44_sgpr45
                                        ; implicit-def: $vgpr2_vgpr3
	s_and_saveexec_b64 s[38:39], vcc
	s_cbranch_execz .LBB115_115
; %bb.104:
	ds_read2_b64 v[2:5], v28 offset0:15 offset1:16
	v_cmp_ne_u32_e32 vcc, v12, v13
	v_mov_b32_e32 v12, s59
	v_add_u32_e32 v14, 16, v82
	v_mov_b64_e32 v[46:47], 0
	s_waitcnt lgkmcnt(0)
	v_cndmask_b32_e32 v75, v3, v12, vcc
	v_mov_b32_e32 v3, s58
	v_cndmask_b32_e64 v121, 0, 1, vcc
	v_cndmask_b32_e32 v74, v2, v3, vcc
	v_cmp_gt_u32_e32 vcc, s55, v14
	s_mov_b64 s[44:45], 0
	v_mov_b32_e32 v108, 0
	v_mov_b32_e32 v124, 0
	v_mov_b64_e32 v[80:81], v[46:47]
	v_mov_b32_e32 v123, 0
	v_mov_b64_e32 v[78:79], v[46:47]
	;; [unrolled: 2-line block ×3, first 2 shown]
                                        ; implicit-def: $sgpr46_sgpr47
                                        ; implicit-def: $vgpr2_vgpr3
	s_and_saveexec_b64 s[40:41], vcc
	s_cbranch_execz .LBB115_114
; %bb.105:
	v_cmp_ne_u32_e32 vcc, v13, v10
	v_mov_b32_e32 v3, s59
	v_add_u32_e32 v2, 17, v82
	v_cndmask_b32_e32 v77, v5, v3, vcc
	v_mov_b32_e32 v3, s58
	v_mov_b64_e32 v[46:47], 0
	v_cndmask_b32_e64 v122, 0, 1, vcc
	v_cndmask_b32_e32 v76, v4, v3, vcc
	v_cmp_gt_u32_e32 vcc, s55, v2
	s_mov_b64 s[46:47], 0
	v_mov_b32_e32 v108, 0
	v_mov_b32_e32 v124, 0
	v_mov_b64_e32 v[80:81], v[46:47]
	v_mov_b32_e32 v123, 0
	v_mov_b64_e32 v[78:79], v[46:47]
                                        ; implicit-def: $sgpr68_sgpr69
                                        ; implicit-def: $vgpr2_vgpr3
	s_and_saveexec_b64 s[42:43], vcc
	s_cbranch_execz .LBB115_113
; %bb.106:
	ds_read2_b64 v[2:5], v28 offset0:17 offset1:18
	v_cmp_ne_u32_e32 vcc, v10, v11
	v_mov_b32_e32 v10, s59
	v_add_u32_e32 v12, 18, v82
	v_mov_b64_e32 v[46:47], 0
	s_waitcnt lgkmcnt(0)
	v_cndmask_b32_e32 v79, v3, v10, vcc
	v_mov_b32_e32 v3, s58
	v_cndmask_b32_e64 v123, 0, 1, vcc
	v_cndmask_b32_e32 v78, v2, v3, vcc
	v_cmp_gt_u32_e32 vcc, s55, v12
	s_mov_b64 s[68:69], 0
	v_mov_b32_e32 v108, 0
	v_mov_b32_e32 v124, 0
	v_mov_b64_e32 v[80:81], v[46:47]
                                        ; implicit-def: $sgpr70_sgpr71
                                        ; implicit-def: $vgpr2_vgpr3
	s_and_saveexec_b64 s[44:45], vcc
	s_cbranch_execz .LBB115_112
; %bb.107:
	v_cmp_ne_u32_e32 vcc, v11, v8
	v_mov_b32_e32 v3, s59
	v_add_u32_e32 v2, 19, v82
	v_cndmask_b32_e32 v81, v5, v3, vcc
	v_mov_b32_e32 v3, s58
	v_cndmask_b32_e64 v124, 0, 1, vcc
	v_cndmask_b32_e32 v80, v4, v3, vcc
	v_cmp_gt_u32_e32 vcc, s55, v2
	v_mov_b32_e32 v108, 0
	v_mov_b64_e32 v[46:47], 0
                                        ; implicit-def: $sgpr70_sgpr71
                                        ; implicit-def: $vgpr2_vgpr3
	s_and_saveexec_b64 s[46:47], vcc
	s_cbranch_execz .LBB115_111
; %bb.108:
	ds_read2_b64 v[2:5], v28 offset0:19 offset1:20
	v_cmp_ne_u32_e32 vcc, v8, v9
	v_mov_b32_e32 v8, s59
	v_add_u32_e32 v10, 20, v82
	v_cndmask_b32_e64 v108, 0, 1, vcc
	s_waitcnt lgkmcnt(0)
	v_cndmask_b32_e32 v47, v3, v8, vcc
	v_mov_b32_e32 v3, s58
	v_cndmask_b32_e32 v46, v2, v3, vcc
	v_cmp_gt_u32_e32 vcc, s55, v10
                                        ; implicit-def: $sgpr70_sgpr71
                                        ; implicit-def: $vgpr2_vgpr3
	s_and_saveexec_b64 s[72:73], vcc
	s_xor_b64 s[72:73], exec, s[72:73]
; %bb.109:
	v_mov_b32_e32 v2, s59
	v_cmp_ne_u32_e32 vcc, v9, v7
	s_mov_b64 s[68:69], exec
	s_and_b64 s[70:71], vcc, exec
	v_cndmask_b32_e32 v3, v5, v2, vcc
	v_mov_b32_e32 v2, s58
	v_cndmask_b32_e32 v2, v4, v2, vcc
; %bb.110:
	s_or_b64 exec, exec, s[72:73]
	s_and_b64 s[70:71], s[70:71], exec
	s_and_b64 s[68:69], s[68:69], exec
.LBB115_111:
	s_or_b64 exec, exec, s[46:47]
	s_and_b64 s[70:71], s[70:71], exec
	s_and_b64 s[46:47], s[68:69], exec
.LBB115_112:
	s_or_b64 exec, exec, s[44:45]
	s_and_b64 s[68:69], s[70:71], exec
	s_and_b64 s[44:45], s[46:47], exec
.LBB115_113:
	s_or_b64 exec, exec, s[42:43]
	s_and_b64 s[46:47], s[68:69], exec
	s_and_b64 s[42:43], s[44:45], exec
.LBB115_114:
	s_or_b64 exec, exec, s[40:41]
	s_and_b64 s[44:45], s[46:47], exec
	s_and_b64 s[40:41], s[42:43], exec
.LBB115_115:
	s_or_b64 exec, exec, s[38:39]
	s_and_b64 s[42:43], s[44:45], exec
	s_and_b64 s[38:39], s[40:41], exec
.LBB115_116:
	s_or_b64 exec, exec, s[36:37]
	s_and_b64 s[40:41], s[42:43], exec
	s_and_b64 s[36:37], s[38:39], exec
.LBB115_117:
	s_or_b64 exec, exec, s[34:35]
	s_and_b64 s[38:39], s[40:41], exec
	s_and_b64 s[34:35], s[36:37], exec
.LBB115_118:
	s_or_b64 exec, exec, s[30:31]
	s_and_b64 s[36:37], s[38:39], exec
	s_and_b64 s[30:31], s[34:35], exec
.LBB115_119:
	s_or_b64 exec, exec, s[28:29]
	s_and_b64 s[34:35], s[36:37], exec
	s_and_b64 s[28:29], s[30:31], exec
.LBB115_120:
	s_or_b64 exec, exec, s[26:27]
	s_and_b64 s[30:31], s[34:35], exec
	s_and_b64 s[26:27], s[28:29], exec
.LBB115_121:
	s_or_b64 exec, exec, s[24:25]
	s_and_b64 s[28:29], s[30:31], exec
	s_and_b64 s[24:25], s[26:27], exec
.LBB115_122:
	s_or_b64 exec, exec, s[22:23]
	s_and_b64 s[26:27], s[28:29], exec
	s_and_b64 s[22:23], s[24:25], exec
.LBB115_123:
	s_or_b64 exec, exec, s[20:21]
	s_and_b64 s[24:25], s[26:27], exec
	s_and_b64 s[20:21], s[22:23], exec
.LBB115_124:
	s_or_b64 exec, exec, s[18:19]
	s_and_b64 s[22:23], s[24:25], exec
	s_and_b64 s[18:19], s[20:21], exec
.LBB115_125:
	s_or_b64 exec, exec, s[16:17]
	s_and_b64 s[20:21], s[22:23], exec
	s_and_b64 s[16:17], s[18:19], exec
.LBB115_126:
	s_or_b64 exec, exec, s[14:15]
	s_and_b64 s[18:19], s[20:21], exec
	s_and_b64 s[14:15], s[16:17], exec
.LBB115_127:
	s_or_b64 exec, exec, s[12:13]
	s_and_b64 s[16:17], s[18:19], exec
	s_and_b64 s[12:13], s[14:15], exec
.LBB115_128:
	s_or_b64 exec, exec, s[10:11]
	s_and_b64 s[14:15], s[16:17], exec
	s_and_b64 s[10:11], s[12:13], exec
.LBB115_129:
	s_or_b64 exec, exec, s[8:9]
	s_and_b64 s[8:9], s[14:15], exec
	s_and_b64 s[10:11], s[10:11], exec
.LBB115_130:
	s_or_b64 exec, exec, s[6:7]
	s_mov_b64 s[6:7], 0
	s_and_b64 vcc, exec, s[4:5]
	s_cbranch_vccz .LBB115_136
.LBB115_131:
	v_mov_b32_e32 v7, 0
	v_lshl_add_u64 v[2:3], s[66:67], 0, v[6:7]
	v_add_co_u32_e32 v4, vcc, 0x1000, v2
	global_load_dword v1, v6, s[66:67]
	global_load_dword v10, v6, s[66:67] offset:1024
	global_load_dword v11, v6, s[66:67] offset:2048
	;; [unrolled: 1-line block ×3, first 2 shown]
	v_addc_co_u32_e32 v5, vcc, 0, v3, vcc
	v_add_co_u32_e32 v8, vcc, 0x2000, v2
	s_movk_i32 s4, 0x50
	s_nop 0
	v_addc_co_u32_e32 v9, vcc, 0, v3, vcc
	global_load_dword v13, v[4:5], off
	global_load_dword v14, v[4:5], off offset:1024
	global_load_dword v15, v[4:5], off offset:2048
	;; [unrolled: 1-line block ×3, first 2 shown]
	global_load_dword v17, v[8:9], off
	global_load_dword v18, v[8:9], off offset:1024
	global_load_dword v19, v[8:9], off offset:2048
	;; [unrolled: 1-line block ×3, first 2 shown]
	v_add_co_u32_e32 v4, vcc, 0x3000, v2
	s_movk_i32 s5, 0xffb0
	s_nop 0
	v_addc_co_u32_e32 v5, vcc, 0, v3, vcc
	v_add_co_u32_e32 v8, vcc, 0x4000, v2
	s_movk_i32 s10, 0xff
	s_nop 0
	v_addc_co_u32_e32 v9, vcc, 0, v3, vcc
	global_load_dword v21, v[4:5], off
	global_load_dword v22, v[4:5], off offset:1024
	global_load_dword v23, v[4:5], off offset:2048
	global_load_dword v24, v[4:5], off offset:3072
	global_load_dword v25, v[8:9], off
	global_load_dword v26, v[8:9], off offset:1024
	global_load_dword v27, v[8:9], off offset:2048
	;; [unrolled: 1-line block ×3, first 2 shown]
	v_add_co_u32_e32 v2, vcc, 0x5000, v2
	v_mad_u32_u24 v4, v0, s4, v6
	s_nop 0
	v_addc_co_u32_e32 v3, vcc, 0, v3, vcc
	global_load_dword v3, v[2:3], off
	s_movk_i32 s9, 0x1000
	s_movk_i32 s8, 0x2000
	;; [unrolled: 1-line block ×5, first 2 shown]
	v_cmp_ne_u32_e32 vcc, s10, v0
	v_mad_i32_i24 v2, v0, s5, v4
	s_waitcnt vmcnt(19)
	ds_write2st64_b32 v6, v1, v10 offset1:4
	s_waitcnt vmcnt(17)
	ds_write2st64_b32 v6, v11, v12 offset0:8 offset1:12
	s_waitcnt vmcnt(15)
	ds_write2st64_b32 v6, v13, v14 offset0:16 offset1:20
	;; [unrolled: 2-line block ×9, first 2 shown]
	s_waitcnt vmcnt(0)
	ds_write_b32 v6, v3 offset:20480
	s_waitcnt lgkmcnt(0)
	s_barrier
	ds_read_b32 v1, v4
	ds_read2_b32 v[60:61], v4 offset0:1 offset1:2
	ds_read2_b32 v[58:59], v4 offset0:3 offset1:4
	;; [unrolled: 1-line block ×10, first 2 shown]
	s_load_dword s4, s[66:67], 0x5400
	s_waitcnt lgkmcnt(0)
	ds_write_b32 v2, v1 offset:22528
	s_waitcnt lgkmcnt(0)
	s_barrier
	v_mov_b32_e32 v84, s4
	s_and_saveexec_b64 s[4:5], vcc
	s_cbranch_execz .LBB115_133
; %bb.132:
	ds_read_b32 v84, v6 offset:22532
.LBB115_133:
	s_or_b64 exec, exec, s[4:5]
	v_lshlrev_b32_e32 v6, 3, v0
	v_lshl_add_u64 v[4:5], s[64:65], 0, v[6:7]
	v_add_co_u32_e32 v8, vcc, s9, v4
	s_waitcnt lgkmcnt(0)
	s_nop 0
	v_addc_co_u32_e32 v9, vcc, 0, v5, vcc
	v_add_co_u32_e32 v10, vcc, s8, v4
	s_barrier
	s_nop 0
	v_addc_co_u32_e32 v11, vcc, 0, v5, vcc
	global_load_dwordx2 v[12:13], v6, s[64:65]
	global_load_dwordx2 v[14:15], v6, s[64:65] offset:2048
	global_load_dwordx2 v[16:17], v[10:11], off offset:-4096
	v_add_co_u32_e32 v6, vcc, s7, v4
	v_lshl_add_u32 v62, v0, 2, v2
	s_nop 0
	v_addc_co_u32_e32 v7, vcc, 0, v5, vcc
	v_add_co_u32_e32 v18, vcc, s6, v4
	v_cmp_eq_u32_e64 s[4:5], v1, v60
	s_nop 0
	v_addc_co_u32_e32 v19, vcc, 0, v5, vcc
	global_load_dwordx2 v[20:21], v[10:11], off
	global_load_dwordx2 v[22:23], v[10:11], off offset:2048
	global_load_dwordx2 v[24:25], v[18:19], off offset:-4096
	global_load_dwordx2 v[26:27], v[18:19], off
	v_add_co_u32_e32 v10, vcc, s3, v4
	s_movk_i32 s3, 0x6000
	s_nop 0
	v_addc_co_u32_e32 v11, vcc, 0, v5, vcc
	v_add_co_u32_e32 v28, vcc, s3, v4
	s_movk_i32 s3, 0x7000
	s_nop 0
	v_addc_co_u32_e32 v29, vcc, 0, v5, vcc
	global_load_dwordx2 v[30:31], v[18:19], off offset:2048
	global_load_dwordx2 v[32:33], v[28:29], off offset:-4096
	global_load_dwordx2 v[34:35], v[28:29], off
	global_load_dwordx2 v[36:37], v[28:29], off offset:2048
	v_add_co_u32_e32 v18, vcc, s3, v4
	s_mov_b32 s3, 0x8000
	s_nop 0
	v_addc_co_u32_e32 v19, vcc, 0, v5, vcc
	v_add_co_u32_e32 v28, vcc, s3, v4
	s_mov_b32 s3, 0x9000
	s_nop 0
	v_addc_co_u32_e32 v29, vcc, 0, v5, vcc
	global_load_dwordx2 v[38:39], v[8:9], off offset:2048
	global_load_dwordx2 v[40:41], v[6:7], off offset:2048
	;; [unrolled: 1-line block ×4, first 2 shown]
	v_add_co_u32_e32 v6, vcc, s3, v4
	s_mov_b32 s3, 0xa000
	s_nop 0
	v_addc_co_u32_e32 v7, vcc, 0, v5, vcc
	v_add_co_u32_e32 v4, vcc, s3, v4
	s_movk_i32 s3, 0xa0
	s_nop 0
	v_addc_co_u32_e32 v5, vcc, 0, v5, vcc
	global_load_dwordx2 v[8:9], v[28:29], off offset:-4096
	global_load_dwordx2 v[10:11], v[28:29], off
	global_load_dwordx2 v[18:19], v[28:29], off offset:2048
	global_load_dwordx2 v[66:67], v[4:5], off offset:-4096
	global_load_dwordx2 v[68:69], v[6:7], off offset:2048
	global_load_dwordx2 v[70:71], v[4:5], off
	v_mad_u32_u24 v2, v0, s3, v62
	v_cmp_ne_u32_e32 vcc, v1, v60
	s_waitcnt vmcnt(19)
	ds_write2st64_b64 v62, v[12:13], v[14:15] offset1:4
	s_waitcnt vmcnt(9)
	ds_write2st64_b64 v62, v[16:17], v[38:39] offset0:8 offset1:12
	ds_write2st64_b64 v62, v[20:21], v[22:23] offset0:16 offset1:20
	s_waitcnt vmcnt(8)
	ds_write2st64_b64 v62, v[24:25], v[40:41] offset0:24 offset1:28
	ds_write2st64_b64 v62, v[26:27], v[30:31] offset0:32 offset1:36
	;; [unrolled: 3-line block ×3, first 2 shown]
	s_waitcnt vmcnt(5)
	ds_write2st64_b64 v62, v[8:9], v[64:65] offset0:56 offset1:60
	s_waitcnt vmcnt(3)
	ds_write2st64_b64 v62, v[10:11], v[18:19] offset0:64 offset1:68
	;; [unrolled: 2-line block ×3, first 2 shown]
	s_waitcnt vmcnt(0)
	ds_write_b64 v62, v[70:71] offset:40960
	s_waitcnt lgkmcnt(0)
	s_barrier
	ds_read2_b64 v[38:41], v2 offset0:1 offset1:2
	ds_read2_b64 v[34:37], v2 offset0:3 offset1:4
	;; [unrolled: 1-line block ×10, first 2 shown]
	v_mov_b64_e32 v[42:43], s[58:59]
	s_and_saveexec_b64 s[6:7], s[4:5]
	s_cbranch_execz .LBB115_135
; %bb.134:
	v_mul_u32_u24_e32 v1, 0xa0, v0
	v_add_u32_e32 v1, v62, v1
	ds_read_b64 v[42:43], v1
.LBB115_135:
	s_or_b64 exec, exec, s[6:7]
	v_cndmask_b32_e64 v1, 0, 1, vcc
	v_cmp_ne_u32_e32 vcc, v60, v61
	v_cmp_ne_u32_e64 s[38:39], v45, v82
	v_cmp_ne_u32_e64 s[40:41], v82, v83
	v_mov_b32_e32 v82, s59
	v_cmp_ne_u32_e64 s[8:9], v59, v56
	v_cmp_ne_u32_e64 s[36:37], v44, v45
	s_waitcnt lgkmcnt(9)
	v_cndmask_b32_e32 v45, v39, v82, vcc
	v_mov_b32_e32 v39, s58
	v_cmp_ne_u32_e64 s[4:5], v61, v58
	v_cmp_ne_u32_e64 s[6:7], v58, v59
	v_cndmask_b32_e64 v110, 0, 1, s[8:9]
	v_cmp_ne_u32_e64 s[10:11], v56, v57
	v_cmp_ne_u32_e64 s[12:13], v57, v54
	;; [unrolled: 1-line block ×12, first 2 shown]
	s_waitcnt lgkmcnt(8)
	v_cndmask_b32_e64 v53, v37, v82, s[8:9]
	v_cndmask_b32_e64 v52, v36, v39, s[8:9]
	v_cmp_ne_u32_e64 s[8:9], v83, v84
	v_cndmask_b32_e64 v106, 0, 1, vcc
	v_cndmask_b32_e64 v107, 0, 1, s[4:5]
	v_cndmask_b32_e64 v109, 0, 1, s[6:7]
	;; [unrolled: 1-line block ×17, first 2 shown]
	v_cndmask_b32_e32 v44, v38, v39, vcc
	v_cndmask_b32_e64 v49, v41, v82, s[4:5]
	v_cndmask_b32_e64 v48, v40, v39, s[4:5]
	v_cndmask_b32_e64 v51, v35, v82, s[6:7]
	v_cndmask_b32_e64 v50, v34, v39, s[6:7]
	s_waitcnt lgkmcnt(7)
	v_cndmask_b32_e64 v55, v31, v82, s[10:11]
	v_cndmask_b32_e64 v54, v30, v39, s[10:11]
	v_cndmask_b32_e64 v57, v33, v82, s[12:13]
	v_cndmask_b32_e64 v56, v32, v39, s[12:13]
	s_waitcnt lgkmcnt(6)
	;; [unrolled: 5-line block ×8, first 2 shown]
	v_cndmask_b32_e64 v47, v3, v82, s[40:41]
	v_cndmask_b32_e64 v46, v2, v39, s[40:41]
	;; [unrolled: 1-line block ×4, first 2 shown]
	s_mov_b64 s[10:11], -1
                                        ; implicit-def: $sgpr3
                                        ; implicit-def: $sgpr6_sgpr7
.LBB115_136:
	v_mov_b64_e32 v[82:83], s[6:7]
	v_mov_b32_e32 v125, s3
	s_and_saveexec_b64 s[4:5], s[10:11]
; %bb.137:
	v_cndmask_b32_e64 v125, 0, 1, s[8:9]
	v_mov_b64_e32 v[82:83], v[2:3]
; %bb.138:
	s_or_b64 exec, exec, s[4:5]
	v_or_b32_e32 v2, v125, v108
	s_cmp_lg_u32 s2, 0
	v_cmp_lt_u64_e32 vcc, v[42:43], v[44:45]
	v_or_b32_e32 v127, v2, v124
	v_mbcnt_lo_u32_b32 v126, -1, 0
	s_barrier
	s_cbranch_scc0 .LBB115_205
; %bb.139:
	v_mov_b32_e32 v4, 0
	v_cmp_eq_u16_sdwa s[40:41], v106, v4 src0_sel:BYTE_0 src1_sel:DWORD
	s_and_b64 vcc, s[40:41], vcc
	v_cndmask_b32_e32 v3, v45, v43, vcc
	v_cndmask_b32_e32 v2, v44, v42, vcc
	v_cmp_eq_u16_sdwa s[38:39], v107, v4 src0_sel:BYTE_0 src1_sel:DWORD
	v_cmp_lt_u64_e32 vcc, v[2:3], v[48:49]
	s_and_b64 vcc, s[38:39], vcc
	v_cmp_eq_u16_sdwa s[36:37], v109, v4 src0_sel:BYTE_0 src1_sel:DWORD
	v_cndmask_b32_e32 v3, v49, v3, vcc
	v_cndmask_b32_e32 v2, v48, v2, vcc
	v_cmp_lt_u64_e32 vcc, v[2:3], v[50:51]
	s_and_b64 vcc, s[36:37], vcc
	v_cmp_eq_u16_sdwa s[34:35], v110, v4 src0_sel:BYTE_0 src1_sel:DWORD
	v_cndmask_b32_e32 v3, v51, v3, vcc
	v_cndmask_b32_e32 v2, v50, v2, vcc
	;; [unrolled: 5-line block ×13, first 2 shown]
	v_cmp_eq_u16_sdwa s[8:9], v122, v4 src0_sel:BYTE_0 src1_sel:DWORD
	v_cmp_eq_u16_sdwa s[6:7], v123, v4 src0_sel:BYTE_0 src1_sel:DWORD
	;; [unrolled: 1-line block ×5, first 2 shown]
	v_or_b32_e32 v4, v127, v123
	v_cmp_lt_u64_e32 vcc, v[2:3], v[74:75]
	v_or_b32_e32 v4, v4, v122
	s_and_b64 vcc, s[10:11], vcc
	v_or_b32_e32 v4, v4, v121
	v_cndmask_b32_e32 v3, v75, v3, vcc
	v_cndmask_b32_e32 v2, v74, v2, vcc
	v_or_b32_e32 v4, v4, v120
	v_cmp_lt_u64_e32 vcc, v[2:3], v[76:77]
	v_or_b32_e32 v4, v4, v119
	s_and_b64 vcc, s[8:9], vcc
	v_or_b32_e32 v4, v4, v118
	v_cndmask_b32_e32 v3, v77, v3, vcc
	v_cndmask_b32_e32 v2, v76, v2, vcc
	;; [unrolled: 7-line block ×5, first 2 shown]
	v_or_b32_e32 v4, v4, v107
	v_cmp_lt_u64_e32 vcc, v[2:3], v[82:83]
	v_or_b32_e32 v4, v4, v106
	s_and_b64 vcc, s[42:43], vcc
	v_or_b32_e32 v4, v4, v1
	v_mbcnt_hi_u32_b32 v14, -1, v126
	v_cndmask_b32_e32 v3, v83, v3, vcc
	v_cndmask_b32_e32 v2, v82, v2, vcc
	v_and_b32_e32 v8, 1, v4
	v_and_b32_e32 v6, 15, v14
	v_cmp_eq_u32_e32 vcc, 1, v8
	v_mov_b32_dpp v4, v2 row_shr:1 row_mask:0xf bank_mask:0xf
	v_mov_b32_dpp v5, v3 row_shr:1 row_mask:0xf bank_mask:0xf
	;; [unrolled: 1-line block ×3, first 2 shown]
	v_cmp_ne_u32_e64 s[42:43], 0, v6
	v_mov_b32_e32 v7, v8
	s_and_saveexec_b64 s[46:47], s[42:43]
; %bb.140:
	v_and_b32_e32 v7, 1, v9
	v_cmp_lt_u64_e64 s[42:43], v[4:5], v[2:3]
	v_or_b32_e32 v8, v7, v8
	v_and_b32_e32 v7, 0xffff, v8
	v_cndmask_b32_e64 v4, v2, v4, s[42:43]
	v_cndmask_b32_e64 v5, v3, v5, s[42:43]
	v_cndmask_b32_e32 v3, v5, v3, vcc
	v_cndmask_b32_e32 v2, v4, v2, vcc
; %bb.141:
	s_or_b64 exec, exec, s[46:47]
	s_nop 0
	v_mov_b32_dpp v4, v2 row_shr:2 row_mask:0xf bank_mask:0xf
	v_mov_b32_dpp v5, v3 row_shr:2 row_mask:0xf bank_mask:0xf
	v_mov_b32_dpp v9, v7 row_shr:2 row_mask:0xf bank_mask:0xf
	v_cmp_lt_u32_e32 vcc, 1, v6
	s_and_saveexec_b64 s[46:47], vcc
	s_cbranch_execz .LBB115_143
; %bb.142:
	v_and_b32_e32 v7, 1, v8
	v_cmp_eq_u32_e32 vcc, 1, v7
	v_and_b32_e32 v7, 1, v9
	v_cmp_eq_u32_e64 s[42:43], 1, v7
	s_or_b64 s[64:65], vcc, s[42:43]
	v_cmp_eq_u16_e32 vcc, 0, v8
	v_cmp_lt_u64_e64 s[42:43], v[4:5], v[2:3]
	v_cndmask_b32_e64 v9, 0, 1, s[64:65]
	s_and_b64 vcc, vcc, s[42:43]
	v_cndmask_b32_e32 v3, v3, v5, vcc
	v_cndmask_b32_e32 v2, v2, v4, vcc
	v_cndmask_b32_e64 v7, 0, 1, s[64:65]
	v_mov_b32_e32 v8, v9
.LBB115_143:
	s_or_b64 exec, exec, s[46:47]
	v_mov_b32_dpp v4, v2 row_shr:4 row_mask:0xf bank_mask:0xf
	v_mov_b32_dpp v5, v3 row_shr:4 row_mask:0xf bank_mask:0xf
	v_mov_b32_dpp v9, v7 row_shr:4 row_mask:0xf bank_mask:0xf
	v_cmp_lt_u32_e32 vcc, 3, v6
	s_and_saveexec_b64 s[46:47], vcc
	s_cbranch_execz .LBB115_145
; %bb.144:
	v_and_b32_e32 v7, 1, v8
	v_cmp_eq_u32_e32 vcc, 1, v7
	v_and_b32_e32 v7, 1, v9
	v_cmp_eq_u32_e64 s[42:43], 1, v7
	s_or_b64 s[64:65], vcc, s[42:43]
	v_cmp_eq_u16_e32 vcc, 0, v8
	v_cmp_lt_u64_e64 s[42:43], v[4:5], v[2:3]
	v_cndmask_b32_e64 v9, 0, 1, s[64:65]
	s_and_b64 vcc, vcc, s[42:43]
	v_cndmask_b32_e32 v3, v3, v5, vcc
	v_cndmask_b32_e32 v2, v2, v4, vcc
	v_cndmask_b32_e64 v7, 0, 1, s[64:65]
	v_mov_b32_e32 v8, v9
.LBB115_145:
	s_or_b64 exec, exec, s[46:47]
	;; [unrolled: 22-line block ×3, first 2 shown]
	v_and_b32_e32 v9, 16, v14
	v_mov_b32_dpp v4, v2 row_bcast:15 row_mask:0xf bank_mask:0xf
	v_mov_b32_dpp v5, v3 row_bcast:15 row_mask:0xf bank_mask:0xf
	;; [unrolled: 1-line block ×3, first 2 shown]
	v_cmp_ne_u32_e32 vcc, 0, v9
	s_and_saveexec_b64 s[46:47], vcc
	s_cbranch_execz .LBB115_149
; %bb.148:
	v_and_b32_e32 v7, 1, v8
	v_and_b32_e32 v6, 1, v6
	v_cmp_eq_u32_e32 vcc, 1, v7
	v_cmp_eq_u32_e64 s[42:43], 1, v6
	s_or_b64 s[64:65], vcc, s[42:43]
	v_cmp_eq_u16_e32 vcc, 0, v8
	v_cmp_lt_u64_e64 s[42:43], v[4:5], v[2:3]
	v_cndmask_b32_e64 v6, 0, 1, s[64:65]
	s_and_b64 vcc, vcc, s[42:43]
	v_cndmask_b32_e32 v3, v3, v5, vcc
	v_cndmask_b32_e32 v2, v2, v4, vcc
	v_cndmask_b32_e64 v7, 0, 1, s[64:65]
	v_mov_b32_e32 v8, v6
.LBB115_149:
	s_or_b64 exec, exec, s[46:47]
	v_mov_b32_dpp v4, v2 row_bcast:31 row_mask:0xf bank_mask:0xf
	v_mov_b32_dpp v5, v3 row_bcast:31 row_mask:0xf bank_mask:0xf
	;; [unrolled: 1-line block ×3, first 2 shown]
	v_cmp_lt_u32_e32 vcc, 31, v14
	s_and_saveexec_b64 s[46:47], vcc
	s_cbranch_execz .LBB115_151
; %bb.150:
	v_and_b32_e32 v7, 1, v8
	v_and_b32_e32 v6, 1, v6
	v_cmp_eq_u32_e32 vcc, 1, v7
	v_cmp_eq_u32_e64 s[42:43], 1, v6
	s_or_b64 s[42:43], vcc, s[42:43]
	v_cmp_eq_u16_e32 vcc, 0, v8
	v_cndmask_b32_e64 v6, 0, 1, s[42:43]
	v_cmp_lt_u64_e64 s[42:43], v[4:5], v[2:3]
	s_and_b64 vcc, vcc, s[42:43]
	v_cndmask_b32_e32 v3, v3, v5, vcc
	v_cndmask_b32_e32 v2, v2, v4, vcc
	v_mov_b32_e32 v8, v6
.LBB115_151:
	s_or_b64 exec, exec, s[46:47]
	v_or_b32_e32 v4, 63, v0
	v_lshrrev_b32_e32 v9, 6, v0
	v_cmp_eq_u32_e32 vcc, v4, v0
	s_and_saveexec_b64 s[42:43], vcc
	s_cbranch_execz .LBB115_153
; %bb.152:
	v_lshlrev_b32_e32 v4, 4, v9
	ds_write_b64 v4, v[2:3]
	ds_write_b8 v4, v8 offset:8
.LBB115_153:
	s_or_b64 exec, exec, s[42:43]
	v_cmp_gt_u32_e32 vcc, 4, v0
	s_waitcnt lgkmcnt(0)
	s_barrier
	s_and_saveexec_b64 s[46:47], vcc
	s_cbranch_execz .LBB115_159
; %bb.154:
	v_lshlrev_b32_e32 v10, 4, v0
	ds_read_b64 v[4:5], v10
	ds_read_b32 v12, v10 offset:8
	v_and_b32_e32 v13, 3, v14
	v_cmp_ne_u32_e32 vcc, 0, v13
	s_waitcnt lgkmcnt(1)
	v_mov_b32_dpp v6, v4 row_shr:1 row_mask:0xf bank_mask:0xf
	v_mov_b32_dpp v7, v5 row_shr:1 row_mask:0xf bank_mask:0xf
	s_waitcnt lgkmcnt(0)
	v_mov_b32_dpp v16, v12 row_shr:1 row_mask:0xf bank_mask:0xf
	v_mov_b32_e32 v11, v12
	v_mov_b32_e32 v15, v12
	s_and_saveexec_b64 s[42:43], vcc
; %bb.155:
	v_or_b32_e32 v15, v16, v12
	v_mov_b32_e32 v16, 0
	v_cmp_eq_u16_sdwa s[64:65], v12, v16 src0_sel:BYTE_0 src1_sel:DWORD
	v_cmp_lt_u64_e32 vcc, v[6:7], v[4:5]
	v_and_b32_e32 v11, 1, v15
	s_and_b64 vcc, s[64:65], vcc
	v_and_b32_e32 v15, 1, v15
	s_movk_i32 s3, 0xff00
	v_cndmask_b32_e32 v5, v5, v7, vcc
	v_cndmask_b32_e32 v4, v4, v6, vcc
	v_and_or_b32 v12, v12, s3, v15
; %bb.156:
	s_or_b64 exec, exec, s[42:43]
	v_mov_b32_dpp v6, v4 row_shr:2 row_mask:0xf bank_mask:0xf
	v_mov_b32_dpp v7, v5 row_shr:2 row_mask:0xf bank_mask:0xf
	;; [unrolled: 1-line block ×3, first 2 shown]
	v_cmp_lt_u32_e32 vcc, 1, v13
	s_and_saveexec_b64 s[64:65], vcc
	s_cbranch_execz .LBB115_158
; %bb.157:
	v_and_b32_e32 v11, 1, v15
	v_cmp_eq_u32_e32 vcc, 1, v11
	v_and_b32_e32 v11, 1, v12
	v_cmp_eq_u32_e64 s[42:43], 1, v11
	s_or_b64 s[42:43], vcc, s[42:43]
	v_mov_b32_e32 v12, 0
	v_cndmask_b32_e64 v11, 0, 1, s[42:43]
	v_cmp_lt_u64_e32 vcc, v[6:7], v[4:5]
	v_cmp_eq_u16_sdwa s[42:43], v15, v12 src0_sel:BYTE_0 src1_sel:DWORD
	s_nop 0
	v_cndmask_b32_e32 v7, v5, v7, vcc
	s_and_b64 vcc, s[42:43], vcc
	v_cndmask_b32_e64 v5, v5, v7, s[42:43]
	v_cndmask_b32_e32 v4, v4, v6, vcc
.LBB115_158:
	s_or_b64 exec, exec, s[64:65]
	ds_write_b64 v10, v[4:5]
	ds_write_b8 v10, v11 offset:8
.LBB115_159:
	s_or_b64 exec, exec, s[46:47]
	v_cmp_gt_u32_e32 vcc, 64, v0
	v_cmp_lt_u32_e64 s[42:43], 63, v0
	v_mov_b32_e32 v16, 0
	v_mov_b64_e32 v[6:7], 0
	s_waitcnt lgkmcnt(0)
	s_barrier
	s_and_saveexec_b64 s[64:65], s[42:43]
	s_cbranch_execz .LBB115_161
; %bb.160:
	v_lshl_add_u32 v4, v9, 4, -16
	ds_read_b64 v[6:7], v4
	ds_read_u8 v16, v4 offset:8
	v_cmp_eq_u16_e64 s[42:43], 0, v8
	s_waitcnt lgkmcnt(1)
	v_cmp_lt_u64_e64 s[46:47], v[6:7], v[2:3]
	s_waitcnt lgkmcnt(0)
	v_or_b32_e32 v4, v8, v16
	s_and_b64 s[42:43], s[42:43], s[46:47]
	v_cndmask_b32_e64 v2, v2, v6, s[42:43]
	v_cndmask_b32_e64 v3, v3, v7, s[42:43]
	v_and_b32_e32 v8, 1, v4
.LBB115_161:
	s_or_b64 exec, exec, s[64:65]
	v_add_u32_e32 v4, -1, v14
	v_and_b32_e32 v5, 64, v14
	v_cmp_lt_i32_e64 s[42:43], v4, v5
	s_nop 1
	v_cndmask_b32_e64 v4, v4, v14, s[42:43]
	v_lshlrev_b32_e32 v4, 2, v4
	ds_bpermute_b32 v17, v4, v2
	v_and_b32_e32 v2, 0xffff, v8
	ds_bpermute_b32 v18, v4, v3
	ds_bpermute_b32 v19, v4, v2
	v_cmp_eq_u32_e64 s[42:43], 0, v14
	s_and_saveexec_b64 s[64:65], vcc
	s_cbranch_execz .LBB115_204
; %bb.162:
	v_mov_b32_e32 v9, 0
	ds_read2_b64 v[2:5], v9 offset0:6 offset1:7
	s_waitcnt lgkmcnt(0)
	v_readfirstlane_b32 s3, v4
	s_and_saveexec_b64 s[46:47], s[42:43]
	s_cbranch_execz .LBB115_164
; %bb.163:
	s_add_i32 s66, s2, 64
	s_mov_b32 s67, 0
	s_lshl_b64 s[68:69], s[66:67], 4
	s_add_u32 s68, s48, s68
	s_addc_u32 s69, s49, s69
	v_mov_b32_e32 v4, s3
	global_store_dword v9, v2, s[68:69] sc1
	global_store_dword v9, v3, s[68:69] offset:4 sc1
	global_store_dword v9, v4, s[68:69] offset:8 sc1
	;; [unrolled: 1-line block ×3, first 2 shown]
	v_mov_b32_e32 v4, s66
	v_mov_b32_e32 v5, 1
	s_waitcnt vmcnt(0)
	global_store_byte v4, v5, s[52:53] sc1
.LBB115_164:
	s_or_b64 exec, exec, s[46:47]
	v_xad_u32 v4, v14, -1, s2
	v_add_u32_e32 v8, 64, v4
	global_load_ubyte v20, v8, s[52:53] sc1
	s_waitcnt vmcnt(0)
	v_cmp_eq_u16_e32 vcc, 0, v20
	s_and_saveexec_b64 s[46:47], vcc
	s_cbranch_execz .LBB115_168
; %bb.165:
	v_lshl_add_u64 v[10:11], s[52:53], 0, v[8:9]
	s_mov_b64 s[66:67], 0
.LBB115_166:                            ; =>This Inner Loop Header: Depth=1
	global_load_ubyte v20, v[10:11], off sc1
	s_waitcnt vmcnt(0)
	v_cmp_ne_u16_e32 vcc, 0, v20
	s_or_b64 s[66:67], vcc, s[66:67]
	s_andn2_b64 exec, exec, s[66:67]
	s_cbranch_execnz .LBB115_166
; %bb.167:
	s_or_b64 exec, exec, s[66:67]
.LBB115_168:
	s_or_b64 exec, exec, s[46:47]
	v_mov_b32_e32 v5, s51
	v_mov_b32_e32 v10, s49
	v_cmp_eq_u16_e32 vcc, 1, v20
	s_nop 1
	v_cndmask_b32_e32 v11, v5, v10, vcc
	v_mov_b32_e32 v5, s50
	v_mov_b32_e32 v10, s48
	v_cndmask_b32_e32 v10, v5, v10, vcc
	v_lshl_add_u64 v[8:9], v[8:9], 4, v[10:11]
	global_load_dword v12, v[8:9], off sc1
	global_load_dword v13, v[8:9], off offset:4 sc1
	global_load_dword v15, v[8:9], off offset:8 sc1
	global_load_dword v5, v[8:9], off offset:12 sc1
	v_cmp_eq_u16_e32 vcc, 2, v20
	v_lshlrev_b64 v[8:9], v14, -1
	s_waitcnt vmcnt(0)
	v_and_b32_e32 v5, 63, v14
	v_and_b32_e32 v10, vcc_hi, v9
	v_and_b32_e32 v22, vcc_lo, v8
	v_cmp_ne_u32_e32 vcc, 63, v5
	v_or_b32_e32 v10, 0x80000000, v10
	v_ffbl_b32_e32 v10, v10
	v_addc_co_u32_e32 v11, vcc, 0, v14, vcc
	v_lshlrev_b32_e32 v21, 2, v11
	v_add_u32_e32 v24, 32, v10
	v_ffbl_b32_e32 v22, v22
	v_min_u32_e32 v31, v22, v24
	v_add_u32_e32 v22, 1, v14
	v_cmp_le_u32_e32 vcc, v22, v31
	ds_bpermute_b32 v10, v21, v12
	ds_bpermute_b32 v11, v21, v13
	v_and_b32_e32 v33, 0xff, v15
	ds_bpermute_b32 v23, v21, v33
	s_and_saveexec_b64 s[46:47], vcc
	s_cbranch_execz .LBB115_170
; %bb.169:
	v_mov_b32_e32 v24, 0
	v_cmp_eq_u16_sdwa s[66:67], v15, v24 src0_sel:BYTE_0 src1_sel:DWORD
	s_waitcnt lgkmcnt(1)
	v_cmp_lt_u64_e32 vcc, v[10:11], v[12:13]
	s_and_b64 vcc, s[66:67], vcc
	s_nop 0
	v_cndmask_b32_e32 v12, v12, v10, vcc
	s_waitcnt lgkmcnt(0)
	v_or_b32_e32 v10, v23, v15
	v_cndmask_b32_e32 v13, v13, v11, vcc
	v_and_b32_e32 v15, 1, v10
	v_and_b32_e32 v33, 1, v10
.LBB115_170:
	s_or_b64 exec, exec, s[46:47]
	v_cmp_gt_u32_e32 vcc, 62, v5
	v_add_u32_e32 v24, 2, v14
	s_waitcnt lgkmcnt(2)
	v_cndmask_b32_e64 v10, 0, 1, vcc
	v_lshlrev_b32_e32 v10, 1, v10
	s_waitcnt lgkmcnt(0)
	v_add_lshl_u32 v23, v10, v14, 2
	ds_bpermute_b32 v10, v23, v12
	ds_bpermute_b32 v11, v23, v13
	ds_bpermute_b32 v25, v23, v33
	v_cmp_le_u32_e32 vcc, v24, v31
	s_and_saveexec_b64 s[66:67], vcc
	s_cbranch_execz .LBB115_172
; %bb.171:
	v_mov_b32_e32 v26, 0
	v_cmp_eq_u16_sdwa s[46:47], v15, v26 src0_sel:BYTE_0 src1_sel:DWORD
	s_waitcnt lgkmcnt(1)
	v_cmp_lt_u64_e32 vcc, v[10:11], v[12:13]
	s_and_b64 vcc, s[46:47], vcc
	s_nop 0
	v_cndmask_b32_e32 v12, v12, v10, vcc
	v_and_b32_e32 v10, 1, v15
	v_cndmask_b32_e32 v13, v13, v11, vcc
	v_cmp_eq_u32_e32 vcc, 1, v10
	s_waitcnt lgkmcnt(0)
	v_and_b32_e32 v10, 1, v25
	v_cmp_eq_u32_e64 s[46:47], 1, v10
	s_or_b64 s[46:47], vcc, s[46:47]
	s_nop 0
	v_cndmask_b32_e64 v15, 0, 1, s[46:47]
	v_cndmask_b32_e64 v33, 0, 1, s[46:47]
.LBB115_172:
	s_or_b64 exec, exec, s[66:67]
	v_cmp_gt_u32_e32 vcc, 60, v5
	v_add_u32_e32 v26, 4, v14
	s_waitcnt lgkmcnt(2)
	v_cndmask_b32_e64 v10, 0, 1, vcc
	v_lshlrev_b32_e32 v10, 2, v10
	s_waitcnt lgkmcnt(0)
	v_add_lshl_u32 v25, v10, v14, 2
	ds_bpermute_b32 v10, v25, v12
	ds_bpermute_b32 v11, v25, v13
	ds_bpermute_b32 v27, v25, v33
	v_cmp_le_u32_e32 vcc, v26, v31
	s_and_saveexec_b64 s[66:67], vcc
	s_cbranch_execz .LBB115_174
; %bb.173:
	v_mov_b32_e32 v28, 0
	v_cmp_eq_u16_sdwa s[46:47], v15, v28 src0_sel:BYTE_0 src1_sel:DWORD
	s_waitcnt lgkmcnt(1)
	v_cmp_lt_u64_e32 vcc, v[10:11], v[12:13]
	s_and_b64 vcc, s[46:47], vcc
	s_nop 0
	v_cndmask_b32_e32 v12, v12, v10, vcc
	v_and_b32_e32 v10, 1, v15
	v_cndmask_b32_e32 v13, v13, v11, vcc
	v_cmp_eq_u32_e32 vcc, 1, v10
	s_waitcnt lgkmcnt(0)
	v_and_b32_e32 v10, 1, v27
	v_cmp_eq_u32_e64 s[46:47], 1, v10
	s_or_b64 s[46:47], vcc, s[46:47]
	s_nop 0
	v_cndmask_b32_e64 v15, 0, 1, s[46:47]
	v_cndmask_b32_e64 v33, 0, 1, s[46:47]
.LBB115_174:
	;; [unrolled: 33-line block ×4, first 2 shown]
	s_or_b64 exec, exec, s[66:67]
	v_cmp_gt_u32_e32 vcc, 32, v5
	s_nop 1
	v_cndmask_b32_e64 v5, 0, 1, vcc
	v_lshlrev_b32_e32 v5, 5, v5
	s_waitcnt lgkmcnt(0)
	v_add_lshl_u32 v32, v5, v14, 2
	ds_bpermute_b32 v10, v32, v12
	ds_bpermute_b32 v11, v32, v13
	;; [unrolled: 1-line block ×3, first 2 shown]
	v_add_u32_e32 v33, 32, v14
	v_cmp_le_u32_e32 vcc, v33, v31
	s_and_saveexec_b64 s[66:67], vcc
	s_cbranch_execz .LBB115_180
; %bb.179:
	v_mov_b32_e32 v14, 0
	s_waitcnt lgkmcnt(1)
	v_cmp_lt_u64_e32 vcc, v[10:11], v[12:13]
	v_cmp_eq_u16_sdwa s[46:47], v15, v14 src0_sel:BYTE_0 src1_sel:DWORD
	s_waitcnt lgkmcnt(0)
	v_and_b32_e32 v5, 1, v5
	v_cndmask_b32_e32 v11, v13, v11, vcc
	s_and_b64 vcc, s[46:47], vcc
	v_cndmask_b32_e32 v12, v12, v10, vcc
	v_and_b32_e32 v10, 1, v15
	v_cndmask_b32_e64 v13, v13, v11, s[46:47]
	v_cmp_eq_u32_e32 vcc, 1, v10
	v_cmp_eq_u32_e64 s[46:47], 1, v5
	s_or_b64 s[46:47], vcc, s[46:47]
	s_nop 0
	v_cndmask_b32_e64 v15, 0, 1, s[46:47]
.LBB115_180:
	s_or_b64 exec, exec, s[66:67]
	s_waitcnt lgkmcnt(0)
	v_mov_b32_e32 v5, 0
	v_mov_b32_e32 v34, 2
	s_branch .LBB115_182
.LBB115_181:                            ;   in Loop: Header=BB115_182 Depth=1
	s_or_b64 exec, exec, s[68:69]
	v_cmp_lt_u64_e32 vcc, v[12:13], v[10:11]
	v_cmp_eq_u16_sdwa s[46:47], v31, v5 src0_sel:BYTE_0 src1_sel:DWORD
	s_waitcnt lgkmcnt(2)
	v_and_b32_e32 v14, 1, v31
	v_cndmask_b32_e32 v13, v11, v13, vcc
	s_and_b64 vcc, s[46:47], vcc
	v_cndmask_b32_e32 v12, v10, v12, vcc
	v_cmp_eq_u32_e32 vcc, 1, v14
	v_cndmask_b32_e64 v13, v11, v13, s[46:47]
	s_or_b64 s[46:47], vcc, s[66:67]
	v_subrev_u32_e32 v4, 64, v4
	s_waitcnt lgkmcnt(1)
	v_cndmask_b32_e64 v15, 0, 1, s[46:47]
.LBB115_182:                            ; =>This Loop Header: Depth=1
                                        ;     Child Loop BB115_185 Depth 2
	v_cmp_ne_u16_sdwa s[46:47], v20, v34 src0_sel:BYTE_0 src1_sel:DWORD
	v_mov_b32_e32 v31, v15
	s_nop 0
	v_cndmask_b32_e64 v10, 0, 1, s[46:47]
	;;#ASMSTART
	;;#ASMEND
	s_nop 0
	v_cmp_ne_u32_e32 vcc, 0, v10
	s_cmp_lg_u64 vcc, exec
	v_mov_b64_e32 v[10:11], v[12:13]
	s_cbranch_scc1 .LBB115_199
; %bb.183:                              ;   in Loop: Header=BB115_182 Depth=1
	global_load_ubyte v20, v4, s[52:53] sc1
	s_waitcnt vmcnt(0)
	v_cmp_eq_u16_e32 vcc, 0, v20
	s_and_saveexec_b64 s[46:47], vcc
	s_cbranch_execz .LBB115_187
; %bb.184:                              ;   in Loop: Header=BB115_182 Depth=1
	v_lshl_add_u64 v[12:13], s[52:53], 0, v[4:5]
	s_mov_b64 s[66:67], 0
.LBB115_185:                            ;   Parent Loop BB115_182 Depth=1
                                        ; =>  This Inner Loop Header: Depth=2
	global_load_ubyte v20, v[12:13], off sc1
	s_waitcnt vmcnt(0)
	v_cmp_ne_u16_e32 vcc, 0, v20
	s_or_b64 s[66:67], vcc, s[66:67]
	s_andn2_b64 exec, exec, s[66:67]
	s_cbranch_execnz .LBB115_185
; %bb.186:                              ;   in Loop: Header=BB115_182 Depth=1
	s_or_b64 exec, exec, s[66:67]
.LBB115_187:                            ;   in Loop: Header=BB115_182 Depth=1
	s_or_b64 exec, exec, s[46:47]
	v_mov_b32_e32 v12, s51
	v_mov_b32_e32 v13, s49
	v_cmp_eq_u16_e32 vcc, 1, v20
	v_mov_b32_e32 v14, s48
	s_nop 0
	v_cndmask_b32_e32 v13, v12, v13, vcc
	v_mov_b32_e32 v12, s50
	v_cndmask_b32_e32 v12, v12, v14, vcc
	v_lshl_add_u64 v[14:15], v[4:5], 4, v[12:13]
	global_load_dword v12, v[14:15], off sc1
	global_load_dword v13, v[14:15], off offset:4 sc1
	global_load_dword v38, v[14:15], off offset:8 sc1
	s_nop 0
	global_load_dword v14, v[14:15], off offset:12 sc1
	v_cmp_eq_u16_e32 vcc, 2, v20
	s_waitcnt vmcnt(2)
	ds_bpermute_b32 v15, v21, v13
	s_waitcnt vmcnt(0)
	v_and_b32_e32 v14, vcc_hi, v9
	v_or_b32_e32 v14, 0x80000000, v14
	v_ffbl_b32_e32 v14, v14
	s_waitcnt lgkmcnt(1)
	v_and_b32_e32 v37, 0xff, v38
	v_add_u32_e32 v36, 32, v14
	ds_bpermute_b32 v14, v21, v12
	ds_bpermute_b32 v39, v21, v37
	v_and_b32_e32 v35, vcc_lo, v8
	v_ffbl_b32_e32 v35, v35
	v_min_u32_e32 v35, v35, v36
	v_cmp_le_u32_e32 vcc, v22, v35
	v_mov_b32_e32 v36, v38
	s_and_saveexec_b64 s[46:47], vcc
	s_cbranch_execz .LBB115_189
; %bb.188:                              ;   in Loop: Header=BB115_182 Depth=1
	v_cmp_eq_u16_sdwa s[66:67], v38, v5 src0_sel:BYTE_0 src1_sel:DWORD
	s_waitcnt lgkmcnt(1)
	v_cmp_lt_u64_e32 vcc, v[14:15], v[12:13]
	s_and_b64 vcc, s[66:67], vcc
	s_waitcnt lgkmcnt(0)
	v_or_b32_e32 v38, v39, v38
	v_cndmask_b32_e32 v13, v13, v15, vcc
	v_cndmask_b32_e32 v12, v12, v14, vcc
	v_and_b32_e32 v36, 1, v38
	v_and_b32_e32 v37, 1, v38
.LBB115_189:                            ;   in Loop: Header=BB115_182 Depth=1
	s_or_b64 exec, exec, s[46:47]
	s_waitcnt lgkmcnt(1)
	ds_bpermute_b32 v14, v23, v12
	ds_bpermute_b32 v15, v23, v13
	s_waitcnt lgkmcnt(2)
	ds_bpermute_b32 v39, v23, v37
	v_and_b32_e32 v38, 1, v38
	v_cmp_eq_u32_e64 s[66:67], 1, v38
	v_cmp_le_u32_e32 vcc, v24, v35
	s_and_saveexec_b64 s[68:69], vcc
	s_cbranch_execz .LBB115_191
; %bb.190:                              ;   in Loop: Header=BB115_182 Depth=1
	v_cmp_eq_u16_sdwa s[46:47], v36, v5 src0_sel:BYTE_0 src1_sel:DWORD
	s_waitcnt lgkmcnt(1)
	v_cmp_lt_u64_e32 vcc, v[14:15], v[12:13]
	s_and_b64 vcc, s[46:47], vcc
	s_andn2_b64 s[66:67], s[66:67], exec
	v_cndmask_b32_e32 v12, v12, v14, vcc
	v_and_b32_e32 v14, 1, v36
	v_cndmask_b32_e32 v13, v13, v15, vcc
	v_cmp_eq_u32_e32 vcc, 1, v14
	s_waitcnt lgkmcnt(0)
	v_and_b32_e32 v14, 1, v39
	v_cmp_eq_u32_e64 s[46:47], 1, v14
	s_or_b64 s[46:47], vcc, s[46:47]
	s_nop 0
	v_cndmask_b32_e64 v36, 0, 1, s[46:47]
	v_cndmask_b32_e64 v37, 0, 1, s[46:47]
	s_and_b64 s[46:47], s[46:47], exec
	s_or_b64 s[66:67], s[66:67], s[46:47]
.LBB115_191:                            ;   in Loop: Header=BB115_182 Depth=1
	s_or_b64 exec, exec, s[68:69]
	s_waitcnt lgkmcnt(2)
	ds_bpermute_b32 v14, v25, v12
	s_waitcnt lgkmcnt(2)
	ds_bpermute_b32 v15, v25, v13
	ds_bpermute_b32 v38, v25, v37
	v_cmp_le_u32_e32 vcc, v26, v35
	s_and_saveexec_b64 s[68:69], vcc
	s_cbranch_execz .LBB115_193
; %bb.192:                              ;   in Loop: Header=BB115_182 Depth=1
	v_cmp_eq_u16_sdwa s[46:47], v36, v5 src0_sel:BYTE_0 src1_sel:DWORD
	s_waitcnt lgkmcnt(1)
	v_cmp_lt_u64_e32 vcc, v[14:15], v[12:13]
	s_and_b64 vcc, s[46:47], vcc
	s_andn2_b64 s[66:67], s[66:67], exec
	v_cndmask_b32_e32 v12, v12, v14, vcc
	v_and_b32_e32 v14, 1, v36
	v_cndmask_b32_e32 v13, v13, v15, vcc
	v_cmp_eq_u32_e32 vcc, 1, v14
	s_waitcnt lgkmcnt(0)
	v_and_b32_e32 v14, 1, v38
	v_cmp_eq_u32_e64 s[46:47], 1, v14
	s_or_b64 s[46:47], vcc, s[46:47]
	s_nop 0
	v_cndmask_b32_e64 v36, 0, 1, s[46:47]
	v_cndmask_b32_e64 v37, 0, 1, s[46:47]
	s_and_b64 s[46:47], s[46:47], exec
	s_or_b64 s[66:67], s[66:67], s[46:47]
.LBB115_193:                            ;   in Loop: Header=BB115_182 Depth=1
	s_or_b64 exec, exec, s[68:69]
	s_waitcnt lgkmcnt(2)
	ds_bpermute_b32 v14, v27, v12
	s_waitcnt lgkmcnt(2)
	ds_bpermute_b32 v15, v27, v13
	;; [unrolled: 2-line block ×3, first 2 shown]
	v_cmp_le_u32_e32 vcc, v28, v35
	s_and_saveexec_b64 s[68:69], vcc
	s_cbranch_execz .LBB115_195
; %bb.194:                              ;   in Loop: Header=BB115_182 Depth=1
	v_cmp_eq_u16_sdwa s[46:47], v36, v5 src0_sel:BYTE_0 src1_sel:DWORD
	s_waitcnt lgkmcnt(1)
	v_cmp_lt_u64_e32 vcc, v[14:15], v[12:13]
	s_and_b64 vcc, s[46:47], vcc
	s_andn2_b64 s[66:67], s[66:67], exec
	v_cndmask_b32_e32 v12, v12, v14, vcc
	v_and_b32_e32 v14, 1, v36
	v_cndmask_b32_e32 v13, v13, v15, vcc
	v_cmp_eq_u32_e32 vcc, 1, v14
	s_waitcnt lgkmcnt(0)
	v_and_b32_e32 v14, 1, v38
	v_cmp_eq_u32_e64 s[46:47], 1, v14
	s_or_b64 s[46:47], vcc, s[46:47]
	s_nop 0
	v_cndmask_b32_e64 v36, 0, 1, s[46:47]
	v_cndmask_b32_e64 v37, 0, 1, s[46:47]
	s_and_b64 s[46:47], s[46:47], exec
	s_or_b64 s[66:67], s[66:67], s[46:47]
.LBB115_195:                            ;   in Loop: Header=BB115_182 Depth=1
	s_or_b64 exec, exec, s[68:69]
	s_waitcnt lgkmcnt(2)
	ds_bpermute_b32 v14, v29, v12
	s_waitcnt lgkmcnt(2)
	ds_bpermute_b32 v15, v29, v13
	;; [unrolled: 2-line block ×3, first 2 shown]
	v_cmp_le_u32_e32 vcc, v30, v35
	s_and_saveexec_b64 s[68:69], vcc
	s_cbranch_execz .LBB115_197
; %bb.196:                              ;   in Loop: Header=BB115_182 Depth=1
	v_cmp_eq_u16_sdwa s[46:47], v36, v5 src0_sel:BYTE_0 src1_sel:DWORD
	s_waitcnt lgkmcnt(1)
	v_cmp_lt_u64_e32 vcc, v[14:15], v[12:13]
	s_and_b64 vcc, s[46:47], vcc
	s_andn2_b64 s[66:67], s[66:67], exec
	v_cndmask_b32_e32 v12, v12, v14, vcc
	v_and_b32_e32 v14, 1, v36
	v_cndmask_b32_e32 v13, v13, v15, vcc
	v_cmp_eq_u32_e32 vcc, 1, v14
	s_waitcnt lgkmcnt(0)
	v_and_b32_e32 v14, 1, v38
	v_cmp_eq_u32_e64 s[46:47], 1, v14
	s_or_b64 s[46:47], vcc, s[46:47]
	s_nop 0
	v_cndmask_b32_e64 v36, 0, 1, s[46:47]
	v_cndmask_b32_e64 v37, 0, 1, s[46:47]
	s_and_b64 s[46:47], s[46:47], exec
	s_or_b64 s[66:67], s[66:67], s[46:47]
.LBB115_197:                            ;   in Loop: Header=BB115_182 Depth=1
	s_or_b64 exec, exec, s[68:69]
	s_waitcnt lgkmcnt(2)
	ds_bpermute_b32 v14, v32, v12
	s_waitcnt lgkmcnt(2)
	ds_bpermute_b32 v15, v32, v13
	ds_bpermute_b32 v37, v32, v37
	v_cmp_le_u32_e32 vcc, v33, v35
	s_and_saveexec_b64 s[68:69], vcc
	s_cbranch_execz .LBB115_181
; %bb.198:                              ;   in Loop: Header=BB115_182 Depth=1
	s_waitcnt lgkmcnt(1)
	v_cmp_lt_u64_e32 vcc, v[14:15], v[12:13]
	v_cmp_eq_u16_sdwa s[46:47], v36, v5 src0_sel:BYTE_0 src1_sel:DWORD
	s_andn2_b64 s[66:67], s[66:67], exec
	v_cndmask_b32_e32 v15, v13, v15, vcc
	s_and_b64 vcc, s[46:47], vcc
	v_cndmask_b32_e32 v12, v12, v14, vcc
	v_and_b32_e32 v14, 1, v36
	v_cmp_eq_u32_e32 vcc, 1, v14
	s_waitcnt lgkmcnt(0)
	v_and_b32_e32 v14, 1, v37
	v_cndmask_b32_e64 v13, v13, v15, s[46:47]
	v_cmp_eq_u32_e64 s[46:47], 1, v14
	s_or_b64 s[46:47], vcc, s[46:47]
	s_and_b64 s[46:47], s[46:47], exec
	s_or_b64 s[66:67], s[66:67], s[46:47]
	s_branch .LBB115_181
.LBB115_199:                            ;   in Loop: Header=BB115_182 Depth=1
                                        ; implicit-def: $vgpr15
                                        ; implicit-def: $vgpr12_vgpr13
                                        ; implicit-def: $vgpr20
	s_cbranch_execz .LBB115_182
; %bb.200:
	s_and_saveexec_b64 s[46:47], s[42:43]
	s_cbranch_execz .LBB115_202
; %bb.201:
	s_and_b32 s48, s3, 0xff
	s_cmp_eq_u32 s48, 0
	s_cselect_b64 s[66:67], -1, 0
	v_cmp_lt_u64_e32 vcc, v[10:11], v[2:3]
	s_and_b64 vcc, s[66:67], vcc
	s_bitcmp1_b32 s3, 0
	s_mov_b32 s49, 0
	s_cselect_b64 s[66:67], -1, 0
	s_add_i32 s48, s2, 64
	s_lshl_b64 s[2:3], s[48:49], 4
	s_add_u32 s2, s50, s2
	v_cndmask_b32_e32 v3, v3, v11, vcc
	v_cndmask_b32_e32 v2, v2, v10, vcc
	v_and_b32_e32 v4, 1, v31
	s_addc_u32 s3, s51, s3
	v_mov_b32_e32 v5, 0
	v_cndmask_b32_e64 v4, v4, 1, s[66:67]
	global_store_dword v5, v2, s[2:3] sc1
	global_store_dword v5, v3, s[2:3] offset:4 sc1
	global_store_dword v5, v4, s[2:3] offset:8 sc1
	;; [unrolled: 1-line block ×3, first 2 shown]
	v_mov_b32_e32 v2, s48
	v_mov_b32_e32 v3, 2
	s_waitcnt vmcnt(0) lgkmcnt(0)
	global_store_byte v2, v3, s[52:53] sc1
.LBB115_202:
	s_or_b64 exec, exec, s[46:47]
	v_cmp_eq_u32_e32 vcc, 0, v0
	s_and_b64 exec, exec, vcc
	s_cbranch_execz .LBB115_204
; %bb.203:
	v_mov_b32_e32 v2, 0
	ds_write_b64 v2, v[10:11] offset:48
	ds_write_b8 v2, v31 offset:56
.LBB115_204:
	s_or_b64 exec, exec, s[64:65]
	v_mov_b32_e32 v8, 0
	s_waitcnt lgkmcnt(0)
	s_barrier
	ds_read_b64 v[2:3], v8 offset:48
	v_cndmask_b32_e64 v9, v19, v16, s[42:43]
	v_cndmask_b32_e64 v4, v17, v6, s[42:43]
	;; [unrolled: 1-line block ×3, first 2 shown]
	v_cmp_eq_u16_sdwa s[2:3], v9, v8 src0_sel:BYTE_0 src1_sel:DWORD
	s_waitcnt lgkmcnt(0)
	v_cmp_lt_u64_e32 vcc, v[2:3], v[4:5]
	s_and_b64 vcc, s[2:3], vcc
	v_cmp_eq_u32_e64 s[2:3], 0, v0
	v_cndmask_b32_e32 v5, v5, v3, vcc
	s_or_b64 vcc, s[2:3], vcc
	v_cndmask_b32_e64 v85, v5, v3, s[2:3]
	v_cndmask_b32_e32 v84, v4, v2, vcc
	v_cmp_lt_u64_e32 vcc, v[84:85], v[42:43]
	v_cmp_eq_u16_sdwa s[2:3], v1, v8 src0_sel:BYTE_0 src1_sel:DWORD
	s_nop 0
	v_cndmask_b32_e32 v2, v43, v85, vcc
	s_and_b64 vcc, s[2:3], vcc
	v_cndmask_b32_e64 v5, v43, v2, s[2:3]
	v_cndmask_b32_e32 v4, v42, v84, vcc
	v_cmp_lt_u64_e32 vcc, v[4:5], v[44:45]
	s_nop 1
	v_cndmask_b32_e32 v2, v45, v5, vcc
	s_and_b64 vcc, s[40:41], vcc
	v_cndmask_b32_e64 v7, v45, v2, s[40:41]
	v_cndmask_b32_e32 v6, v44, v4, vcc
	v_cmp_lt_u64_e32 vcc, v[6:7], v[48:49]
	;; [unrolled: 6-line block ×19, first 2 shown]
	s_nop 1
	v_cndmask_b32_e32 v2, v47, v103, vcc
	s_and_b64 vcc, s[44:45], vcc
	v_cndmask_b32_e64 v105, v47, v2, s[44:45]
	v_cndmask_b32_e32 v104, v46, v102, vcc
	s_branch .LBB115_233
.LBB115_205:
                                        ; implicit-def: $vgpr84_vgpr85
                                        ; implicit-def: $vgpr104_vgpr105
                                        ; implicit-def: $vgpr102_vgpr103
                                        ; implicit-def: $vgpr100_vgpr101
                                        ; implicit-def: $vgpr98_vgpr99
                                        ; implicit-def: $vgpr96_vgpr97
                                        ; implicit-def: $vgpr94_vgpr95
                                        ; implicit-def: $vgpr92_vgpr93
                                        ; implicit-def: $vgpr90_vgpr91
                                        ; implicit-def: $vgpr88_vgpr89
                                        ; implicit-def: $vgpr86_vgpr87
                                        ; implicit-def: $vgpr38_vgpr39_vgpr40_vgpr41
                                        ; implicit-def: $vgpr34_vgpr35_vgpr36_vgpr37
                                        ; implicit-def: $vgpr30_vgpr31_vgpr32_vgpr33
                                        ; implicit-def: $vgpr26_vgpr27_vgpr28_vgpr29
                                        ; implicit-def: $vgpr22_vgpr23_vgpr24_vgpr25
                                        ; implicit-def: $vgpr18_vgpr19_vgpr20_vgpr21
                                        ; implicit-def: $vgpr14_vgpr15_vgpr16_vgpr17
                                        ; implicit-def: $vgpr10_vgpr11_vgpr12_vgpr13
                                        ; implicit-def: $vgpr6_vgpr7_vgpr8_vgpr9
                                        ; implicit-def: $vgpr2_vgpr3_vgpr4_vgpr5
	s_cbranch_execz .LBB115_233
; %bb.206:
	s_cmp_eq_u64 s[62:63], 0
	s_cbranch_scc1 .LBB115_208
; %bb.207:
	s_load_dwordx2 s[58:59], s[62:63], 0x0
.LBB115_208:
	v_mov_b32_e32 v4, 0
	v_cmp_eq_u16_sdwa vcc, v106, v4 src0_sel:BYTE_0 src1_sel:DWORD
	v_cmp_lt_u64_e64 s[2:3], v[42:43], v[44:45]
	s_and_b64 s[2:3], vcc, s[2:3]
	v_cmp_eq_u16_sdwa s[42:43], v125, v4 src0_sel:BYTE_0 src1_sel:DWORD
	v_cndmask_b32_e64 v3, v45, v43, s[2:3]
	v_cndmask_b32_e64 v2, v44, v42, s[2:3]
	v_cmp_eq_u16_sdwa s[2:3], v107, v4 src0_sel:BYTE_0 src1_sel:DWORD
	v_cmp_lt_u64_e64 s[4:5], v[2:3], v[48:49]
	s_and_b64 s[4:5], s[2:3], s[4:5]
	v_mbcnt_hi_u32_b32 v8, -1, v126
	v_cndmask_b32_e64 v3, v49, v3, s[4:5]
	v_cndmask_b32_e64 v2, v48, v2, s[4:5]
	v_cmp_eq_u16_sdwa s[4:5], v109, v4 src0_sel:BYTE_0 src1_sel:DWORD
	v_cmp_lt_u64_e64 s[6:7], v[2:3], v[50:51]
	s_and_b64 s[6:7], s[4:5], s[6:7]
	v_and_b32_e32 v6, 15, v8
	v_cndmask_b32_e64 v3, v51, v3, s[6:7]
	v_cndmask_b32_e64 v2, v50, v2, s[6:7]
	v_cmp_eq_u16_sdwa s[6:7], v110, v4 src0_sel:BYTE_0 src1_sel:DWORD
	v_cmp_lt_u64_e64 s[8:9], v[2:3], v[52:53]
	s_and_b64 s[8:9], s[6:7], s[8:9]
	s_nop 0
	v_cndmask_b32_e64 v3, v53, v3, s[8:9]
	v_cndmask_b32_e64 v2, v52, v2, s[8:9]
	v_cmp_eq_u16_sdwa s[8:9], v111, v4 src0_sel:BYTE_0 src1_sel:DWORD
	v_cmp_lt_u64_e64 s[10:11], v[2:3], v[54:55]
	s_and_b64 s[10:11], s[8:9], s[10:11]
	s_nop 0
	;; [unrolled: 6-line block ×15, first 2 shown]
	v_cndmask_b32_e64 v3, v81, v3, s[38:39]
	v_cndmask_b32_e64 v2, v80, v2, s[38:39]
	v_cmp_eq_u16_sdwa s[38:39], v108, v4 src0_sel:BYTE_0 src1_sel:DWORD
	v_or_b32_e32 v4, v127, v123
	v_or_b32_e32 v4, v4, v122
	;; [unrolled: 1-line block ×13, first 2 shown]
	v_cmp_lt_u64_e64 s[40:41], v[2:3], v[46:47]
	v_or_b32_e32 v4, v4, v110
	s_and_b64 s[40:41], s[38:39], s[40:41]
	v_or_b32_e32 v4, v4, v109
	v_cndmask_b32_e64 v3, v47, v3, s[40:41]
	v_cndmask_b32_e64 v2, v46, v2, s[40:41]
	v_or_b32_e32 v4, v4, v107
	v_cmp_lt_u64_e64 s[40:41], v[2:3], v[82:83]
	v_or_b32_e32 v4, v4, v106
	s_and_b64 s[40:41], s[42:43], s[40:41]
	v_or_b32_e32 v4, v4, v1
	v_cndmask_b32_e64 v3, v83, v3, s[40:41]
	v_cndmask_b32_e64 v2, v82, v2, s[40:41]
	v_and_b32_e32 v9, 1, v4
	v_cmp_eq_u32_e64 s[40:41], 1, v9
	v_mov_b32_dpp v4, v2 row_shr:1 row_mask:0xf bank_mask:0xf
	v_mov_b32_dpp v5, v3 row_shr:1 row_mask:0xf bank_mask:0xf
	;; [unrolled: 1-line block ×3, first 2 shown]
	v_cmp_ne_u32_e64 s[42:43], 0, v6
	v_mov_b32_e32 v7, v9
	s_and_saveexec_b64 s[44:45], s[42:43]
; %bb.209:
	v_and_b32_e32 v7, 1, v10
	v_cmp_lt_u64_e64 s[42:43], v[4:5], v[2:3]
	v_or_b32_e32 v9, v7, v9
	v_and_b32_e32 v7, 0xffff, v9
	v_cndmask_b32_e64 v4, v2, v4, s[42:43]
	v_cndmask_b32_e64 v5, v3, v5, s[42:43]
	;; [unrolled: 1-line block ×4, first 2 shown]
; %bb.210:
	s_or_b64 exec, exec, s[44:45]
	s_nop 0
	v_mov_b32_dpp v4, v2 row_shr:2 row_mask:0xf bank_mask:0xf
	v_mov_b32_dpp v5, v3 row_shr:2 row_mask:0xf bank_mask:0xf
	v_mov_b32_dpp v10, v7 row_shr:2 row_mask:0xf bank_mask:0xf
	v_cmp_lt_u32_e64 s[40:41], 1, v6
	s_and_saveexec_b64 s[44:45], s[40:41]
	s_cbranch_execz .LBB115_212
; %bb.211:
	v_and_b32_e32 v7, 1, v9
	v_cmp_eq_u32_e64 s[40:41], 1, v7
	v_and_b32_e32 v7, 1, v10
	v_cmp_eq_u32_e64 s[42:43], 1, v7
	s_or_b64 s[46:47], s[40:41], s[42:43]
	v_cmp_eq_u16_e64 s[40:41], 0, v9
	v_cmp_lt_u64_e64 s[42:43], v[4:5], v[2:3]
	v_cndmask_b32_e64 v10, 0, 1, s[46:47]
	s_and_b64 s[40:41], s[40:41], s[42:43]
	v_cndmask_b32_e64 v3, v3, v5, s[40:41]
	v_cndmask_b32_e64 v2, v2, v4, s[40:41]
	v_cndmask_b32_e64 v7, 0, 1, s[46:47]
	v_mov_b32_e32 v9, v10
.LBB115_212:
	s_or_b64 exec, exec, s[44:45]
	v_mov_b32_dpp v4, v2 row_shr:4 row_mask:0xf bank_mask:0xf
	v_mov_b32_dpp v5, v3 row_shr:4 row_mask:0xf bank_mask:0xf
	v_mov_b32_dpp v10, v7 row_shr:4 row_mask:0xf bank_mask:0xf
	v_cmp_lt_u32_e64 s[40:41], 3, v6
	s_and_saveexec_b64 s[44:45], s[40:41]
	s_cbranch_execz .LBB115_214
; %bb.213:
	v_and_b32_e32 v7, 1, v9
	v_cmp_eq_u32_e64 s[40:41], 1, v7
	v_and_b32_e32 v7, 1, v10
	v_cmp_eq_u32_e64 s[42:43], 1, v7
	s_or_b64 s[46:47], s[40:41], s[42:43]
	v_cmp_eq_u16_e64 s[40:41], 0, v9
	v_cmp_lt_u64_e64 s[42:43], v[4:5], v[2:3]
	v_cndmask_b32_e64 v10, 0, 1, s[46:47]
	s_and_b64 s[40:41], s[40:41], s[42:43]
	v_cndmask_b32_e64 v3, v3, v5, s[40:41]
	v_cndmask_b32_e64 v2, v2, v4, s[40:41]
	v_cndmask_b32_e64 v7, 0, 1, s[46:47]
	v_mov_b32_e32 v9, v10
.LBB115_214:
	s_or_b64 exec, exec, s[44:45]
	;; [unrolled: 22-line block ×3, first 2 shown]
	v_and_b32_e32 v10, 16, v8
	v_mov_b32_dpp v4, v2 row_bcast:15 row_mask:0xf bank_mask:0xf
	v_mov_b32_dpp v5, v3 row_bcast:15 row_mask:0xf bank_mask:0xf
	;; [unrolled: 1-line block ×3, first 2 shown]
	v_cmp_ne_u32_e64 s[40:41], 0, v10
	s_and_saveexec_b64 s[44:45], s[40:41]
	s_cbranch_execz .LBB115_218
; %bb.217:
	v_and_b32_e32 v7, 1, v9
	v_and_b32_e32 v6, 1, v6
	v_cmp_eq_u32_e64 s[40:41], 1, v7
	v_cmp_eq_u32_e64 s[42:43], 1, v6
	s_or_b64 s[46:47], s[40:41], s[42:43]
	v_cmp_eq_u16_e64 s[40:41], 0, v9
	v_cmp_lt_u64_e64 s[42:43], v[4:5], v[2:3]
	v_cndmask_b32_e64 v6, 0, 1, s[46:47]
	s_and_b64 s[40:41], s[40:41], s[42:43]
	v_cndmask_b32_e64 v3, v3, v5, s[40:41]
	v_cndmask_b32_e64 v2, v2, v4, s[40:41]
	;; [unrolled: 1-line block ×3, first 2 shown]
	v_mov_b32_e32 v9, v6
.LBB115_218:
	s_or_b64 exec, exec, s[44:45]
	v_mov_b32_dpp v4, v2 row_bcast:31 row_mask:0xf bank_mask:0xf
	v_mov_b32_dpp v5, v3 row_bcast:31 row_mask:0xf bank_mask:0xf
	;; [unrolled: 1-line block ×3, first 2 shown]
	v_cmp_lt_u32_e64 s[40:41], 31, v8
	s_and_saveexec_b64 s[44:45], s[40:41]
	s_cbranch_execz .LBB115_220
; %bb.219:
	v_and_b32_e32 v7, 1, v9
	v_and_b32_e32 v6, 1, v6
	v_cmp_eq_u32_e64 s[40:41], 1, v7
	v_cmp_eq_u32_e64 s[42:43], 1, v6
	s_or_b64 s[40:41], s[40:41], s[42:43]
	v_cndmask_b32_e64 v6, 0, 1, s[40:41]
	v_cmp_lt_u64_e64 s[40:41], v[4:5], v[2:3]
	v_cmp_eq_u16_e64 s[42:43], 0, v9
	v_mov_b32_e32 v9, v6
	v_cndmask_b32_e64 v5, v3, v5, s[40:41]
	s_and_b64 s[40:41], s[42:43], s[40:41]
	v_cndmask_b32_e64 v3, v3, v5, s[42:43]
	v_cndmask_b32_e64 v2, v2, v4, s[40:41]
.LBB115_220:
	s_or_b64 exec, exec, s[44:45]
	v_or_b32_e32 v4, 63, v0
	v_lshrrev_b32_e32 v10, 6, v0
	v_cmp_eq_u32_e64 s[40:41], v4, v0
	s_and_saveexec_b64 s[42:43], s[40:41]
	s_cbranch_execz .LBB115_222
; %bb.221:
	v_lshlrev_b32_e32 v4, 4, v10
	ds_write_b64 v4, v[2:3]
	ds_write_b8 v4, v9 offset:8
.LBB115_222:
	s_or_b64 exec, exec, s[42:43]
	v_cmp_gt_u32_e64 s[40:41], 4, v0
	s_waitcnt lgkmcnt(0)
	s_barrier
	s_and_saveexec_b64 s[44:45], s[40:41]
	s_cbranch_execz .LBB115_228
; %bb.223:
	v_lshlrev_b32_e32 v11, 4, v0
	ds_read_b64 v[4:5], v11
	ds_read_b32 v13, v11 offset:8
	v_and_b32_e32 v14, 3, v8
	v_cmp_ne_u32_e64 s[40:41], 0, v14
	s_waitcnt lgkmcnt(1)
	v_mov_b32_dpp v6, v4 row_shr:1 row_mask:0xf bank_mask:0xf
	v_mov_b32_dpp v7, v5 row_shr:1 row_mask:0xf bank_mask:0xf
	s_waitcnt lgkmcnt(0)
	v_mov_b32_dpp v16, v13 row_shr:1 row_mask:0xf bank_mask:0xf
	v_mov_b32_e32 v12, v13
	v_mov_b32_e32 v15, v13
	s_and_saveexec_b64 s[42:43], s[40:41]
; %bb.224:
	v_or_b32_e32 v15, v16, v13
	v_mov_b32_e32 v16, 0
	v_cmp_eq_u16_sdwa s[46:47], v13, v16 src0_sel:BYTE_0 src1_sel:DWORD
	v_cmp_lt_u64_e64 s[40:41], v[6:7], v[4:5]
	s_and_b64 s[40:41], s[46:47], s[40:41]
	v_and_b32_e32 v12, 1, v15
	v_cndmask_b32_e64 v5, v5, v7, s[40:41]
	v_cndmask_b32_e64 v4, v4, v6, s[40:41]
	v_and_b32_e32 v15, 1, v15
	s_movk_i32 s40, 0xff00
	v_and_or_b32 v13, v13, s40, v15
; %bb.225:
	s_or_b64 exec, exec, s[42:43]
	v_mov_b32_dpp v6, v4 row_shr:2 row_mask:0xf bank_mask:0xf
	v_mov_b32_dpp v7, v5 row_shr:2 row_mask:0xf bank_mask:0xf
	;; [unrolled: 1-line block ×3, first 2 shown]
	v_cmp_lt_u32_e64 s[40:41], 1, v14
	s_and_saveexec_b64 s[46:47], s[40:41]
	s_cbranch_execz .LBB115_227
; %bb.226:
	v_and_b32_e32 v12, 1, v15
	v_cmp_eq_u32_e64 s[40:41], 1, v12
	v_and_b32_e32 v12, 1, v13
	v_cmp_eq_u32_e64 s[42:43], 1, v12
	s_or_b64 s[40:41], s[40:41], s[42:43]
	v_mov_b32_e32 v13, 0
	v_cndmask_b32_e64 v12, 0, 1, s[40:41]
	v_cmp_lt_u64_e64 s[40:41], v[6:7], v[4:5]
	v_cmp_eq_u16_sdwa s[42:43], v15, v13 src0_sel:BYTE_0 src1_sel:DWORD
	s_nop 0
	v_cndmask_b32_e64 v7, v5, v7, s[40:41]
	s_and_b64 s[40:41], s[42:43], s[40:41]
	v_cndmask_b32_e64 v5, v5, v7, s[42:43]
	v_cndmask_b32_e64 v4, v4, v6, s[40:41]
.LBB115_227:
	s_or_b64 exec, exec, s[46:47]
	ds_write_b64 v11, v[4:5]
	ds_write_b8 v11, v12 offset:8
.LBB115_228:
	s_or_b64 exec, exec, s[44:45]
	v_cmp_lt_u32_e64 s[40:41], 63, v0
	v_mov_b64_e32 v[4:5], s[58:59]
	s_waitcnt lgkmcnt(0)
	s_barrier
	s_and_saveexec_b64 s[44:45], s[40:41]
	s_cbranch_execz .LBB115_230
; %bb.229:
	v_lshl_add_u32 v6, v10, 4, -16
	ds_read_b64 v[4:5], v6
	ds_read_u8 v6, v6 offset:8
	v_mov_b32_e32 v7, s59
	s_waitcnt lgkmcnt(1)
	v_cmp_lt_u64_e64 s[40:41], s[58:59], v[4:5]
	s_waitcnt lgkmcnt(0)
	v_cmp_eq_u16_e64 s[42:43], 0, v6
	v_cndmask_b32_e64 v7, v5, v7, s[40:41]
	v_mov_b32_e32 v6, s58
	s_and_b64 s[40:41], s[42:43], s[40:41]
	v_cndmask_b32_e64 v5, v5, v7, s[42:43]
	v_cndmask_b32_e64 v4, v4, v6, s[40:41]
.LBB115_230:
	s_or_b64 exec, exec, s[44:45]
	v_cmp_eq_u16_e64 s[40:41], 0, v9
	v_cmp_lt_u64_e64 s[42:43], v[4:5], v[2:3]
	s_and_b64 s[40:41], s[40:41], s[42:43]
	v_add_u32_e32 v6, -1, v8
	v_and_b32_e32 v7, 64, v8
	v_cndmask_b32_e64 v3, v3, v5, s[40:41]
	v_cndmask_b32_e64 v2, v2, v4, s[40:41]
	v_cmp_lt_i32_e64 s[40:41], v6, v7
	s_nop 1
	v_cndmask_b32_e64 v6, v6, v8, s[40:41]
	v_lshlrev_b32_e32 v6, 2, v6
	ds_bpermute_b32 v3, v6, v3
	ds_bpermute_b32 v2, v6, v2
	v_cmp_eq_u32_e64 s[40:41], 0, v8
	s_waitcnt lgkmcnt(1)
	s_nop 0
	v_cndmask_b32_e64 v85, v3, v5, s[40:41]
	s_waitcnt lgkmcnt(0)
	v_cndmask_b32_e64 v84, v2, v4, s[40:41]
	v_mov_b32_e32 v2, s59
	v_cmp_eq_u32_e64 s[40:41], 0, v0
	s_nop 1
	v_cndmask_b32_e64 v5, v85, v2, s[40:41]
	v_mov_b32_e32 v2, s58
	v_cndmask_b32_e64 v4, v84, v2, s[40:41]
	v_mov_b32_e32 v2, 0
	v_cmp_lt_u64_e64 s[42:43], v[4:5], v[42:43]
	v_cmp_eq_u16_sdwa s[44:45], v1, v2 src0_sel:BYTE_0 src1_sel:DWORD
	s_nop 0
	v_cndmask_b32_e64 v3, v43, v5, s[42:43]
	s_and_b64 s[42:43], s[44:45], s[42:43]
	v_cndmask_b32_e64 v5, v43, v3, s[44:45]
	v_cndmask_b32_e64 v4, v42, v4, s[42:43]
	v_cmp_lt_u64_e64 s[42:43], v[4:5], v[44:45]
	s_nop 1
	v_cndmask_b32_e64 v1, v45, v5, s[42:43]
	v_cndmask_b32_e32 v7, v45, v1, vcc
	s_and_b64 vcc, vcc, s[42:43]
	v_cndmask_b32_e32 v6, v44, v4, vcc
	v_cmp_lt_u64_e32 vcc, v[6:7], v[48:49]
	s_nop 1
	v_cndmask_b32_e32 v1, v49, v7, vcc
	s_and_b64 vcc, s[2:3], vcc
	v_cndmask_b32_e64 v87, v49, v1, s[2:3]
	v_cndmask_b32_e32 v86, v48, v6, vcc
	v_cmp_lt_u64_e32 vcc, v[86:87], v[50:51]
	s_nop 1
	v_cndmask_b32_e32 v1, v51, v87, vcc
	s_and_b64 vcc, s[4:5], vcc
	v_cndmask_b32_e64 v11, v51, v1, s[4:5]
	;; [unrolled: 6-line block ×18, first 2 shown]
	v_cndmask_b32_e32 v104, v46, v102, vcc
	s_and_saveexec_b64 s[4:5], s[40:41]
	s_cbranch_execz .LBB115_232
; %bb.231:
	ds_read_u8 v1, v2 offset:56
	ds_read_b64 v[8:9], v2 offset:48
	v_mov_b32_e32 v3, s59
	v_mov_b64_e32 v[84:85], s[58:59]
	s_waitcnt lgkmcnt(1)
	v_cmp_eq_u32_e32 vcc, 0, v1
	s_waitcnt lgkmcnt(0)
	v_cmp_lt_u64_e64 s[2:3], s[58:59], v[8:9]
	s_and_b64 vcc, vcc, s[2:3]
	v_cndmask_b32_e32 v3, v9, v3, vcc
	v_mov_b32_e32 v9, s58
	v_cndmask_b32_e32 v8, v8, v9, vcc
	global_store_dword v2, v8, s[50:51] offset:1024 sc1
	global_store_dword v2, v3, s[50:51] offset:1028 sc1
	;; [unrolled: 1-line block ×4, first 2 shown]
	v_mov_b32_e32 v1, 2
	s_waitcnt vmcnt(0)
	global_store_byte v2, v1, s[52:53] offset:64 sc1
.LBB115_232:
	s_or_b64 exec, exec, s[4:5]
.LBB115_233:
	s_add_u32 s2, s56, s60
	s_addc_u32 s3, s57, s61
	s_and_b64 vcc, exec, s[0:1]
	v_lshlrev_b32_e32 v2, 3, v0
	s_cbranch_vccz .LBB115_275
; %bb.234:
	s_movk_i32 s0, 0xa8
	v_mul_i32_i24_e32 v12, 0xffffff60, v0
	v_mul_u32_u24_e32 v1, 0xa8, v0
	v_mad_u32_u24 v3, v0, s0, v12
	s_barrier
	ds_write2_b64 v1, v[84:85], v[4:5] offset1:1
	ds_write2_b64 v1, v[6:7], v[86:87] offset0:2 offset1:3
	ds_write2_b64 v1, v[10:11], v[88:89] offset0:4 offset1:5
	;; [unrolled: 1-line block ×9, first 2 shown]
	ds_write_b64 v1, v[104:105] offset:160
	s_waitcnt lgkmcnt(0)
	s_barrier
	ds_read2st64_b64 v[76:79], v3 offset0:4 offset1:8
	ds_read2st64_b64 v[72:75], v3 offset0:12 offset1:16
	;; [unrolled: 1-line block ×10, first 2 shown]
	s_add_i32 s33, s33, s54
	v_mov_b32_e32 v3, 0
	v_lshl_add_u64 v[8:9], s[2:3], 0, v[2:3]
	v_cmp_gt_u32_e32 vcc, s33, v0
	s_and_saveexec_b64 s[0:1], vcc
	s_cbranch_execz .LBB115_236
; %bb.235:
	v_add_u32_e32 v1, v1, v12
	ds_read_b64 v[12:13], v1
	s_waitcnt lgkmcnt(0)
	global_store_dwordx2 v[8:9], v[12:13], off
.LBB115_236:
	s_or_b64 exec, exec, s[0:1]
	v_or_b32_e32 v1, 0x100, v0
	v_cmp_gt_u32_e32 vcc, s33, v1
	s_and_saveexec_b64 s[0:1], vcc
	s_cbranch_execz .LBB115_238
; %bb.237:
	s_waitcnt lgkmcnt(9)
	global_store_dwordx2 v[8:9], v[76:77], off offset:2048
.LBB115_238:
	s_or_b64 exec, exec, s[0:1]
	v_or_b32_e32 v1, 0x200, v0
	v_cmp_gt_u32_e32 vcc, s33, v1
	s_and_saveexec_b64 s[0:1], vcc
	s_cbranch_execz .LBB115_240
; %bb.239:
	v_add_co_u32_e32 v12, vcc, 0x1000, v8
	s_nop 1
	v_addc_co_u32_e32 v13, vcc, 0, v9, vcc
	s_waitcnt lgkmcnt(9)
	global_store_dwordx2 v[12:13], v[78:79], off
.LBB115_240:
	s_or_b64 exec, exec, s[0:1]
	v_or_b32_e32 v1, 0x300, v0
	v_cmp_gt_u32_e32 vcc, s33, v1
	s_and_saveexec_b64 s[0:1], vcc
	s_cbranch_execz .LBB115_242
; %bb.241:
	v_add_co_u32_e32 v12, vcc, 0x1000, v8
	s_nop 1
	v_addc_co_u32_e32 v13, vcc, 0, v9, vcc
	s_waitcnt lgkmcnt(8)
	global_store_dwordx2 v[12:13], v[72:73], off offset:2048
.LBB115_242:
	s_or_b64 exec, exec, s[0:1]
	v_or_b32_e32 v1, 0x400, v0
	v_cmp_gt_u32_e32 vcc, s33, v1
	s_and_saveexec_b64 s[0:1], vcc
	s_cbranch_execz .LBB115_244
; %bb.243:
	v_add_co_u32_e32 v12, vcc, 0x2000, v8
	s_nop 1
	v_addc_co_u32_e32 v13, vcc, 0, v9, vcc
	s_waitcnt lgkmcnt(8)
	global_store_dwordx2 v[12:13], v[74:75], off
.LBB115_244:
	s_or_b64 exec, exec, s[0:1]
	v_or_b32_e32 v1, 0x500, v0
	v_cmp_gt_u32_e32 vcc, s33, v1
	s_and_saveexec_b64 s[0:1], vcc
	s_cbranch_execz .LBB115_246
; %bb.245:
	v_add_co_u32_e32 v12, vcc, 0x2000, v8
	s_nop 1
	v_addc_co_u32_e32 v13, vcc, 0, v9, vcc
	s_waitcnt lgkmcnt(7)
	global_store_dwordx2 v[12:13], v[68:69], off offset:2048
.LBB115_246:
	;; [unrolled: 24-line block ×9, first 2 shown]
	s_or_b64 exec, exec, s[0:1]
	v_mov_b32_e32 v1, v3
	v_or_b32_e32 v3, 0x1400, v0
	v_cmp_gt_u32_e64 s[0:1], s33, v3
	s_branch .LBB115_277
.LBB115_275:
	s_mov_b64 s[0:1], 0
                                        ; implicit-def: $vgpr42_vgpr43
	s_cbranch_execz .LBB115_277
; %bb.276:
	s_movk_i32 s4, 0xa8
	v_mul_u32_u24_e32 v1, 0xa8, v0
	v_mul_i32_i24_e32 v3, 0xffffff60, v0
	s_waitcnt lgkmcnt(0)
	s_barrier
	ds_write2_b64 v1, v[84:85], v[4:5] offset1:1
	ds_write2_b64 v1, v[6:7], v[86:87] offset0:2 offset1:3
	ds_write2_b64 v1, v[10:11], v[88:89] offset0:4 offset1:5
	;; [unrolled: 1-line block ×9, first 2 shown]
	ds_write_b64 v1, v[104:105] offset:160
	v_mov_b32_e32 v1, 0
	v_mad_u32_u24 v3, v0, s4, v3
	s_waitcnt lgkmcnt(0)
	s_barrier
	ds_read2st64_b64 v[4:7], v3 offset1:4
	ds_read2st64_b64 v[8:11], v3 offset0:8 offset1:12
	ds_read2st64_b64 v[12:15], v3 offset0:16 offset1:20
	;; [unrolled: 1-line block ×9, first 2 shown]
	ds_read_b64 v[42:43], v3 offset:40960
	v_mov_b32_e32 v3, v1
	v_lshl_add_u64 v[40:41], s[2:3], 0, v[2:3]
	s_movk_i32 s4, 0x1000
	s_waitcnt lgkmcnt(10)
	global_store_dwordx2 v2, v[4:5], s[2:3]
	global_store_dwordx2 v2, v[6:7], s[2:3] offset:2048
	v_add_co_u32_e32 v2, vcc, s4, v40
	s_movk_i32 s4, 0x2000
	s_nop 0
	v_addc_co_u32_e32 v3, vcc, 0, v41, vcc
	v_add_co_u32_e32 v4, vcc, s4, v40
	s_movk_i32 s4, 0x3000
	s_nop 0
	v_addc_co_u32_e32 v5, vcc, 0, v41, vcc
	s_waitcnt lgkmcnt(9)
	global_store_dwordx2 v[4:5], v[8:9], off offset:-4096
	global_store_dwordx2 v[2:3], v[10:11], off offset:2048
	s_waitcnt lgkmcnt(8)
	global_store_dwordx2 v[4:5], v[12:13], off
	global_store_dwordx2 v[4:5], v[14:15], off offset:2048
	v_add_co_u32_e32 v2, vcc, s4, v40
	s_movk_i32 s4, 0x4000
	s_nop 0
	v_addc_co_u32_e32 v3, vcc, 0, v41, vcc
	v_add_co_u32_e32 v4, vcc, s4, v40
	s_movk_i32 s4, 0x5000
	s_nop 0
	v_addc_co_u32_e32 v5, vcc, 0, v41, vcc
	s_waitcnt lgkmcnt(7)
	global_store_dwordx2 v[4:5], v[16:17], off offset:-4096
	global_store_dwordx2 v[2:3], v[18:19], off offset:2048
	s_waitcnt lgkmcnt(6)
	global_store_dwordx2 v[4:5], v[20:21], off
	global_store_dwordx2 v[4:5], v[22:23], off offset:2048
	;; [unrolled: 14-line block ×3, first 2 shown]
	v_add_co_u32_e32 v2, vcc, s4, v40
	s_or_b64 s[0:1], s[0:1], exec
	s_nop 0
	v_addc_co_u32_e32 v3, vcc, 0, v41, vcc
	s_waitcnt lgkmcnt(3)
	global_store_dwordx2 v[2:3], v[32:33], off
	global_store_dwordx2 v[2:3], v[34:35], off offset:2048
	v_add_co_u32_e32 v2, vcc, 0x8000, v40
	s_nop 1
	v_addc_co_u32_e32 v3, vcc, 0, v41, vcc
	s_waitcnt lgkmcnt(2)
	global_store_dwordx2 v[2:3], v[36:37], off
	global_store_dwordx2 v[2:3], v[38:39], off offset:2048
	v_add_co_u32_e32 v2, vcc, 0x9000, v40
	s_nop 1
	v_addc_co_u32_e32 v3, vcc, 0, v41, vcc
	s_waitcnt lgkmcnt(1)
	global_store_dwordx2 v[2:3], v[44:45], off
	global_store_dwordx2 v[2:3], v[46:47], off offset:2048
.LBB115_277:
	s_and_saveexec_b64 s[4:5], s[0:1]
	s_cbranch_execz .LBB115_279
; %bb.278:
	v_lshl_add_u64 v[0:1], v[0:1], 3, s[2:3]
	v_add_co_u32_e32 v0, vcc, 0xa000, v0
	s_nop 1
	v_addc_co_u32_e32 v1, vcc, 0, v1, vcc
	s_waitcnt lgkmcnt(0)
	global_store_dwordx2 v[0:1], v[42:43], off
	s_endpgm
.LBB115_279:
	s_endpgm
	.section	.rodata,"a",@progbits
	.p2align	6, 0x0
	.amdhsa_kernel _ZN7rocprim6detail25device_scan_by_key_kernelILNS0_25lookback_scan_determinismE0ELb1ENS0_26wrapped_scan_by_key_configINS_14default_configEiyEEPiN6hipcub22TransformInputIteratorIyNS7_6CastOpIyEEPylEESB_yNS7_8EqualityENS7_3MinENS0_19lookback_scan_stateINS_5tupleIJybEEELb0ELb0EEEyEEvT2_T3_T4_T5_T6_T7_T8_mmmPKNSG_IJT9_bEEE
		.amdhsa_group_segment_fixed_size 43008
		.amdhsa_private_segment_fixed_size 0
		.amdhsa_kernarg_size 104
		.amdhsa_user_sgpr_count 2
		.amdhsa_user_sgpr_dispatch_ptr 0
		.amdhsa_user_sgpr_queue_ptr 0
		.amdhsa_user_sgpr_kernarg_segment_ptr 1
		.amdhsa_user_sgpr_dispatch_id 0
		.amdhsa_user_sgpr_kernarg_preload_length 0
		.amdhsa_user_sgpr_kernarg_preload_offset 0
		.amdhsa_user_sgpr_private_segment_size 0
		.amdhsa_uses_dynamic_stack 0
		.amdhsa_enable_private_segment 0
		.amdhsa_system_sgpr_workgroup_id_x 1
		.amdhsa_system_sgpr_workgroup_id_y 0
		.amdhsa_system_sgpr_workgroup_id_z 0
		.amdhsa_system_sgpr_workgroup_info 0
		.amdhsa_system_vgpr_workitem_id 0
		.amdhsa_next_free_vgpr 128
		.amdhsa_next_free_sgpr 74
		.amdhsa_accum_offset 128
		.amdhsa_reserve_vcc 1
		.amdhsa_float_round_mode_32 0
		.amdhsa_float_round_mode_16_64 0
		.amdhsa_float_denorm_mode_32 3
		.amdhsa_float_denorm_mode_16_64 3
		.amdhsa_dx10_clamp 1
		.amdhsa_ieee_mode 1
		.amdhsa_fp16_overflow 0
		.amdhsa_tg_split 0
		.amdhsa_exception_fp_ieee_invalid_op 0
		.amdhsa_exception_fp_denorm_src 0
		.amdhsa_exception_fp_ieee_div_zero 0
		.amdhsa_exception_fp_ieee_overflow 0
		.amdhsa_exception_fp_ieee_underflow 0
		.amdhsa_exception_fp_ieee_inexact 0
		.amdhsa_exception_int_div_zero 0
	.end_amdhsa_kernel
	.section	.text._ZN7rocprim6detail25device_scan_by_key_kernelILNS0_25lookback_scan_determinismE0ELb1ENS0_26wrapped_scan_by_key_configINS_14default_configEiyEEPiN6hipcub22TransformInputIteratorIyNS7_6CastOpIyEEPylEESB_yNS7_8EqualityENS7_3MinENS0_19lookback_scan_stateINS_5tupleIJybEEELb0ELb0EEEyEEvT2_T3_T4_T5_T6_T7_T8_mmmPKNSG_IJT9_bEEE,"axG",@progbits,_ZN7rocprim6detail25device_scan_by_key_kernelILNS0_25lookback_scan_determinismE0ELb1ENS0_26wrapped_scan_by_key_configINS_14default_configEiyEEPiN6hipcub22TransformInputIteratorIyNS7_6CastOpIyEEPylEESB_yNS7_8EqualityENS7_3MinENS0_19lookback_scan_stateINS_5tupleIJybEEELb0ELb0EEEyEEvT2_T3_T4_T5_T6_T7_T8_mmmPKNSG_IJT9_bEEE,comdat
.Lfunc_end115:
	.size	_ZN7rocprim6detail25device_scan_by_key_kernelILNS0_25lookback_scan_determinismE0ELb1ENS0_26wrapped_scan_by_key_configINS_14default_configEiyEEPiN6hipcub22TransformInputIteratorIyNS7_6CastOpIyEEPylEESB_yNS7_8EqualityENS7_3MinENS0_19lookback_scan_stateINS_5tupleIJybEEELb0ELb0EEEyEEvT2_T3_T4_T5_T6_T7_T8_mmmPKNSG_IJT9_bEEE, .Lfunc_end115-_ZN7rocprim6detail25device_scan_by_key_kernelILNS0_25lookback_scan_determinismE0ELb1ENS0_26wrapped_scan_by_key_configINS_14default_configEiyEEPiN6hipcub22TransformInputIteratorIyNS7_6CastOpIyEEPylEESB_yNS7_8EqualityENS7_3MinENS0_19lookback_scan_stateINS_5tupleIJybEEELb0ELb0EEEyEEvT2_T3_T4_T5_T6_T7_T8_mmmPKNSG_IJT9_bEEE
                                        ; -- End function
	.section	.AMDGPU.csdata,"",@progbits
; Kernel info:
; codeLenInByte = 17516
; NumSgprs: 80
; NumVgprs: 128
; NumAgprs: 0
; TotalNumVgprs: 128
; ScratchSize: 0
; MemoryBound: 0
; FloatMode: 240
; IeeeMode: 1
; LDSByteSize: 43008 bytes/workgroup (compile time only)
; SGPRBlocks: 9
; VGPRBlocks: 15
; NumSGPRsForWavesPerEU: 80
; NumVGPRsForWavesPerEU: 128
; AccumOffset: 128
; Occupancy: 1
; WaveLimiterHint : 1
; COMPUTE_PGM_RSRC2:SCRATCH_EN: 0
; COMPUTE_PGM_RSRC2:USER_SGPR: 2
; COMPUTE_PGM_RSRC2:TRAP_HANDLER: 0
; COMPUTE_PGM_RSRC2:TGID_X_EN: 1
; COMPUTE_PGM_RSRC2:TGID_Y_EN: 0
; COMPUTE_PGM_RSRC2:TGID_Z_EN: 0
; COMPUTE_PGM_RSRC2:TIDIG_COMP_CNT: 0
; COMPUTE_PGM_RSRC3_GFX90A:ACCUM_OFFSET: 31
; COMPUTE_PGM_RSRC3_GFX90A:TG_SPLIT: 0
	.section	.text._ZN7rocprim6detail31init_lookback_scan_state_kernelINS0_19lookback_scan_stateIjLb1ELb1EEEEEvT_jjPNS4_10value_typeE,"axG",@progbits,_ZN7rocprim6detail31init_lookback_scan_state_kernelINS0_19lookback_scan_stateIjLb1ELb1EEEEEvT_jjPNS4_10value_typeE,comdat
	.protected	_ZN7rocprim6detail31init_lookback_scan_state_kernelINS0_19lookback_scan_stateIjLb1ELb1EEEEEvT_jjPNS4_10value_typeE ; -- Begin function _ZN7rocprim6detail31init_lookback_scan_state_kernelINS0_19lookback_scan_stateIjLb1ELb1EEEEEvT_jjPNS4_10value_typeE
	.globl	_ZN7rocprim6detail31init_lookback_scan_state_kernelINS0_19lookback_scan_stateIjLb1ELb1EEEEEvT_jjPNS4_10value_typeE
	.p2align	8
	.type	_ZN7rocprim6detail31init_lookback_scan_state_kernelINS0_19lookback_scan_stateIjLb1ELb1EEEEEvT_jjPNS4_10value_typeE,@function
_ZN7rocprim6detail31init_lookback_scan_state_kernelINS0_19lookback_scan_stateIjLb1ELb1EEEEEvT_jjPNS4_10value_typeE: ; @_ZN7rocprim6detail31init_lookback_scan_state_kernelINS0_19lookback_scan_stateIjLb1ELb1EEEEEvT_jjPNS4_10value_typeE
; %bb.0:
	s_load_dword s3, s[0:1], 0x24
	s_load_dwordx2 s[8:9], s[0:1], 0x10
	s_load_dwordx4 s[4:7], s[0:1], 0x0
	s_waitcnt lgkmcnt(0)
	s_and_b32 s0, s3, 0xffff
	s_mul_i32 s2, s2, s0
	s_cmp_eq_u64 s[8:9], 0
	v_add_u32_e32 v0, s2, v0
	s_cbranch_scc1 .LBB116_9
; %bb.1:
	s_cmp_lt_u32 s7, s6
	s_cselect_b32 s0, s7, 0
	s_mov_b32 s3, 0
	v_cmp_eq_u32_e32 vcc, s0, v0
	s_and_saveexec_b64 s[0:1], vcc
	s_cbranch_execz .LBB116_8
; %bb.2:
	s_add_i32 s2, s7, 64
	s_lshl_b64 s[2:3], s[2:3], 3
	s_add_u32 s2, s4, s2
	s_addc_u32 s3, s5, s3
	v_mov_b32_e32 v2, 0
	global_load_dwordx2 v[4:5], v2, s[2:3] sc1
	s_waitcnt vmcnt(0)
	v_and_b32_e32 v3, 0xff, v5
	v_cmp_ne_u64_e32 vcc, 0, v[2:3]
	s_cbranch_vccnz .LBB116_7
; %bb.3:
	s_mov_b32 s7, 1
.LBB116_4:                              ; =>This Loop Header: Depth=1
                                        ;     Child Loop BB116_5 Depth 2
	s_max_u32 s10, s7, 1
.LBB116_5:                              ;   Parent Loop BB116_4 Depth=1
                                        ; =>  This Inner Loop Header: Depth=2
	s_add_i32 s10, s10, -1
	s_cmp_eq_u32 s10, 0
	s_sleep 1
	s_cbranch_scc0 .LBB116_5
; %bb.6:                                ;   in Loop: Header=BB116_4 Depth=1
	global_load_dwordx2 v[4:5], v2, s[2:3] sc1
	s_cmp_lt_u32 s7, 32
	s_cselect_b64 s[10:11], -1, 0
	s_cmp_lg_u64 s[10:11], 0
	s_addc_u32 s7, s7, 0
	s_waitcnt vmcnt(0)
	v_and_b32_e32 v3, 0xff, v5
	v_cmp_ne_u64_e32 vcc, 0, v[2:3]
	s_cbranch_vccz .LBB116_4
.LBB116_7:
	v_mov_b32_e32 v1, 0
	global_store_dword v1, v4, s[8:9]
.LBB116_8:
	s_or_b64 exec, exec, s[0:1]
.LBB116_9:
	v_cmp_gt_u32_e32 vcc, s6, v0
	s_and_saveexec_b64 s[0:1], vcc
	s_cbranch_execnz .LBB116_12
; %bb.10:
	s_or_b64 exec, exec, s[0:1]
	v_cmp_gt_u32_e32 vcc, 64, v0
	s_and_saveexec_b64 s[0:1], vcc
	s_cbranch_execnz .LBB116_13
.LBB116_11:
	s_endpgm
.LBB116_12:
	v_add_u32_e32 v2, 64, v0
	v_mov_b32_e32 v3, 0
	v_lshl_add_u64 v[4:5], v[2:3], 3, s[4:5]
	v_mov_b32_e32 v2, v3
	global_store_dwordx2 v[4:5], v[2:3], off
	s_or_b64 exec, exec, s[0:1]
	v_cmp_gt_u32_e32 vcc, 64, v0
	s_and_saveexec_b64 s[0:1], vcc
	s_cbranch_execz .LBB116_11
.LBB116_13:
	v_mov_b32_e32 v1, 0
	v_lshl_add_u64 v[2:3], v[0:1], 3, s[4:5]
	v_mov_b32_e32 v5, 0xff
	v_mov_b32_e32 v4, v1
	global_store_dwordx2 v[2:3], v[4:5], off
	s_endpgm
	.section	.rodata,"a",@progbits
	.p2align	6, 0x0
	.amdhsa_kernel _ZN7rocprim6detail31init_lookback_scan_state_kernelINS0_19lookback_scan_stateIjLb1ELb1EEEEEvT_jjPNS4_10value_typeE
		.amdhsa_group_segment_fixed_size 0
		.amdhsa_private_segment_fixed_size 0
		.amdhsa_kernarg_size 280
		.amdhsa_user_sgpr_count 2
		.amdhsa_user_sgpr_dispatch_ptr 0
		.amdhsa_user_sgpr_queue_ptr 0
		.amdhsa_user_sgpr_kernarg_segment_ptr 1
		.amdhsa_user_sgpr_dispatch_id 0
		.amdhsa_user_sgpr_kernarg_preload_length 0
		.amdhsa_user_sgpr_kernarg_preload_offset 0
		.amdhsa_user_sgpr_private_segment_size 0
		.amdhsa_uses_dynamic_stack 0
		.amdhsa_enable_private_segment 0
		.amdhsa_system_sgpr_workgroup_id_x 1
		.amdhsa_system_sgpr_workgroup_id_y 0
		.amdhsa_system_sgpr_workgroup_id_z 0
		.amdhsa_system_sgpr_workgroup_info 0
		.amdhsa_system_vgpr_workitem_id 0
		.amdhsa_next_free_vgpr 6
		.amdhsa_next_free_sgpr 12
		.amdhsa_accum_offset 8
		.amdhsa_reserve_vcc 1
		.amdhsa_float_round_mode_32 0
		.amdhsa_float_round_mode_16_64 0
		.amdhsa_float_denorm_mode_32 3
		.amdhsa_float_denorm_mode_16_64 3
		.amdhsa_dx10_clamp 1
		.amdhsa_ieee_mode 1
		.amdhsa_fp16_overflow 0
		.amdhsa_tg_split 0
		.amdhsa_exception_fp_ieee_invalid_op 0
		.amdhsa_exception_fp_denorm_src 0
		.amdhsa_exception_fp_ieee_div_zero 0
		.amdhsa_exception_fp_ieee_overflow 0
		.amdhsa_exception_fp_ieee_underflow 0
		.amdhsa_exception_fp_ieee_inexact 0
		.amdhsa_exception_int_div_zero 0
	.end_amdhsa_kernel
	.section	.text._ZN7rocprim6detail31init_lookback_scan_state_kernelINS0_19lookback_scan_stateIjLb1ELb1EEEEEvT_jjPNS4_10value_typeE,"axG",@progbits,_ZN7rocprim6detail31init_lookback_scan_state_kernelINS0_19lookback_scan_stateIjLb1ELb1EEEEEvT_jjPNS4_10value_typeE,comdat
.Lfunc_end116:
	.size	_ZN7rocprim6detail31init_lookback_scan_state_kernelINS0_19lookback_scan_stateIjLb1ELb1EEEEEvT_jjPNS4_10value_typeE, .Lfunc_end116-_ZN7rocprim6detail31init_lookback_scan_state_kernelINS0_19lookback_scan_stateIjLb1ELb1EEEEEvT_jjPNS4_10value_typeE
                                        ; -- End function
	.section	.AMDGPU.csdata,"",@progbits
; Kernel info:
; codeLenInByte = 320
; NumSgprs: 18
; NumVgprs: 6
; NumAgprs: 0
; TotalNumVgprs: 6
; ScratchSize: 0
; MemoryBound: 0
; FloatMode: 240
; IeeeMode: 1
; LDSByteSize: 0 bytes/workgroup (compile time only)
; SGPRBlocks: 2
; VGPRBlocks: 0
; NumSGPRsForWavesPerEU: 18
; NumVGPRsForWavesPerEU: 6
; AccumOffset: 8
; Occupancy: 8
; WaveLimiterHint : 0
; COMPUTE_PGM_RSRC2:SCRATCH_EN: 0
; COMPUTE_PGM_RSRC2:USER_SGPR: 2
; COMPUTE_PGM_RSRC2:TRAP_HANDLER: 0
; COMPUTE_PGM_RSRC2:TGID_X_EN: 1
; COMPUTE_PGM_RSRC2:TGID_Y_EN: 0
; COMPUTE_PGM_RSRC2:TGID_Z_EN: 0
; COMPUTE_PGM_RSRC2:TIDIG_COMP_CNT: 0
; COMPUTE_PGM_RSRC3_GFX90A:ACCUM_OFFSET: 1
; COMPUTE_PGM_RSRC3_GFX90A:TG_SPLIT: 0
	.section	.text._ZN7rocprim6detail31init_lookback_scan_state_kernelINS0_19lookback_scan_stateIjLb0ELb1EEEEEvT_jjPNS4_10value_typeE,"axG",@progbits,_ZN7rocprim6detail31init_lookback_scan_state_kernelINS0_19lookback_scan_stateIjLb0ELb1EEEEEvT_jjPNS4_10value_typeE,comdat
	.protected	_ZN7rocprim6detail31init_lookback_scan_state_kernelINS0_19lookback_scan_stateIjLb0ELb1EEEEEvT_jjPNS4_10value_typeE ; -- Begin function _ZN7rocprim6detail31init_lookback_scan_state_kernelINS0_19lookback_scan_stateIjLb0ELb1EEEEEvT_jjPNS4_10value_typeE
	.globl	_ZN7rocprim6detail31init_lookback_scan_state_kernelINS0_19lookback_scan_stateIjLb0ELb1EEEEEvT_jjPNS4_10value_typeE
	.p2align	8
	.type	_ZN7rocprim6detail31init_lookback_scan_state_kernelINS0_19lookback_scan_stateIjLb0ELb1EEEEEvT_jjPNS4_10value_typeE,@function
_ZN7rocprim6detail31init_lookback_scan_state_kernelINS0_19lookback_scan_stateIjLb0ELb1EEEEEvT_jjPNS4_10value_typeE: ; @_ZN7rocprim6detail31init_lookback_scan_state_kernelINS0_19lookback_scan_stateIjLb0ELb1EEEEEvT_jjPNS4_10value_typeE
; %bb.0:
	s_load_dword s3, s[0:1], 0x24
	s_load_dwordx2 s[8:9], s[0:1], 0x10
	s_load_dwordx4 s[4:7], s[0:1], 0x0
	s_waitcnt lgkmcnt(0)
	s_and_b32 s0, s3, 0xffff
	s_mul_i32 s2, s2, s0
	s_cmp_eq_u64 s[8:9], 0
	v_add_u32_e32 v0, s2, v0
	s_cbranch_scc1 .LBB117_6
; %bb.1:
	s_cmp_lt_u32 s7, s6
	s_cselect_b32 s0, s7, 0
	s_mov_b32 s3, 0
	v_cmp_eq_u32_e32 vcc, s0, v0
	s_and_saveexec_b64 s[0:1], vcc
	s_cbranch_execz .LBB117_5
; %bb.2:
	s_add_i32 s2, s7, 64
	s_lshl_b64 s[2:3], s[2:3], 3
	s_add_u32 s2, s4, s2
	s_addc_u32 s3, s5, s3
	v_mov_b32_e32 v4, 0
	global_load_dwordx2 v[2:3], v4, s[2:3] sc1
	s_waitcnt vmcnt(0)
	v_and_b32_e32 v5, 0xff, v3
	v_cmp_ne_u64_e32 vcc, 0, v[4:5]
	s_cbranch_vccnz .LBB117_4
.LBB117_3:                              ; =>This Inner Loop Header: Depth=1
	global_load_dwordx2 v[2:3], v4, s[2:3] sc1
	s_waitcnt vmcnt(0)
	v_and_b32_e32 v5, 0xff, v3
	v_cmp_eq_u64_e32 vcc, 0, v[4:5]
	s_cbranch_vccnz .LBB117_3
.LBB117_4:
	v_mov_b32_e32 v1, 0
	global_store_dword v1, v2, s[8:9]
.LBB117_5:
	s_or_b64 exec, exec, s[0:1]
.LBB117_6:
	v_cmp_gt_u32_e32 vcc, s6, v0
	s_and_saveexec_b64 s[0:1], vcc
	s_cbranch_execnz .LBB117_9
; %bb.7:
	s_or_b64 exec, exec, s[0:1]
	v_cmp_gt_u32_e32 vcc, 64, v0
	s_and_saveexec_b64 s[0:1], vcc
	s_cbranch_execnz .LBB117_10
.LBB117_8:
	s_endpgm
.LBB117_9:
	v_add_u32_e32 v2, 64, v0
	v_mov_b32_e32 v3, 0
	v_lshl_add_u64 v[4:5], v[2:3], 3, s[4:5]
	v_mov_b32_e32 v2, v3
	global_store_dwordx2 v[4:5], v[2:3], off
	s_or_b64 exec, exec, s[0:1]
	v_cmp_gt_u32_e32 vcc, 64, v0
	s_and_saveexec_b64 s[0:1], vcc
	s_cbranch_execz .LBB117_8
.LBB117_10:
	v_mov_b32_e32 v1, 0
	v_lshl_add_u64 v[2:3], v[0:1], 3, s[4:5]
	v_mov_b32_e32 v5, 0xff
	v_mov_b32_e32 v4, v1
	global_store_dwordx2 v[2:3], v[4:5], off
	s_endpgm
	.section	.rodata,"a",@progbits
	.p2align	6, 0x0
	.amdhsa_kernel _ZN7rocprim6detail31init_lookback_scan_state_kernelINS0_19lookback_scan_stateIjLb0ELb1EEEEEvT_jjPNS4_10value_typeE
		.amdhsa_group_segment_fixed_size 0
		.amdhsa_private_segment_fixed_size 0
		.amdhsa_kernarg_size 280
		.amdhsa_user_sgpr_count 2
		.amdhsa_user_sgpr_dispatch_ptr 0
		.amdhsa_user_sgpr_queue_ptr 0
		.amdhsa_user_sgpr_kernarg_segment_ptr 1
		.amdhsa_user_sgpr_dispatch_id 0
		.amdhsa_user_sgpr_kernarg_preload_length 0
		.amdhsa_user_sgpr_kernarg_preload_offset 0
		.amdhsa_user_sgpr_private_segment_size 0
		.amdhsa_uses_dynamic_stack 0
		.amdhsa_enable_private_segment 0
		.amdhsa_system_sgpr_workgroup_id_x 1
		.amdhsa_system_sgpr_workgroup_id_y 0
		.amdhsa_system_sgpr_workgroup_id_z 0
		.amdhsa_system_sgpr_workgroup_info 0
		.amdhsa_system_vgpr_workitem_id 0
		.amdhsa_next_free_vgpr 6
		.amdhsa_next_free_sgpr 10
		.amdhsa_accum_offset 8
		.amdhsa_reserve_vcc 1
		.amdhsa_float_round_mode_32 0
		.amdhsa_float_round_mode_16_64 0
		.amdhsa_float_denorm_mode_32 3
		.amdhsa_float_denorm_mode_16_64 3
		.amdhsa_dx10_clamp 1
		.amdhsa_ieee_mode 1
		.amdhsa_fp16_overflow 0
		.amdhsa_tg_split 0
		.amdhsa_exception_fp_ieee_invalid_op 0
		.amdhsa_exception_fp_denorm_src 0
		.amdhsa_exception_fp_ieee_div_zero 0
		.amdhsa_exception_fp_ieee_overflow 0
		.amdhsa_exception_fp_ieee_underflow 0
		.amdhsa_exception_fp_ieee_inexact 0
		.amdhsa_exception_int_div_zero 0
	.end_amdhsa_kernel
	.section	.text._ZN7rocprim6detail31init_lookback_scan_state_kernelINS0_19lookback_scan_stateIjLb0ELb1EEEEEvT_jjPNS4_10value_typeE,"axG",@progbits,_ZN7rocprim6detail31init_lookback_scan_state_kernelINS0_19lookback_scan_stateIjLb0ELb1EEEEEvT_jjPNS4_10value_typeE,comdat
.Lfunc_end117:
	.size	_ZN7rocprim6detail31init_lookback_scan_state_kernelINS0_19lookback_scan_stateIjLb0ELb1EEEEEvT_jjPNS4_10value_typeE, .Lfunc_end117-_ZN7rocprim6detail31init_lookback_scan_state_kernelINS0_19lookback_scan_stateIjLb0ELb1EEEEEvT_jjPNS4_10value_typeE
                                        ; -- End function
	.section	.AMDGPU.csdata,"",@progbits
; Kernel info:
; codeLenInByte = 280
; NumSgprs: 16
; NumVgprs: 6
; NumAgprs: 0
; TotalNumVgprs: 6
; ScratchSize: 0
; MemoryBound: 0
; FloatMode: 240
; IeeeMode: 1
; LDSByteSize: 0 bytes/workgroup (compile time only)
; SGPRBlocks: 1
; VGPRBlocks: 0
; NumSGPRsForWavesPerEU: 16
; NumVGPRsForWavesPerEU: 6
; AccumOffset: 8
; Occupancy: 8
; WaveLimiterHint : 0
; COMPUTE_PGM_RSRC2:SCRATCH_EN: 0
; COMPUTE_PGM_RSRC2:USER_SGPR: 2
; COMPUTE_PGM_RSRC2:TRAP_HANDLER: 0
; COMPUTE_PGM_RSRC2:TGID_X_EN: 1
; COMPUTE_PGM_RSRC2:TGID_Y_EN: 0
; COMPUTE_PGM_RSRC2:TGID_Z_EN: 0
; COMPUTE_PGM_RSRC2:TIDIG_COMP_CNT: 0
; COMPUTE_PGM_RSRC3_GFX90A:ACCUM_OFFSET: 1
; COMPUTE_PGM_RSRC3_GFX90A:TG_SPLIT: 0
	.section	.text._ZN7rocprim6detail20lookback_scan_kernelILNS0_25lookback_scan_determinismE0ELb0ENS0_19wrapped_scan_configINS_14default_configEjEEN6hipcub21CountingInputIteratorIjlEEN10test_utils21single_index_iteratorIjEENS6_3SumEjjNS0_19lookback_scan_stateIjLb1ELb1EEEEEvT2_T3_mT5_T4_T7_jPT6_SL_bb,"axG",@progbits,_ZN7rocprim6detail20lookback_scan_kernelILNS0_25lookback_scan_determinismE0ELb0ENS0_19wrapped_scan_configINS_14default_configEjEEN6hipcub21CountingInputIteratorIjlEEN10test_utils21single_index_iteratorIjEENS6_3SumEjjNS0_19lookback_scan_stateIjLb1ELb1EEEEEvT2_T3_mT5_T4_T7_jPT6_SL_bb,comdat
	.protected	_ZN7rocprim6detail20lookback_scan_kernelILNS0_25lookback_scan_determinismE0ELb0ENS0_19wrapped_scan_configINS_14default_configEjEEN6hipcub21CountingInputIteratorIjlEEN10test_utils21single_index_iteratorIjEENS6_3SumEjjNS0_19lookback_scan_stateIjLb1ELb1EEEEEvT2_T3_mT5_T4_T7_jPT6_SL_bb ; -- Begin function _ZN7rocprim6detail20lookback_scan_kernelILNS0_25lookback_scan_determinismE0ELb0ENS0_19wrapped_scan_configINS_14default_configEjEEN6hipcub21CountingInputIteratorIjlEEN10test_utils21single_index_iteratorIjEENS6_3SumEjjNS0_19lookback_scan_stateIjLb1ELb1EEEEEvT2_T3_mT5_T4_T7_jPT6_SL_bb
	.globl	_ZN7rocprim6detail20lookback_scan_kernelILNS0_25lookback_scan_determinismE0ELb0ENS0_19wrapped_scan_configINS_14default_configEjEEN6hipcub21CountingInputIteratorIjlEEN10test_utils21single_index_iteratorIjEENS6_3SumEjjNS0_19lookback_scan_stateIjLb1ELb1EEEEEvT2_T3_mT5_T4_T7_jPT6_SL_bb
	.p2align	8
	.type	_ZN7rocprim6detail20lookback_scan_kernelILNS0_25lookback_scan_determinismE0ELb0ENS0_19wrapped_scan_configINS_14default_configEjEEN6hipcub21CountingInputIteratorIjlEEN10test_utils21single_index_iteratorIjEENS6_3SumEjjNS0_19lookback_scan_stateIjLb1ELb1EEEEEvT2_T3_mT5_T4_T7_jPT6_SL_bb,@function
_ZN7rocprim6detail20lookback_scan_kernelILNS0_25lookback_scan_determinismE0ELb0ENS0_19wrapped_scan_configINS_14default_configEjEEN6hipcub21CountingInputIteratorIjlEEN10test_utils21single_index_iteratorIjEENS6_3SumEjjNS0_19lookback_scan_stateIjLb1ELb1EEEEEvT2_T3_mT5_T4_T7_jPT6_SL_bb: ; @_ZN7rocprim6detail20lookback_scan_kernelILNS0_25lookback_scan_determinismE0ELb0ENS0_19wrapped_scan_configINS_14default_configEjEEN6hipcub21CountingInputIteratorIjlEEN10test_utils21single_index_iteratorIjEENS6_3SumEjjNS0_19lookback_scan_stateIjLb1ELb1EEEEEvT2_T3_mT5_T4_T7_jPT6_SL_bb
; %bb.0:
	s_endpgm
	.section	.rodata,"a",@progbits
	.p2align	6, 0x0
	.amdhsa_kernel _ZN7rocprim6detail20lookback_scan_kernelILNS0_25lookback_scan_determinismE0ELb0ENS0_19wrapped_scan_configINS_14default_configEjEEN6hipcub21CountingInputIteratorIjlEEN10test_utils21single_index_iteratorIjEENS6_3SumEjjNS0_19lookback_scan_stateIjLb1ELb1EEEEEvT2_T3_mT5_T4_T7_jPT6_SL_bb
		.amdhsa_group_segment_fixed_size 0
		.amdhsa_private_segment_fixed_size 0
		.amdhsa_kernarg_size 84
		.amdhsa_user_sgpr_count 2
		.amdhsa_user_sgpr_dispatch_ptr 0
		.amdhsa_user_sgpr_queue_ptr 0
		.amdhsa_user_sgpr_kernarg_segment_ptr 1
		.amdhsa_user_sgpr_dispatch_id 0
		.amdhsa_user_sgpr_kernarg_preload_length 0
		.amdhsa_user_sgpr_kernarg_preload_offset 0
		.amdhsa_user_sgpr_private_segment_size 0
		.amdhsa_uses_dynamic_stack 0
		.amdhsa_enable_private_segment 0
		.amdhsa_system_sgpr_workgroup_id_x 1
		.amdhsa_system_sgpr_workgroup_id_y 0
		.amdhsa_system_sgpr_workgroup_id_z 0
		.amdhsa_system_sgpr_workgroup_info 0
		.amdhsa_system_vgpr_workitem_id 0
		.amdhsa_next_free_vgpr 1
		.amdhsa_next_free_sgpr 0
		.amdhsa_accum_offset 4
		.amdhsa_reserve_vcc 0
		.amdhsa_float_round_mode_32 0
		.amdhsa_float_round_mode_16_64 0
		.amdhsa_float_denorm_mode_32 3
		.amdhsa_float_denorm_mode_16_64 3
		.amdhsa_dx10_clamp 1
		.amdhsa_ieee_mode 1
		.amdhsa_fp16_overflow 0
		.amdhsa_tg_split 0
		.amdhsa_exception_fp_ieee_invalid_op 0
		.amdhsa_exception_fp_denorm_src 0
		.amdhsa_exception_fp_ieee_div_zero 0
		.amdhsa_exception_fp_ieee_overflow 0
		.amdhsa_exception_fp_ieee_underflow 0
		.amdhsa_exception_fp_ieee_inexact 0
		.amdhsa_exception_int_div_zero 0
	.end_amdhsa_kernel
	.section	.text._ZN7rocprim6detail20lookback_scan_kernelILNS0_25lookback_scan_determinismE0ELb0ENS0_19wrapped_scan_configINS_14default_configEjEEN6hipcub21CountingInputIteratorIjlEEN10test_utils21single_index_iteratorIjEENS6_3SumEjjNS0_19lookback_scan_stateIjLb1ELb1EEEEEvT2_T3_mT5_T4_T7_jPT6_SL_bb,"axG",@progbits,_ZN7rocprim6detail20lookback_scan_kernelILNS0_25lookback_scan_determinismE0ELb0ENS0_19wrapped_scan_configINS_14default_configEjEEN6hipcub21CountingInputIteratorIjlEEN10test_utils21single_index_iteratorIjEENS6_3SumEjjNS0_19lookback_scan_stateIjLb1ELb1EEEEEvT2_T3_mT5_T4_T7_jPT6_SL_bb,comdat
.Lfunc_end118:
	.size	_ZN7rocprim6detail20lookback_scan_kernelILNS0_25lookback_scan_determinismE0ELb0ENS0_19wrapped_scan_configINS_14default_configEjEEN6hipcub21CountingInputIteratorIjlEEN10test_utils21single_index_iteratorIjEENS6_3SumEjjNS0_19lookback_scan_stateIjLb1ELb1EEEEEvT2_T3_mT5_T4_T7_jPT6_SL_bb, .Lfunc_end118-_ZN7rocprim6detail20lookback_scan_kernelILNS0_25lookback_scan_determinismE0ELb0ENS0_19wrapped_scan_configINS_14default_configEjEEN6hipcub21CountingInputIteratorIjlEEN10test_utils21single_index_iteratorIjEENS6_3SumEjjNS0_19lookback_scan_stateIjLb1ELb1EEEEEvT2_T3_mT5_T4_T7_jPT6_SL_bb
                                        ; -- End function
	.section	.AMDGPU.csdata,"",@progbits
; Kernel info:
; codeLenInByte = 4
; NumSgprs: 6
; NumVgprs: 0
; NumAgprs: 0
; TotalNumVgprs: 0
; ScratchSize: 0
; MemoryBound: 0
; FloatMode: 240
; IeeeMode: 1
; LDSByteSize: 0 bytes/workgroup (compile time only)
; SGPRBlocks: 0
; VGPRBlocks: 0
; NumSGPRsForWavesPerEU: 6
; NumVGPRsForWavesPerEU: 1
; AccumOffset: 4
; Occupancy: 8
; WaveLimiterHint : 0
; COMPUTE_PGM_RSRC2:SCRATCH_EN: 0
; COMPUTE_PGM_RSRC2:USER_SGPR: 2
; COMPUTE_PGM_RSRC2:TRAP_HANDLER: 0
; COMPUTE_PGM_RSRC2:TGID_X_EN: 1
; COMPUTE_PGM_RSRC2:TGID_Y_EN: 0
; COMPUTE_PGM_RSRC2:TGID_Z_EN: 0
; COMPUTE_PGM_RSRC2:TIDIG_COMP_CNT: 0
; COMPUTE_PGM_RSRC3_GFX90A:ACCUM_OFFSET: 0
; COMPUTE_PGM_RSRC3_GFX90A:TG_SPLIT: 0
	.section	.text._ZN7rocprim6detail20lookback_scan_kernelILNS0_25lookback_scan_determinismE0ELb0ENS0_19wrapped_scan_configINS_14default_configEjEEN6hipcub21CountingInputIteratorIjlEEN10test_utils21single_index_iteratorIjEENS6_3SumEjjNS0_19lookback_scan_stateIjLb0ELb1EEEEEvT2_T3_mT5_T4_T7_jPT6_SL_bb,"axG",@progbits,_ZN7rocprim6detail20lookback_scan_kernelILNS0_25lookback_scan_determinismE0ELb0ENS0_19wrapped_scan_configINS_14default_configEjEEN6hipcub21CountingInputIteratorIjlEEN10test_utils21single_index_iteratorIjEENS6_3SumEjjNS0_19lookback_scan_stateIjLb0ELb1EEEEEvT2_T3_mT5_T4_T7_jPT6_SL_bb,comdat
	.protected	_ZN7rocprim6detail20lookback_scan_kernelILNS0_25lookback_scan_determinismE0ELb0ENS0_19wrapped_scan_configINS_14default_configEjEEN6hipcub21CountingInputIteratorIjlEEN10test_utils21single_index_iteratorIjEENS6_3SumEjjNS0_19lookback_scan_stateIjLb0ELb1EEEEEvT2_T3_mT5_T4_T7_jPT6_SL_bb ; -- Begin function _ZN7rocprim6detail20lookback_scan_kernelILNS0_25lookback_scan_determinismE0ELb0ENS0_19wrapped_scan_configINS_14default_configEjEEN6hipcub21CountingInputIteratorIjlEEN10test_utils21single_index_iteratorIjEENS6_3SumEjjNS0_19lookback_scan_stateIjLb0ELb1EEEEEvT2_T3_mT5_T4_T7_jPT6_SL_bb
	.globl	_ZN7rocprim6detail20lookback_scan_kernelILNS0_25lookback_scan_determinismE0ELb0ENS0_19wrapped_scan_configINS_14default_configEjEEN6hipcub21CountingInputIteratorIjlEEN10test_utils21single_index_iteratorIjEENS6_3SumEjjNS0_19lookback_scan_stateIjLb0ELb1EEEEEvT2_T3_mT5_T4_T7_jPT6_SL_bb
	.p2align	8
	.type	_ZN7rocprim6detail20lookback_scan_kernelILNS0_25lookback_scan_determinismE0ELb0ENS0_19wrapped_scan_configINS_14default_configEjEEN6hipcub21CountingInputIteratorIjlEEN10test_utils21single_index_iteratorIjEENS6_3SumEjjNS0_19lookback_scan_stateIjLb0ELb1EEEEEvT2_T3_mT5_T4_T7_jPT6_SL_bb,@function
_ZN7rocprim6detail20lookback_scan_kernelILNS0_25lookback_scan_determinismE0ELb0ENS0_19wrapped_scan_configINS_14default_configEjEEN6hipcub21CountingInputIteratorIjlEEN10test_utils21single_index_iteratorIjEENS6_3SumEjjNS0_19lookback_scan_stateIjLb0ELb1EEEEEvT2_T3_mT5_T4_T7_jPT6_SL_bb: ; @_ZN7rocprim6detail20lookback_scan_kernelILNS0_25lookback_scan_determinismE0ELb0ENS0_19wrapped_scan_configINS_14default_configEjEEN6hipcub21CountingInputIteratorIjlEEN10test_utils21single_index_iteratorIjEENS6_3SumEjjNS0_19lookback_scan_stateIjLb0ELb1EEEEEvT2_T3_mT5_T4_T7_jPT6_SL_bb
; %bb.0:
	s_load_dword s3, s[0:1], 0x38
	s_load_dwordx8 s[44:51], s[0:1], 0x8
	s_load_dword s4, s[0:1], 0x0
	s_mul_i32 s42, s2, 0x1500
	s_waitcnt lgkmcnt(0)
	s_add_i32 s3, s3, -1
	s_mul_i32 s5, s3, 0x1500
	s_sub_u32 s33, s50, s5
	s_subb_u32 s56, s51, 0
	s_cmp_lg_u32 s2, s3
	s_cselect_b64 s[6:7], -1, 0
	s_add_i32 s3, s42, s4
	s_mov_b64 s[4:5], -1
	s_and_b64 vcc, exec, s[6:7]
	v_add_u32_e32 v1, s3, v0
	s_cbranch_vccz .LBB119_2
; %bb.1:
	v_add_u32_e32 v2, 0x100, v1
	v_lshlrev_b32_e32 v22, 2, v0
	v_add_u32_e32 v3, 0x200, v1
	v_add_u32_e32 v4, 0x300, v1
	v_add_u32_e32 v5, 0x400, v1
	v_add_u32_e32 v6, 0x500, v1
	v_add_u32_e32 v7, 0x600, v1
	v_add_u32_e32 v8, 0x700, v1
	v_add_u32_e32 v9, 0x800, v1
	v_add_u32_e32 v10, 0x900, v1
	v_add_u32_e32 v11, 0xa00, v1
	v_add_u32_e32 v12, 0xb00, v1
	v_add_u32_e32 v13, 0xc00, v1
	v_add_u32_e32 v14, 0xd00, v1
	v_add_u32_e32 v15, 0xe00, v1
	v_add_u32_e32 v16, 0xf00, v1
	v_add_u32_e32 v17, 0x1000, v1
	v_add_u32_e32 v18, 0x1100, v1
	v_add_u32_e32 v19, 0x1200, v1
	v_add_u32_e32 v20, 0x1300, v1
	v_add_u32_e32 v21, 0x1400, v1
	ds_write2st64_b32 v22, v1, v2 offset1:4
	ds_write2st64_b32 v22, v3, v4 offset0:8 offset1:12
	ds_write2st64_b32 v22, v5, v6 offset0:16 offset1:20
	;; [unrolled: 1-line block ×9, first 2 shown]
	ds_write_b32 v22, v21 offset:20480
	s_waitcnt lgkmcnt(0)
	s_barrier
	s_mov_b64 s[4:5], 0
.LBB119_2:
	s_andn2_b64 vcc, exec, s[4:5]
	v_cmp_gt_u32_e64 s[4:5], s33, v0
	s_cbranch_vccnz .LBB119_4
; %bb.3:
	v_or_b32_e32 v4, 0x100, v0
	v_mov_b32_e32 v2, s3
	v_add_u32_e32 v5, 0x100, v1
	v_cmp_gt_u32_e32 vcc, s33, v4
	v_add_u32_e32 v6, 0x200, v1
	v_add_u32_e32 v7, 0x300, v1
	v_cndmask_b32_e32 v4, v2, v5, vcc
	v_or_b32_e32 v5, 0x200, v0
	v_cmp_gt_u32_e32 vcc, s33, v5
	v_add_u32_e32 v8, 0x400, v1
	v_add_u32_e32 v9, 0x500, v1
	v_cndmask_b32_e32 v5, v2, v6, vcc
	v_or_b32_e32 v6, 0x300, v0
	;; [unrolled: 5-line block ×9, first 2 shown]
	v_cmp_gt_u32_e32 vcc, s33, v13
	v_cndmask_b32_e64 v3, v2, v1, s[4:5]
	v_add_u32_e32 v1, 0x1400, v1
	v_cndmask_b32_e32 v13, v2, v14, vcc
	v_or_b32_e32 v14, 0xb00, v0
	v_cmp_gt_u32_e32 vcc, s33, v14
	s_nop 1
	v_cndmask_b32_e32 v14, v2, v15, vcc
	v_or_b32_e32 v15, 0xc00, v0
	v_cmp_gt_u32_e32 vcc, s33, v15
	s_nop 1
	v_cndmask_b32_e32 v15, v2, v16, vcc
	v_or_b32_e32 v16, 0xd00, v0
	v_cmp_gt_u32_e32 vcc, s33, v16
	s_nop 1
	v_cndmask_b32_e32 v16, v2, v17, vcc
	v_or_b32_e32 v17, 0xe00, v0
	v_cmp_gt_u32_e32 vcc, s33, v17
	s_nop 1
	v_cndmask_b32_e32 v17, v2, v18, vcc
	v_or_b32_e32 v18, 0xf00, v0
	v_cmp_gt_u32_e32 vcc, s33, v18
	s_nop 1
	v_cndmask_b32_e32 v18, v2, v19, vcc
	v_or_b32_e32 v19, 0x1000, v0
	v_cmp_gt_u32_e32 vcc, s33, v19
	s_nop 1
	v_cndmask_b32_e32 v19, v2, v20, vcc
	v_or_b32_e32 v20, 0x1100, v0
	v_cmp_gt_u32_e32 vcc, s33, v20
	s_nop 1
	v_cndmask_b32_e32 v20, v2, v21, vcc
	v_or_b32_e32 v21, 0x1200, v0
	v_cmp_gt_u32_e32 vcc, s33, v21
	s_nop 1
	v_cndmask_b32_e32 v21, v2, v22, vcc
	v_or_b32_e32 v22, 0x1300, v0
	v_cmp_gt_u32_e32 vcc, s33, v22
	s_nop 1
	v_cndmask_b32_e32 v22, v2, v23, vcc
	v_or_b32_e32 v23, 0x1400, v0
	v_cmp_gt_u32_e32 vcc, s33, v23
	s_nop 1
	v_cndmask_b32_e32 v1, v2, v1, vcc
	v_lshlrev_b32_e32 v2, 2, v0
	ds_write2st64_b32 v2, v3, v4 offset1:4
	ds_write2st64_b32 v2, v5, v6 offset0:8 offset1:12
	ds_write2st64_b32 v2, v7, v8 offset0:16 offset1:20
	;; [unrolled: 1-line block ×9, first 2 shown]
	ds_write_b32 v2, v1 offset:20480
	s_waitcnt lgkmcnt(0)
	s_barrier
.LBB119_4:
	v_mul_u32_u24_e32 v32, 21, v0
	v_lshlrev_b32_e32 v1, 2, v32
	ds_read2_b32 v[18:19], v1 offset1:1
	ds_read2_b32 v[20:21], v1 offset0:2 offset1:3
	ds_read2_b32 v[16:17], v1 offset0:4 offset1:5
	;; [unrolled: 1-line block ×9, first 2 shown]
	ds_read_b32 v1, v1 offset:80
	s_load_dwordx2 s[8:9], s[0:1], 0x30
	s_cmp_lg_u32 s2, 0
	v_mbcnt_lo_u32_b32 v35, -1, 0
	v_lshrrev_b32_e32 v33, 6, v0
	v_or_b32_e32 v34, 63, v0
	s_waitcnt lgkmcnt(0)
	s_barrier
	s_cbranch_scc0 .LBB119_31
; %bb.5:
	v_add3_u32 v22, v19, v18, v20
	v_add3_u32 v22, v22, v21, v16
	;; [unrolled: 1-line block ×9, first 2 shown]
	v_mbcnt_hi_u32_b32 v25, -1, v35
	v_add3_u32 v22, v22, v3, v1
	v_and_b32_e32 v23, 15, v25
	v_cmp_ne_u32_e32 vcc, 0, v23
	v_mov_b32_dpp v24, v22 row_shr:1 row_mask:0xf bank_mask:0xf
	s_nop 0
	v_cndmask_b32_e32 v24, 0, v24, vcc
	v_add_u32_e32 v22, v24, v22
	v_cmp_lt_u32_e32 vcc, 1, v23
	s_nop 0
	v_mov_b32_dpp v24, v22 row_shr:2 row_mask:0xf bank_mask:0xf
	v_cndmask_b32_e32 v24, 0, v24, vcc
	v_add_u32_e32 v22, v22, v24
	v_cmp_lt_u32_e32 vcc, 3, v23
	s_nop 0
	v_mov_b32_dpp v24, v22 row_shr:4 row_mask:0xf bank_mask:0xf
	;; [unrolled: 5-line block ×3, first 2 shown]
	v_cndmask_b32_e32 v23, 0, v24, vcc
	v_add_u32_e32 v22, v22, v23
	v_bfe_i32 v24, v25, 4, 1
	v_cmp_lt_u32_e32 vcc, 31, v25
	v_mov_b32_dpp v23, v22 row_bcast:15 row_mask:0xf bank_mask:0xf
	v_and_b32_e32 v23, v24, v23
	v_add_u32_e32 v22, v22, v23
	s_nop 1
	v_mov_b32_dpp v23, v22 row_bcast:31 row_mask:0xf bank_mask:0xf
	v_cndmask_b32_e32 v23, 0, v23, vcc
	v_add_u32_e32 v22, v22, v23
	v_cmp_eq_u32_e32 vcc, v34, v0
	s_and_saveexec_b64 s[4:5], vcc
	s_cbranch_execz .LBB119_7
; %bb.6:
	v_lshlrev_b32_e32 v23, 2, v33
	ds_write_b32 v23, v22
.LBB119_7:
	s_or_b64 exec, exec, s[4:5]
	v_cmp_gt_u32_e32 vcc, 4, v0
	s_waitcnt lgkmcnt(0)
	s_barrier
	s_and_saveexec_b64 s[4:5], vcc
	s_cbranch_execz .LBB119_9
; %bb.8:
	v_lshlrev_b32_e32 v23, 2, v0
	ds_read_b32 v24, v23
	v_and_b32_e32 v26, 3, v25
	v_cmp_ne_u32_e32 vcc, 0, v26
	s_waitcnt lgkmcnt(0)
	v_mov_b32_dpp v27, v24 row_shr:1 row_mask:0xf bank_mask:0xf
	v_cndmask_b32_e32 v27, 0, v27, vcc
	v_add_u32_e32 v24, v27, v24
	v_cmp_lt_u32_e32 vcc, 1, v26
	s_nop 0
	v_mov_b32_dpp v27, v24 row_shr:2 row_mask:0xf bank_mask:0xf
	v_cndmask_b32_e32 v26, 0, v27, vcc
	v_add_u32_e32 v24, v24, v26
	ds_write_b32 v23, v24
.LBB119_9:
	s_or_b64 exec, exec, s[4:5]
	v_cmp_gt_u32_e32 vcc, 64, v0
	v_cmp_lt_u32_e64 s[4:5], 63, v0
	s_waitcnt lgkmcnt(0)
	s_barrier
	s_waitcnt lgkmcnt(0)
                                        ; implicit-def: $vgpr36
	s_and_saveexec_b64 s[10:11], s[4:5]
	s_cbranch_execz .LBB119_11
; %bb.10:
	v_lshl_add_u32 v23, v33, 2, -4
	ds_read_b32 v36, v23
	s_waitcnt lgkmcnt(0)
	v_add_u32_e32 v22, v36, v22
.LBB119_11:
	s_or_b64 exec, exec, s[10:11]
	v_add_u32_e32 v23, -1, v25
	v_and_b32_e32 v24, 64, v25
	v_cmp_lt_i32_e64 s[4:5], v23, v24
	s_nop 1
	v_cndmask_b32_e64 v23, v23, v25, s[4:5]
	v_lshlrev_b32_e32 v23, 2, v23
	ds_bpermute_b32 v37, v23, v22
	v_cmp_eq_u32_e64 s[4:5], 0, v25
	s_and_saveexec_b64 s[10:11], vcc
	s_cbranch_execz .LBB119_30
; %bb.12:
	v_mov_b32_e32 v29, 0
	ds_read_b32 v22, v29 offset:12
	s_and_saveexec_b64 s[12:13], s[4:5]
	s_cbranch_execz .LBB119_14
; %bb.13:
	s_add_i32 s14, s2, 64
	s_mov_b32 s15, 0
	s_lshl_b64 s[14:15], s[14:15], 3
	s_add_u32 s14, s8, s14
	s_addc_u32 s15, s9, s15
	v_mov_b32_e32 v23, 1
	s_waitcnt lgkmcnt(0)
	global_store_dwordx2 v29, v[22:23], s[14:15] sc1
.LBB119_14:
	s_or_b64 exec, exec, s[12:13]
	v_xad_u32 v24, v25, -1, s2
	v_add_u32_e32 v28, 64, v24
	v_lshl_add_u64 v[30:31], v[28:29], 3, s[8:9]
	global_load_dwordx2 v[26:27], v[30:31], off sc1
	s_waitcnt vmcnt(0)
	v_cmp_eq_u16_sdwa s[14:15], v27, v29 src0_sel:BYTE_0 src1_sel:DWORD
	s_and_saveexec_b64 s[12:13], s[14:15]
	s_cbranch_execz .LBB119_18
; %bb.15:
	s_mov_b64 s[14:15], 0
	v_mov_b32_e32 v23, 0
.LBB119_16:                             ; =>This Inner Loop Header: Depth=1
	global_load_dwordx2 v[26:27], v[30:31], off sc1
	s_waitcnt vmcnt(0)
	v_cmp_ne_u16_sdwa s[16:17], v27, v23 src0_sel:BYTE_0 src1_sel:DWORD
	s_or_b64 s[14:15], s[16:17], s[14:15]
	s_andn2_b64 exec, exec, s[14:15]
	s_cbranch_execnz .LBB119_16
; %bb.17:
	s_or_b64 exec, exec, s[14:15]
.LBB119_18:
	s_or_b64 exec, exec, s[12:13]
	v_and_b32_e32 v46, 63, v25
	v_mov_b32_e32 v23, 2
	v_cmp_ne_u32_e32 vcc, 63, v46
	v_cmp_eq_u16_sdwa s[12:13], v27, v23 src0_sel:BYTE_0 src1_sel:DWORD
	v_lshlrev_b64 v[28:29], v25, -1
	v_addc_co_u32_e32 v38, vcc, 0, v25, vcc
	v_and_b32_e32 v30, s13, v29
	v_lshlrev_b32_e32 v38, 2, v38
	v_or_b32_e32 v30, 0x80000000, v30
	ds_bpermute_b32 v40, v38, v26
	v_and_b32_e32 v31, s12, v28
	v_ffbl_b32_e32 v30, v30
	v_add_u32_e32 v30, 32, v30
	v_ffbl_b32_e32 v31, v31
	v_min_u32_e32 v30, v31, v30
	v_add_u32_e32 v39, 1, v25
	v_cmp_le_u32_e32 vcc, v39, v30
	v_add_u32_e32 v41, 2, v25
	v_add_u32_e32 v43, 4, v25
	s_waitcnt lgkmcnt(0)
	v_cndmask_b32_e32 v31, 0, v40, vcc
	v_cmp_gt_u32_e32 vcc, 62, v46
	v_add_u32_e32 v26, v31, v26
	v_add_u32_e32 v45, 8, v25
	v_cndmask_b32_e64 v31, 0, 1, vcc
	v_lshlrev_b32_e32 v31, 1, v31
	v_add_lshl_u32 v40, v31, v25, 2
	ds_bpermute_b32 v31, v40, v26
	v_cmp_le_u32_e32 vcc, v41, v30
	v_add_u32_e32 v48, 16, v25
	v_add_u32_e32 v50, 32, v25
	s_waitcnt lgkmcnt(0)
	v_cndmask_b32_e32 v31, 0, v31, vcc
	v_cmp_gt_u32_e32 vcc, 60, v46
	v_add_u32_e32 v26, v26, v31
	s_nop 0
	v_cndmask_b32_e64 v31, 0, 1, vcc
	v_lshlrev_b32_e32 v31, 2, v31
	v_add_lshl_u32 v42, v31, v25, 2
	ds_bpermute_b32 v31, v42, v26
	v_cmp_le_u32_e32 vcc, v43, v30
	s_waitcnt lgkmcnt(0)
	s_nop 0
	v_cndmask_b32_e32 v31, 0, v31, vcc
	v_cmp_gt_u32_e32 vcc, 56, v46
	v_add_u32_e32 v26, v26, v31
	s_nop 0
	v_cndmask_b32_e64 v31, 0, 1, vcc
	v_lshlrev_b32_e32 v31, 3, v31
	v_add_lshl_u32 v44, v31, v25, 2
	ds_bpermute_b32 v31, v44, v26
	v_cmp_le_u32_e32 vcc, v45, v30
	s_waitcnt lgkmcnt(0)
	s_nop 0
	;; [unrolled: 11-line block ×4, first 2 shown]
	v_cndmask_b32_e32 v25, 0, v31, vcc
	v_add_u32_e32 v26, v26, v25
	v_mov_b32_e32 v25, 0
	s_branch .LBB119_20
.LBB119_19:                             ;   in Loop: Header=BB119_20 Depth=1
	s_or_b64 exec, exec, s[12:13]
	v_cmp_eq_u16_sdwa s[12:13], v27, v23 src0_sel:BYTE_0 src1_sel:DWORD
	ds_bpermute_b32 v51, v38, v26
	v_subrev_u32_e32 v24, 64, v24
	v_and_b32_e32 v30, s13, v29
	v_or_b32_e32 v30, 0x80000000, v30
	v_and_b32_e32 v31, s12, v28
	v_ffbl_b32_e32 v30, v30
	v_add_u32_e32 v30, 32, v30
	v_ffbl_b32_e32 v31, v31
	v_min_u32_e32 v30, v31, v30
	v_cmp_le_u32_e32 vcc, v39, v30
	s_waitcnt lgkmcnt(0)
	s_nop 0
	v_cndmask_b32_e32 v31, 0, v51, vcc
	v_add_u32_e32 v26, v31, v26
	ds_bpermute_b32 v31, v40, v26
	v_cmp_le_u32_e32 vcc, v41, v30
	s_waitcnt lgkmcnt(0)
	s_nop 0
	v_cndmask_b32_e32 v31, 0, v31, vcc
	v_add_u32_e32 v26, v26, v31
	ds_bpermute_b32 v31, v42, v26
	;; [unrolled: 6-line block ×5, first 2 shown]
	v_cmp_le_u32_e32 vcc, v50, v30
	s_waitcnt lgkmcnt(0)
	s_nop 0
	v_cndmask_b32_e32 v30, 0, v31, vcc
	v_add3_u32 v26, v30, v46, v26
.LBB119_20:                             ; =>This Loop Header: Depth=1
                                        ;     Child Loop BB119_23 Depth 2
	v_cmp_ne_u16_sdwa s[12:13], v27, v23 src0_sel:BYTE_0 src1_sel:DWORD
	v_mov_b32_e32 v46, v26
	s_nop 0
	v_cndmask_b32_e64 v27, 0, 1, s[12:13]
	;;#ASMSTART
	;;#ASMEND
	s_nop 0
	v_cmp_ne_u32_e32 vcc, 0, v27
	s_cmp_lg_u64 vcc, exec
	s_cbranch_scc1 .LBB119_25
; %bb.21:                               ;   in Loop: Header=BB119_20 Depth=1
	v_lshl_add_u64 v[30:31], v[24:25], 3, s[8:9]
	global_load_dwordx2 v[26:27], v[30:31], off sc1
	s_waitcnt vmcnt(0)
	v_cmp_eq_u16_sdwa s[14:15], v27, v25 src0_sel:BYTE_0 src1_sel:DWORD
	s_and_saveexec_b64 s[12:13], s[14:15]
	s_cbranch_execz .LBB119_19
; %bb.22:                               ;   in Loop: Header=BB119_20 Depth=1
	s_mov_b64 s[14:15], 0
.LBB119_23:                             ;   Parent Loop BB119_20 Depth=1
                                        ; =>  This Inner Loop Header: Depth=2
	global_load_dwordx2 v[26:27], v[30:31], off sc1
	s_waitcnt vmcnt(0)
	v_cmp_ne_u16_sdwa s[16:17], v27, v25 src0_sel:BYTE_0 src1_sel:DWORD
	s_or_b64 s[14:15], s[16:17], s[14:15]
	s_andn2_b64 exec, exec, s[14:15]
	s_cbranch_execnz .LBB119_23
; %bb.24:                               ;   in Loop: Header=BB119_20 Depth=1
	s_or_b64 exec, exec, s[14:15]
	s_branch .LBB119_19
.LBB119_25:                             ;   in Loop: Header=BB119_20 Depth=1
                                        ; implicit-def: $vgpr26
                                        ; implicit-def: $vgpr27
	s_cbranch_execz .LBB119_20
; %bb.26:
	s_and_saveexec_b64 s[12:13], s[4:5]
	s_cbranch_execz .LBB119_28
; %bb.27:
	s_add_i32 s2, s2, 64
	s_mov_b32 s3, 0
	s_lshl_b64 s[2:3], s[2:3], 3
	s_add_u32 s2, s8, s2
	s_addc_u32 s3, s9, s3
	v_mov_b32_e32 v24, 0
	v_add_u32_e32 v22, v46, v22
	v_mov_b32_e32 v23, 2
	global_store_dwordx2 v24, v[22:23], s[2:3] sc1
.LBB119_28:
	s_or_b64 exec, exec, s[12:13]
	v_cmp_eq_u32_e32 vcc, 0, v0
	s_and_b64 exec, exec, vcc
	s_cbranch_execz .LBB119_30
; %bb.29:
	v_mov_b32_e32 v22, 0
	ds_write_b32 v22, v46 offset:12
.LBB119_30:
	s_or_b64 exec, exec, s[10:11]
	v_mov_b32_e32 v22, 0
	s_waitcnt lgkmcnt(0)
	s_barrier
	ds_read_b32 v22, v22 offset:12
	v_cndmask_b32_e64 v23, v37, v36, s[4:5]
	v_cmp_ne_u32_e32 vcc, 0, v0
	s_nop 1
	v_cndmask_b32_e32 v23, 0, v23, vcc
	s_waitcnt lgkmcnt(0)
	v_add3_u32 v22, v23, v18, v22
	s_load_dwordx4 s[52:55], s[0:1], 0x40
	s_branch .LBB119_43
.LBB119_31:
                                        ; implicit-def: $vgpr22
	s_load_dwordx4 s[52:55], s[0:1], 0x40
	s_cbranch_execz .LBB119_43
; %bb.32:
	s_load_dword s2, s[0:1], 0x50
	v_cmp_eq_u32_e32 vcc, 0, v0
	s_waitcnt lgkmcnt(0)
	s_bitcmp1_b32 s2, 0
	s_cselect_b64 s[2:3], -1, 0
	s_and_b64 s[4:5], vcc, s[2:3]
	s_and_saveexec_b64 s[2:3], s[4:5]
	s_cbranch_execz .LBB119_34
; %bb.33:
	s_load_dword s4, s[52:53], 0x0
	s_waitcnt lgkmcnt(0)
	v_add_u32_e32 v18, s4, v18
.LBB119_34:
	s_or_b64 exec, exec, s[2:3]
	v_add3_u32 v22, v20, v19, v21
	v_add3_u32 v22, v22, v16, v17
	;; [unrolled: 1-line block ×10, first 2 shown]
	v_mbcnt_hi_u32_b32 v22, -1, v35
	v_and_b32_e32 v24, 15, v22
	v_mov_b32_dpp v25, v23 row_shr:1 row_mask:0xf bank_mask:0xf
	v_cmp_ne_u32_e64 s[2:3], 0, v24
	s_nop 1
	v_cndmask_b32_e64 v25, 0, v25, s[2:3]
	v_add_u32_e32 v23, v23, v25
	v_cmp_lt_u32_e64 s[2:3], 1, v24
	s_nop 0
	v_mov_b32_dpp v25, v23 row_shr:2 row_mask:0xf bank_mask:0xf
	v_cndmask_b32_e64 v25, 0, v25, s[2:3]
	v_add_u32_e32 v23, v23, v25
	v_cmp_lt_u32_e64 s[2:3], 3, v24
	s_nop 0
	v_mov_b32_dpp v25, v23 row_shr:4 row_mask:0xf bank_mask:0xf
	;; [unrolled: 5-line block ×3, first 2 shown]
	v_cndmask_b32_e64 v24, 0, v25, s[2:3]
	v_add_u32_e32 v23, v23, v24
	v_bfe_i32 v25, v22, 4, 1
	v_cmp_lt_u32_e64 s[2:3], 31, v22
	v_mov_b32_dpp v24, v23 row_bcast:15 row_mask:0xf bank_mask:0xf
	v_and_b32_e32 v24, v25, v24
	v_add_u32_e32 v23, v23, v24
	s_nop 1
	v_mov_b32_dpp v24, v23 row_bcast:31 row_mask:0xf bank_mask:0xf
	v_cndmask_b32_e64 v24, 0, v24, s[2:3]
	v_add_u32_e32 v23, v23, v24
	v_cmp_eq_u32_e64 s[2:3], v34, v0
	s_and_saveexec_b64 s[4:5], s[2:3]
	s_cbranch_execz .LBB119_36
; %bb.35:
	v_lshlrev_b32_e32 v24, 2, v33
	ds_write_b32 v24, v23
.LBB119_36:
	s_or_b64 exec, exec, s[4:5]
	v_cmp_gt_u32_e64 s[2:3], 4, v0
	s_waitcnt lgkmcnt(0)
	s_barrier
	s_and_saveexec_b64 s[4:5], s[2:3]
	s_cbranch_execz .LBB119_38
; %bb.37:
	v_lshlrev_b32_e32 v24, 2, v0
	ds_read_b32 v25, v24
	v_and_b32_e32 v26, 3, v22
	v_cmp_ne_u32_e64 s[2:3], 0, v26
	s_waitcnt lgkmcnt(0)
	v_mov_b32_dpp v27, v25 row_shr:1 row_mask:0xf bank_mask:0xf
	v_cndmask_b32_e64 v27, 0, v27, s[2:3]
	v_add_u32_e32 v25, v27, v25
	v_cmp_lt_u32_e64 s[2:3], 1, v26
	s_nop 0
	v_mov_b32_dpp v27, v25 row_shr:2 row_mask:0xf bank_mask:0xf
	v_cndmask_b32_e64 v26, 0, v27, s[2:3]
	v_add_u32_e32 v25, v25, v26
	ds_write_b32 v24, v25
.LBB119_38:
	s_or_b64 exec, exec, s[4:5]
	v_cmp_lt_u32_e64 s[2:3], 63, v0
	s_waitcnt lgkmcnt(0)
	s_barrier
	s_waitcnt lgkmcnt(0)
                                        ; implicit-def: $vgpr24
	s_and_saveexec_b64 s[4:5], s[2:3]
	s_cbranch_execz .LBB119_40
; %bb.39:
	v_lshl_add_u32 v24, v33, 2, -4
	ds_read_b32 v24, v24
	s_waitcnt lgkmcnt(0)
	v_add_u32_e32 v23, v24, v23
.LBB119_40:
	s_or_b64 exec, exec, s[4:5]
	v_add_u32_e32 v25, -1, v22
	v_and_b32_e32 v26, 64, v22
	v_cmp_lt_i32_e64 s[2:3], v25, v26
	s_nop 1
	v_cndmask_b32_e64 v25, v25, v22, s[2:3]
	v_lshlrev_b32_e32 v25, 2, v25
	ds_bpermute_b32 v23, v25, v23
	v_cmp_eq_u32_e64 s[2:3], 0, v22
	s_waitcnt lgkmcnt(0)
	s_nop 0
	v_cndmask_b32_e64 v22, v23, v24, s[2:3]
	v_cndmask_b32_e64 v22, v22, 0, vcc
	s_and_saveexec_b64 s[2:3], vcc
	s_cbranch_execz .LBB119_42
; %bb.41:
	v_mov_b32_e32 v23, 0
	ds_read_b32 v24, v23 offset:12
	v_mov_b32_e32 v25, 2
	s_waitcnt lgkmcnt(0)
	global_store_dwordx2 v23, v[24:25], s[8:9] offset:512 sc1
.LBB119_42:
	s_or_b64 exec, exec, s[2:3]
	v_add_u32_e32 v22, v22, v18
.LBB119_43:
	v_add_u32_e32 v18, v22, v19
	v_add_u32_e32 v19, v18, v20
	;; [unrolled: 1-line block ×20, first 2 shown]
	s_mov_b32 s43, 0
	s_mov_b64 s[2:3], -1
	s_and_b64 vcc, exec, s[6:7]
	s_waitcnt lgkmcnt(0)
	s_barrier
	s_cbranch_vccz .LBB119_47
; %bb.44:
	v_mul_u32_u24_e32 v1, 0x54, v0
	s_add_u32 s2, s48, s42
	ds_write2_b32 v1, v22, v18 offset1:1
	ds_write2_b32 v1, v19, v20 offset0:2 offset1:3
	ds_write2_b32 v1, v16, v17 offset0:4 offset1:5
	;; [unrolled: 1-line block ×9, first 2 shown]
	ds_write_b32 v1, v21 offset:80
	v_mov_b32_e32 v1, 0
	s_addc_u32 s3, s49, 0
	v_lshl_add_u64 v[24:25], s[2:3], 0, v[0:1]
	s_mov_b64 s[4:5], 0x100
	v_lshl_add_u64 v[26:27], v[24:25], 0, s[4:5]
	v_cmp_eq_u64_e64 s[2:3], s[46:47], v[24:25]
	v_cmp_eq_u64_e32 vcc, s[46:47], v[26:27]
	s_or_b64 s[4:5], s[2:3], vcc
	s_mov_b64 s[2:3], 0x200
	v_lshl_add_u64 v[26:27], v[24:25], 0, s[2:3]
	v_cmp_eq_u64_e64 s[2:3], s[46:47], v[26:27]
	s_or_b64 s[6:7], s[2:3], s[4:5]
	s_mov_b64 s[4:5], 0x300
	v_lshl_add_u64 v[26:27], v[24:25], 0, s[4:5]
	v_cmp_eq_u64_e64 s[4:5], s[46:47], v[26:27]
	s_or_b64 s[8:9], s[4:5], s[6:7]
	;; [unrolled: 4-line block ×19, first 2 shown]
	s_waitcnt lgkmcnt(0)
	s_barrier
	s_and_saveexec_b64 s[50:51], s[52:53]
	s_cbranch_execz .LBB119_46
; %bb.45:
	v_lshlrev_b32_e32 v23, 2, v0
	ds_read_b32 v33, v23 offset:20480
	ds_read2st64_b32 v[24:25], v23 offset0:72 offset1:76
	ds_read2st64_b32 v[26:27], v23 offset0:64 offset1:68
	;; [unrolled: 1-line block ×5, first 2 shown]
	ds_read2st64_b32 v[36:37], v23 offset1:4
	ds_read2st64_b32 v[38:39], v23 offset0:8 offset1:12
	ds_read2st64_b32 v[40:41], v23 offset0:32 offset1:36
	;; [unrolled: 1-line block ×4, first 2 shown]
	s_waitcnt lgkmcnt(4)
	v_cndmask_b32_e32 v23, v36, v37, vcc
	s_waitcnt lgkmcnt(3)
	v_cndmask_b32_e64 v23, v23, v38, s[2:3]
	v_cndmask_b32_e64 v23, v23, v39, s[4:5]
	s_waitcnt lgkmcnt(1)
	v_cndmask_b32_e64 v23, v23, v42, s[6:7]
	v_cndmask_b32_e64 v23, v23, v43, s[8:9]
	s_waitcnt lgkmcnt(0)
	v_cndmask_b32_e64 v23, v23, v44, s[10:11]
	v_cndmask_b32_e64 v23, v23, v45, s[12:13]
	v_cndmask_b32_e64 v23, v23, v40, s[14:15]
	v_cndmask_b32_e64 v23, v23, v41, s[16:17]
	;; [unrolled: 1-line block ×13, first 2 shown]
	global_store_dword v1, v23, s[44:45]
.LBB119_46:
	s_or_b64 exec, exec, s[50:51]
	s_mov_b64 s[2:3], 0
.LBB119_47:
	s_andn2_b64 vcc, exec, s[2:3]
	s_cbranch_vccnz .LBB119_128
; %bb.48:
	v_mul_u32_u24_e32 v1, 0x54, v0
	ds_write2_b32 v1, v22, v18 offset1:1
	ds_write2_b32 v1, v19, v20 offset0:2 offset1:3
	ds_write2_b32 v1, v16, v17 offset0:4 offset1:5
	ds_write2_b32 v1, v14, v15 offset0:6 offset1:7
	ds_write2_b32 v1, v12, v13 offset0:8 offset1:9
	ds_write2_b32 v1, v10, v11 offset0:10 offset1:11
	ds_write2_b32 v1, v8, v9 offset0:12 offset1:13
	ds_write2_b32 v1, v6, v7 offset0:14 offset1:15
	ds_write2_b32 v1, v4, v5 offset0:16 offset1:17
	ds_write2_b32 v1, v2, v3 offset0:18 offset1:19
	ds_write_b32 v1, v21 offset:80
	v_mov_b32_e32 v1, 0
	v_lshl_add_u64 v[24:25], s[42:43], 0, v[0:1]
	s_movk_i32 s2, 0x54
	v_mul_i32_i24_e32 v2, 0xffffffb0, v0
	v_lshl_add_u64 v[24:25], v[24:25], 0, s[48:49]
	v_mad_u32_u24 v22, v0, s2, v2
	v_cmp_gt_u32_e32 vcc, s33, v0
	v_cmp_eq_u64_e64 s[2:3], s[46:47], v[24:25]
	s_and_b64 s[4:5], vcc, s[2:3]
	s_mov_b64 s[2:3], 0x100
	v_or_b32_e32 v23, 0x100, v0
	v_lshl_add_u64 v[26:27], v[24:25], 0, s[2:3]
	v_cmp_gt_u32_e32 vcc, s33, v23
	v_cmp_eq_u64_e64 s[2:3], s[46:47], v[26:27]
	s_and_b64 vcc, vcc, s[2:3]
	s_or_b64 s[6:7], s[4:5], vcc
	s_mov_b64 s[4:5], 0x200
	v_or_b32_e32 v28, 0x200, v0
	v_lshl_add_u64 v[26:27], v[24:25], 0, s[4:5]
	v_cmp_gt_u32_e64 s[2:3], s33, v28
	v_cmp_eq_u64_e64 s[4:5], s[46:47], v[26:27]
	s_and_b64 s[2:3], s[2:3], s[4:5]
	s_or_b64 s[8:9], s[2:3], s[6:7]
	s_mov_b64 s[6:7], 0x300
	v_or_b32_e32 v29, 0x300, v0
	v_lshl_add_u64 v[26:27], v[24:25], 0, s[6:7]
	v_cmp_gt_u32_e64 s[4:5], s33, v29
	v_cmp_eq_u64_e64 s[6:7], s[46:47], v[26:27]
	s_and_b64 s[4:5], s[4:5], s[6:7]
	s_or_b64 s[10:11], s[4:5], s[8:9]
	;; [unrolled: 7-line block ×17, first 2 shown]
	s_mov_b64 s[40:41], 0x1300
	v_or_b32_e32 v46, 0x1300, v0
	v_lshl_add_u64 v[26:27], v[24:25], 0, s[40:41]
	v_cmp_gt_u32_e64 s[38:39], s33, v46
	v_cmp_eq_u64_e64 s[40:41], s[46:47], v[26:27]
	s_and_b64 s[38:39], s[38:39], s[40:41]
	s_waitcnt lgkmcnt(0)
	s_barrier
	ds_read2st64_b32 v[4:5], v22 offset1:4
	ds_read2st64_b32 v[6:7], v22 offset0:8 offset1:12
	ds_read2st64_b32 v[8:9], v22 offset0:16 offset1:20
	;; [unrolled: 1-line block ×9, first 2 shown]
	ds_read_b32 v22, v22 offset:20480
	s_or_b64 s[48:49], s[38:39], s[42:43]
	s_mov_b64 s[42:43], 0x1400
	v_or_b32_e32 v47, 0x1400, v0
	v_lshl_add_u64 v[24:25], v[24:25], 0, s[42:43]
	v_cmp_gt_u32_e64 s[40:41], s33, v47
	v_cmp_eq_u64_e64 s[42:43], s[46:47], v[24:25]
	s_and_b64 s[40:41], s[40:41], s[42:43]
	s_or_b64 s[46:47], s[40:41], s[48:49]
	s_and_saveexec_b64 s[42:43], s[46:47]
	s_cbranch_execz .LBB119_50
; %bb.49:
	s_waitcnt lgkmcnt(10)
	v_cndmask_b32_e32 v23, v4, v5, vcc
	s_waitcnt lgkmcnt(9)
	v_cndmask_b32_e64 v23, v23, v6, s[2:3]
	v_cndmask_b32_e64 v23, v23, v7, s[4:5]
	s_waitcnt lgkmcnt(8)
	v_cndmask_b32_e64 v23, v23, v8, s[6:7]
	v_cndmask_b32_e64 v23, v23, v9, s[8:9]
	;; [unrolled: 3-line block ×9, first 2 shown]
	s_waitcnt lgkmcnt(0)
	v_cndmask_b32_e64 v23, v23, v22, s[40:41]
	global_store_dword v1, v23, s[44:45]
.LBB119_50:
	s_or_b64 exec, exec, s[42:43]
	s_load_dword s0, s[0:1], 0x50
	s_waitcnt lgkmcnt(0)
	s_bfe_u32 s0, s0, 0x10008
	s_cmp_eq_u32 s0, 0
	s_cbranch_scc1 .LBB119_128
; %bb.51:
	s_add_u32 s0, s33, -1
	s_addc_u32 s1, s56, -1
	s_add_u32 s2, 0, 0x30c26c00
	s_addc_u32 s3, 0, 44
	s_add_i32 s3, s3, 0xc30c2e0
	s_mul_hi_u32 s7, s2, 0xffffffeb
	s_sub_i32 s7, s7, s2
	s_mul_i32 s8, s3, 0xffffffeb
	s_mul_i32 s4, s2, 0xffffffeb
	s_add_i32 s7, s7, s8
	s_mul_hi_u32 s5, s3, s4
	s_mul_i32 s6, s3, s4
	s_mul_i32 s9, s2, s7
	s_mul_hi_u32 s4, s2, s4
	s_mul_hi_u32 s8, s2, s7
	s_add_u32 s4, s4, s9
	s_addc_u32 s8, 0, s8
	s_add_u32 s4, s4, s6
	s_mul_hi_u32 s9, s3, s7
	s_addc_u32 s4, s8, s5
	s_addc_u32 s5, s9, 0
	s_mul_i32 s6, s3, s7
	s_add_u32 s4, s4, s6
	v_mov_b32_e32 v23, s4
	s_addc_u32 s5, 0, s5
	v_add_co_u32_e32 v23, vcc, s2, v23
	s_cmp_lg_u64 vcc, 0
	s_addc_u32 s2, s3, s5
	v_readfirstlane_b32 s5, v23
	s_mul_i32 s4, s0, s2
	s_mul_hi_u32 s6, s0, s5
	s_mul_hi_u32 s3, s0, s2
	s_add_u32 s4, s6, s4
	s_addc_u32 s3, 0, s3
	s_mul_hi_u32 s7, s1, s5
	s_mul_i32 s5, s1, s5
	s_add_u32 s4, s4, s5
	s_mul_hi_u32 s6, s1, s2
	s_addc_u32 s3, s3, s7
	s_addc_u32 s4, s6, 0
	s_mul_i32 s2, s1, s2
	s_add_u32 s2, s3, s2
	s_addc_u32 s3, 0, s4
	s_add_u32 s4, s2, 1
	s_addc_u32 s5, s3, 0
	s_add_u32 s6, s2, 2
	s_mul_i32 s8, s3, 21
	s_mul_hi_u32 s9, s2, 21
	s_addc_u32 s7, s3, 0
	s_add_i32 s9, s9, s8
	s_mul_i32 s8, s2, 21
	v_mov_b32_e32 v23, s8
	v_sub_co_u32_e32 v23, vcc, s0, v23
	s_cmp_lg_u64 vcc, 0
	s_subb_u32 s8, s1, s9
	v_subrev_co_u32_e32 v24, vcc, 21, v23
	s_cmp_lg_u64 vcc, 0
	s_subb_u32 s9, s8, 0
	v_readfirstlane_b32 s10, v24
	s_cmp_gt_u32 s10, 20
	s_cselect_b32 s10, -1, 0
	s_cmp_eq_u32 s9, 0
	s_cselect_b32 s9, s10, -1
	s_cmp_lg_u32 s9, 0
	s_cselect_b32 s4, s6, s4
	v_readfirstlane_b32 s6, v23
	s_cselect_b32 s5, s7, s5
	s_cmp_gt_u32 s6, 20
	s_cselect_b32 s6, -1, 0
	s_cmp_eq_u32 s8, 0
	s_cselect_b32 s6, s6, -1
	s_cmp_lg_u32 s6, 0
	s_cselect_b32 s3, s5, s3
	s_cselect_b32 s2, s4, s2
	v_cmp_eq_u64_e32 vcc, s[2:3], v[0:1]
	s_and_saveexec_b64 s[2:3], vcc
	s_cbranch_execz .LBB119_128
; %bb.52:
	v_mul_hi_u32_u24_e32 v1, 21, v0
	v_mov_b32_e32 v23, s1
	v_sub_co_u32_e32 v0, vcc, s0, v32
	s_nop 1
	v_subb_co_u32_e32 v1, vcc, v23, v1, vcc
	v_cmp_lt_i64_e32 vcc, 10, v[0:1]
	s_and_saveexec_b64 s[0:1], vcc
	s_xor_b64 s[0:1], exec, s[0:1]
	s_cbranch_execz .LBB119_90
; %bb.53:
	v_cmp_lt_i64_e32 vcc, 15, v[0:1]
	s_and_saveexec_b64 s[2:3], vcc
	s_xor_b64 s[2:3], exec, s[2:3]
	s_cbranch_execz .LBB119_71
; %bb.54:
	;; [unrolled: 5-line block ×5, first 2 shown]
	v_mov_b32_e32 v0, 0
	global_store_dword v0, v22, s[54:55]
                                        ; implicit-def: $vgpr18_vgpr19
.LBB119_58:
	s_andn2_saveexec_b64 s[8:9], s[8:9]
	s_cbranch_execz .LBB119_60
; %bb.59:
	v_mov_b32_e32 v0, 0
	global_store_dword v0, v19, s[54:55]
.LBB119_60:
	s_or_b64 exec, exec, s[8:9]
                                        ; implicit-def: $vgpr18_vgpr19
.LBB119_61:
	s_andn2_saveexec_b64 s[6:7], s[6:7]
	s_cbranch_execz .LBB119_63
; %bb.62:
	v_mov_b32_e32 v0, 0
	global_store_dword v0, v18, s[54:55]
.LBB119_63:
	s_or_b64 exec, exec, s[6:7]
                                        ; implicit-def: $vgpr20_vgpr21
                                        ; implicit-def: $vgpr0_vgpr1
.LBB119_64:
	s_andn2_saveexec_b64 s[4:5], s[4:5]
	s_cbranch_execz .LBB119_70
; %bb.65:
	v_cmp_lt_i64_e32 vcc, 16, v[0:1]
	s_and_saveexec_b64 s[6:7], vcc
	s_xor_b64 s[6:7], exec, s[6:7]
	s_cbranch_execz .LBB119_67
; %bb.66:
	v_mov_b32_e32 v0, 0
	global_store_dword v0, v21, s[54:55]
                                        ; implicit-def: $vgpr20_vgpr21
.LBB119_67:
	s_andn2_saveexec_b64 s[6:7], s[6:7]
	s_cbranch_execz .LBB119_69
; %bb.68:
	v_mov_b32_e32 v0, 0
	global_store_dword v0, v20, s[54:55]
.LBB119_69:
	s_or_b64 exec, exec, s[6:7]
.LBB119_70:
	s_or_b64 exec, exec, s[4:5]
                                        ; implicit-def: $vgpr0_vgpr1
                                        ; implicit-def: $vgpr2_vgpr3
                                        ; implicit-def: $vgpr14_vgpr15
                                        ; implicit-def: $vgpr16_vgpr17
.LBB119_71:
	s_andn2_saveexec_b64 s[2:3], s[2:3]
	s_cbranch_execz .LBB119_89
; %bb.72:
	v_cmp_lt_i64_e32 vcc, 12, v[0:1]
	s_and_saveexec_b64 s[4:5], vcc
	s_xor_b64 s[4:5], exec, s[4:5]
	s_cbranch_execz .LBB119_82
; %bb.73:
	v_cmp_lt_i64_e32 vcc, 13, v[0:1]
	s_and_saveexec_b64 s[6:7], vcc
	s_xor_b64 s[6:7], exec, s[6:7]
	;; [unrolled: 5-line block ×3, first 2 shown]
	s_cbranch_execz .LBB119_76
; %bb.75:
	v_mov_b32_e32 v0, 0
	global_store_dword v0, v17, s[54:55]
                                        ; implicit-def: $vgpr16_vgpr17
.LBB119_76:
	s_andn2_saveexec_b64 s[8:9], s[8:9]
	s_cbranch_execz .LBB119_78
; %bb.77:
	v_mov_b32_e32 v0, 0
	global_store_dword v0, v16, s[54:55]
.LBB119_78:
	s_or_b64 exec, exec, s[8:9]
                                        ; implicit-def: $vgpr14_vgpr15
.LBB119_79:
	s_andn2_saveexec_b64 s[6:7], s[6:7]
	s_cbranch_execz .LBB119_81
; %bb.80:
	v_mov_b32_e32 v0, 0
	global_store_dword v0, v15, s[54:55]
.LBB119_81:
	s_or_b64 exec, exec, s[6:7]
                                        ; implicit-def: $vgpr2_vgpr3
                                        ; implicit-def: $vgpr0_vgpr1
                                        ; implicit-def: $vgpr14_vgpr15
.LBB119_82:
	s_andn2_saveexec_b64 s[4:5], s[4:5]
	s_cbranch_execz .LBB119_88
; %bb.83:
	v_cmp_lt_i64_e32 vcc, 11, v[0:1]
	s_and_saveexec_b64 s[6:7], vcc
	s_xor_b64 s[6:7], exec, s[6:7]
	s_cbranch_execz .LBB119_85
; %bb.84:
	v_mov_b32_e32 v0, 0
	global_store_dword v0, v14, s[54:55]
                                        ; implicit-def: $vgpr2_vgpr3
.LBB119_85:
	s_andn2_saveexec_b64 s[6:7], s[6:7]
	s_cbranch_execz .LBB119_87
; %bb.86:
	v_mov_b32_e32 v0, 0
	global_store_dword v0, v3, s[54:55]
.LBB119_87:
	s_or_b64 exec, exec, s[6:7]
.LBB119_88:
	s_or_b64 exec, exec, s[4:5]
.LBB119_89:
	s_or_b64 exec, exec, s[2:3]
                                        ; implicit-def: $vgpr0_vgpr1
                                        ; implicit-def: $vgpr12_vgpr13
                                        ; implicit-def: $vgpr6_vgpr7
                                        ; implicit-def: $vgpr4_vgpr5
                                        ; implicit-def: $vgpr10_vgpr11
                                        ; implicit-def: $vgpr8_vgpr9
                                        ; implicit-def: $vgpr2_vgpr3
.LBB119_90:
	s_andn2_saveexec_b64 s[0:1], s[0:1]
	s_cbranch_execz .LBB119_128
; %bb.91:
	v_cmp_lt_i64_e32 vcc, 5, v[0:1]
	s_and_saveexec_b64 s[0:1], vcc
	s_xor_b64 s[0:1], exec, s[0:1]
	s_cbranch_execz .LBB119_109
; %bb.92:
	v_cmp_lt_i64_e32 vcc, 7, v[0:1]
	s_and_saveexec_b64 s[2:3], vcc
	s_xor_b64 s[2:3], exec, s[2:3]
	;; [unrolled: 5-line block ×4, first 2 shown]
	s_cbranch_execz .LBB119_96
; %bb.95:
	v_mov_b32_e32 v0, 0
	global_store_dword v0, v2, s[54:55]
                                        ; implicit-def: $vgpr10_vgpr11
.LBB119_96:
	s_andn2_saveexec_b64 s[6:7], s[6:7]
	s_cbranch_execz .LBB119_98
; %bb.97:
	v_mov_b32_e32 v0, 0
	global_store_dword v0, v11, s[54:55]
.LBB119_98:
	s_or_b64 exec, exec, s[6:7]
                                        ; implicit-def: $vgpr10_vgpr11
.LBB119_99:
	s_andn2_saveexec_b64 s[4:5], s[4:5]
	s_cbranch_execz .LBB119_101
; %bb.100:
	v_mov_b32_e32 v0, 0
	global_store_dword v0, v10, s[54:55]
.LBB119_101:
	s_or_b64 exec, exec, s[4:5]
                                        ; implicit-def: $vgpr12_vgpr13
                                        ; implicit-def: $vgpr0_vgpr1
.LBB119_102:
	s_andn2_saveexec_b64 s[2:3], s[2:3]
	s_cbranch_execz .LBB119_108
; %bb.103:
	v_cmp_lt_i64_e32 vcc, 6, v[0:1]
	s_and_saveexec_b64 s[4:5], vcc
	s_xor_b64 s[4:5], exec, s[4:5]
	s_cbranch_execz .LBB119_105
; %bb.104:
	v_mov_b32_e32 v0, 0
	global_store_dword v0, v13, s[54:55]
                                        ; implicit-def: $vgpr12_vgpr13
.LBB119_105:
	s_andn2_saveexec_b64 s[4:5], s[4:5]
	s_cbranch_execz .LBB119_107
; %bb.106:
	v_mov_b32_e32 v0, 0
	global_store_dword v0, v12, s[54:55]
.LBB119_107:
	s_or_b64 exec, exec, s[4:5]
.LBB119_108:
	s_or_b64 exec, exec, s[2:3]
                                        ; implicit-def: $vgpr0_vgpr1
                                        ; implicit-def: $vgpr6_vgpr7
                                        ; implicit-def: $vgpr4_vgpr5
                                        ; implicit-def: $vgpr8_vgpr9
.LBB119_109:
	s_andn2_saveexec_b64 s[0:1], s[0:1]
	s_cbranch_execz .LBB119_128
; %bb.110:
	v_cmp_lt_i64_e32 vcc, 2, v[0:1]
	s_and_saveexec_b64 s[0:1], vcc
	s_xor_b64 s[0:1], exec, s[0:1]
	s_cbranch_execz .LBB119_120
; %bb.111:
	v_cmp_lt_i64_e32 vcc, 3, v[0:1]
	s_and_saveexec_b64 s[2:3], vcc
	s_xor_b64 s[2:3], exec, s[2:3]
	;; [unrolled: 5-line block ×3, first 2 shown]
	s_cbranch_execz .LBB119_114
; %bb.113:
	v_mov_b32_e32 v0, 0
	global_store_dword v0, v9, s[54:55]
                                        ; implicit-def: $vgpr8_vgpr9
.LBB119_114:
	s_andn2_saveexec_b64 s[4:5], s[4:5]
	s_cbranch_execz .LBB119_116
; %bb.115:
	v_mov_b32_e32 v0, 0
	global_store_dword v0, v8, s[54:55]
.LBB119_116:
	s_or_b64 exec, exec, s[4:5]
                                        ; implicit-def: $vgpr6_vgpr7
.LBB119_117:
	s_andn2_saveexec_b64 s[2:3], s[2:3]
	s_cbranch_execz .LBB119_119
; %bb.118:
	v_mov_b32_e32 v0, 0
	global_store_dword v0, v7, s[54:55]
.LBB119_119:
	s_or_b64 exec, exec, s[2:3]
                                        ; implicit-def: $vgpr0_vgpr1
                                        ; implicit-def: $vgpr6_vgpr7
                                        ; implicit-def: $vgpr4_vgpr5
.LBB119_120:
	s_andn2_saveexec_b64 s[0:1], s[0:1]
	s_cbranch_execz .LBB119_128
; %bb.121:
	v_cmp_lt_i64_e32 vcc, 1, v[0:1]
	s_and_saveexec_b64 s[0:1], vcc
	s_xor_b64 s[0:1], exec, s[0:1]
	s_cbranch_execz .LBB119_123
; %bb.122:
	v_mov_b32_e32 v0, 0
	global_store_dword v0, v6, s[54:55]
                                        ; implicit-def: $vgpr4_vgpr5
                                        ; implicit-def: $vgpr0_vgpr1
.LBB119_123:
	s_andn2_saveexec_b64 s[0:1], s[0:1]
	s_cbranch_execz .LBB119_128
; %bb.124:
	v_cmp_ne_u64_e32 vcc, 1, v[0:1]
	s_and_saveexec_b64 s[0:1], vcc
	s_xor_b64 s[0:1], exec, s[0:1]
	s_cbranch_execz .LBB119_126
; %bb.125:
	v_mov_b32_e32 v0, 0
	global_store_dword v0, v4, s[54:55]
                                        ; implicit-def: $vgpr4_vgpr5
.LBB119_126:
	s_andn2_saveexec_b64 s[0:1], s[0:1]
	s_cbranch_execz .LBB119_128
; %bb.127:
	v_mov_b32_e32 v0, 0
	global_store_dword v0, v5, s[54:55]
.LBB119_128:
	s_endpgm
	.section	.rodata,"a",@progbits
	.p2align	6, 0x0
	.amdhsa_kernel _ZN7rocprim6detail20lookback_scan_kernelILNS0_25lookback_scan_determinismE0ELb0ENS0_19wrapped_scan_configINS_14default_configEjEEN6hipcub21CountingInputIteratorIjlEEN10test_utils21single_index_iteratorIjEENS6_3SumEjjNS0_19lookback_scan_stateIjLb0ELb1EEEEEvT2_T3_mT5_T4_T7_jPT6_SL_bb
		.amdhsa_group_segment_fixed_size 21504
		.amdhsa_private_segment_fixed_size 0
		.amdhsa_kernarg_size 84
		.amdhsa_user_sgpr_count 2
		.amdhsa_user_sgpr_dispatch_ptr 0
		.amdhsa_user_sgpr_queue_ptr 0
		.amdhsa_user_sgpr_kernarg_segment_ptr 1
		.amdhsa_user_sgpr_dispatch_id 0
		.amdhsa_user_sgpr_kernarg_preload_length 0
		.amdhsa_user_sgpr_kernarg_preload_offset 0
		.amdhsa_user_sgpr_private_segment_size 0
		.amdhsa_uses_dynamic_stack 0
		.amdhsa_enable_private_segment 0
		.amdhsa_system_sgpr_workgroup_id_x 1
		.amdhsa_system_sgpr_workgroup_id_y 0
		.amdhsa_system_sgpr_workgroup_id_z 0
		.amdhsa_system_sgpr_workgroup_info 0
		.amdhsa_system_vgpr_workitem_id 0
		.amdhsa_next_free_vgpr 52
		.amdhsa_next_free_sgpr 57
		.amdhsa_accum_offset 52
		.amdhsa_reserve_vcc 1
		.amdhsa_float_round_mode_32 0
		.amdhsa_float_round_mode_16_64 0
		.amdhsa_float_denorm_mode_32 3
		.amdhsa_float_denorm_mode_16_64 3
		.amdhsa_dx10_clamp 1
		.amdhsa_ieee_mode 1
		.amdhsa_fp16_overflow 0
		.amdhsa_tg_split 0
		.amdhsa_exception_fp_ieee_invalid_op 0
		.amdhsa_exception_fp_denorm_src 0
		.amdhsa_exception_fp_ieee_div_zero 0
		.amdhsa_exception_fp_ieee_overflow 0
		.amdhsa_exception_fp_ieee_underflow 0
		.amdhsa_exception_fp_ieee_inexact 0
		.amdhsa_exception_int_div_zero 0
	.end_amdhsa_kernel
	.section	.text._ZN7rocprim6detail20lookback_scan_kernelILNS0_25lookback_scan_determinismE0ELb0ENS0_19wrapped_scan_configINS_14default_configEjEEN6hipcub21CountingInputIteratorIjlEEN10test_utils21single_index_iteratorIjEENS6_3SumEjjNS0_19lookback_scan_stateIjLb0ELb1EEEEEvT2_T3_mT5_T4_T7_jPT6_SL_bb,"axG",@progbits,_ZN7rocprim6detail20lookback_scan_kernelILNS0_25lookback_scan_determinismE0ELb0ENS0_19wrapped_scan_configINS_14default_configEjEEN6hipcub21CountingInputIteratorIjlEEN10test_utils21single_index_iteratorIjEENS6_3SumEjjNS0_19lookback_scan_stateIjLb0ELb1EEEEEvT2_T3_mT5_T4_T7_jPT6_SL_bb,comdat
.Lfunc_end119:
	.size	_ZN7rocprim6detail20lookback_scan_kernelILNS0_25lookback_scan_determinismE0ELb0ENS0_19wrapped_scan_configINS_14default_configEjEEN6hipcub21CountingInputIteratorIjlEEN10test_utils21single_index_iteratorIjEENS6_3SumEjjNS0_19lookback_scan_stateIjLb0ELb1EEEEEvT2_T3_mT5_T4_T7_jPT6_SL_bb, .Lfunc_end119-_ZN7rocprim6detail20lookback_scan_kernelILNS0_25lookback_scan_determinismE0ELb0ENS0_19wrapped_scan_configINS_14default_configEjEEN6hipcub21CountingInputIteratorIjlEEN10test_utils21single_index_iteratorIjEENS6_3SumEjjNS0_19lookback_scan_stateIjLb0ELb1EEEEEvT2_T3_mT5_T4_T7_jPT6_SL_bb
                                        ; -- End function
	.section	.AMDGPU.csdata,"",@progbits
; Kernel info:
; codeLenInByte = 6996
; NumSgprs: 63
; NumVgprs: 52
; NumAgprs: 0
; TotalNumVgprs: 52
; ScratchSize: 0
; MemoryBound: 0
; FloatMode: 240
; IeeeMode: 1
; LDSByteSize: 21504 bytes/workgroup (compile time only)
; SGPRBlocks: 7
; VGPRBlocks: 6
; NumSGPRsForWavesPerEU: 63
; NumVGPRsForWavesPerEU: 52
; AccumOffset: 52
; Occupancy: 3
; WaveLimiterHint : 0
; COMPUTE_PGM_RSRC2:SCRATCH_EN: 0
; COMPUTE_PGM_RSRC2:USER_SGPR: 2
; COMPUTE_PGM_RSRC2:TRAP_HANDLER: 0
; COMPUTE_PGM_RSRC2:TGID_X_EN: 1
; COMPUTE_PGM_RSRC2:TGID_Y_EN: 0
; COMPUTE_PGM_RSRC2:TGID_Z_EN: 0
; COMPUTE_PGM_RSRC2:TIDIG_COMP_CNT: 0
; COMPUTE_PGM_RSRC3_GFX90A:ACCUM_OFFSET: 12
; COMPUTE_PGM_RSRC3_GFX90A:TG_SPLIT: 0
	.section	.text._ZN7rocprim6detail16transform_kernelINS0_24wrapped_transform_configINS_14default_configEjEEjPjS5_NS_8identityIjEEEEvT1_mT2_T3_,"axG",@progbits,_ZN7rocprim6detail16transform_kernelINS0_24wrapped_transform_configINS_14default_configEjEEjPjS5_NS_8identityIjEEEEvT1_mT2_T3_,comdat
	.protected	_ZN7rocprim6detail16transform_kernelINS0_24wrapped_transform_configINS_14default_configEjEEjPjS5_NS_8identityIjEEEEvT1_mT2_T3_ ; -- Begin function _ZN7rocprim6detail16transform_kernelINS0_24wrapped_transform_configINS_14default_configEjEEjPjS5_NS_8identityIjEEEEvT1_mT2_T3_
	.globl	_ZN7rocprim6detail16transform_kernelINS0_24wrapped_transform_configINS_14default_configEjEEjPjS5_NS_8identityIjEEEEvT1_mT2_T3_
	.p2align	8
	.type	_ZN7rocprim6detail16transform_kernelINS0_24wrapped_transform_configINS_14default_configEjEEjPjS5_NS_8identityIjEEEEvT1_mT2_T3_,@function
_ZN7rocprim6detail16transform_kernelINS0_24wrapped_transform_configINS_14default_configEjEEjPjS5_NS_8identityIjEEEEvT1_mT2_T3_: ; @_ZN7rocprim6detail16transform_kernelINS0_24wrapped_transform_configINS_14default_configEjEEjPjS5_NS_8identityIjEEEEvT1_mT2_T3_
; %bb.0:
	s_load_dword s3, s[0:1], 0x20
	s_load_dwordx4 s[4:7], s[0:1], 0x0
	s_load_dwordx2 s[8:9], s[0:1], 0x10
	s_lshl_b32 s0, s2, 10
	s_mov_b32 s1, 0
	s_waitcnt lgkmcnt(0)
	s_add_i32 s3, s3, -1
	s_lshl_b64 s[10:11], s[0:1], 2
	s_add_u32 s4, s4, s10
	s_addc_u32 s5, s5, s11
	v_mov_b32_e32 v7, 0
	v_lshlrev_b32_e32 v6, 2, v0
	s_cmp_lg_u32 s2, s3
	v_lshl_add_u64 v[8:9], s[4:5], 0, v[6:7]
	s_cbranch_scc0 .LBB120_2
; %bb.1:
	global_load_dword v2, v[8:9], off
	global_load_dword v3, v[8:9], off offset:1024
	global_load_dword v4, v[8:9], off offset:2048
	;; [unrolled: 1-line block ×3, first 2 shown]
	s_add_u32 s4, s8, s10
	s_addc_u32 s5, s9, s11
	s_mov_b64 s[12:13], -1
	s_waitcnt vmcnt(3)
	global_store_dword v6, v2, s[4:5]
	s_waitcnt vmcnt(3)
	global_store_dword v6, v3, s[4:5] offset:1024
	s_waitcnt vmcnt(3)
	global_store_dword v6, v4, s[4:5] offset:2048
	s_cbranch_execz .LBB120_3
	s_branch .LBB120_17
.LBB120_2:
	s_mov_b64 s[12:13], 0
                                        ; implicit-def: $vgpr1
.LBB120_3:
	s_sub_i32 s6, s6, s0
	v_cmp_gt_u32_e32 vcc, s6, v0
                                        ; implicit-def: $vgpr2_vgpr3_vgpr4_vgpr5
	s_and_saveexec_b64 s[0:1], vcc
	s_cbranch_execz .LBB120_5
; %bb.4:
	global_load_dword v2, v[8:9], off
.LBB120_5:
	s_or_b64 exec, exec, s[0:1]
	s_waitcnt vmcnt(3)
	v_or_b32_e32 v1, 0x100, v0
	v_cmp_gt_u32_e64 s[0:1], s6, v1
	s_and_saveexec_b64 s[2:3], s[0:1]
	s_cbranch_execz .LBB120_7
; %bb.6:
	global_load_dword v3, v[8:9], off offset:1024
.LBB120_7:
	s_or_b64 exec, exec, s[2:3]
	v_or_b32_e32 v1, 0x200, v0
	v_cmp_gt_u32_e64 s[2:3], s6, v1
	s_and_saveexec_b64 s[4:5], s[2:3]
	s_cbranch_execz .LBB120_9
; %bb.8:
	global_load_dword v4, v[8:9], off offset:2048
.LBB120_9:
	s_or_b64 exec, exec, s[4:5]
	v_or_b32_e32 v0, 0x300, v0
	v_cmp_gt_u32_e64 s[4:5], s6, v0
	s_and_saveexec_b64 s[6:7], s[4:5]
	s_cbranch_execz .LBB120_11
; %bb.10:
	global_load_dword v5, v[8:9], off offset:3072
.LBB120_11:
	s_or_b64 exec, exec, s[6:7]
	s_add_u32 s6, s8, s10
	s_addc_u32 s7, s9, s11
	v_mov_b32_e32 v7, 0
	v_lshl_add_u64 v[0:1], s[6:7], 0, v[6:7]
	s_and_saveexec_b64 s[6:7], vcc
	s_cbranch_execnz .LBB120_20
; %bb.12:
	s_or_b64 exec, exec, s[6:7]
	s_and_saveexec_b64 s[6:7], s[0:1]
	s_cbranch_execnz .LBB120_21
.LBB120_13:
	s_or_b64 exec, exec, s[6:7]
	s_and_saveexec_b64 s[0:1], s[2:3]
	s_cbranch_execnz .LBB120_22
.LBB120_14:
	s_or_b64 exec, exec, s[0:1]
                                        ; implicit-def: $vgpr1
	s_and_saveexec_b64 s[0:1], s[4:5]
	s_cbranch_execz .LBB120_16
.LBB120_15:
	s_waitcnt vmcnt(0)
	v_cndmask_b32_e64 v1, v5, v5, s[4:5]
	s_or_b64 s[12:13], s[12:13], exec
.LBB120_16:
	s_or_b64 exec, exec, s[0:1]
.LBB120_17:
	s_and_saveexec_b64 s[0:1], s[12:13]
	s_cbranch_execnz .LBB120_19
; %bb.18:
	s_endpgm
.LBB120_19:
	s_add_u32 s0, s8, s10
	s_addc_u32 s1, s9, s11
	s_waitcnt vmcnt(3)
	global_store_dword v6, v1, s[0:1] offset:3072
	s_endpgm
.LBB120_20:
	s_waitcnt vmcnt(0)
	global_store_dword v[0:1], v2, off
	s_or_b64 exec, exec, s[6:7]
	s_and_saveexec_b64 s[6:7], s[0:1]
	s_cbranch_execz .LBB120_13
.LBB120_21:
	s_waitcnt vmcnt(0)
	global_store_dword v[0:1], v3, off offset:1024
	s_or_b64 exec, exec, s[6:7]
	s_and_saveexec_b64 s[0:1], s[2:3]
	s_cbranch_execz .LBB120_14
.LBB120_22:
	s_waitcnt vmcnt(0)
	v_cndmask_b32_e64 v2, v4, v4, s[2:3]
	global_store_dword v[0:1], v2, off offset:2048
	s_or_b64 exec, exec, s[0:1]
                                        ; implicit-def: $vgpr1
	s_and_saveexec_b64 s[0:1], s[4:5]
	s_cbranch_execnz .LBB120_15
	s_branch .LBB120_16
	.section	.rodata,"a",@progbits
	.p2align	6, 0x0
	.amdhsa_kernel _ZN7rocprim6detail16transform_kernelINS0_24wrapped_transform_configINS_14default_configEjEEjPjS5_NS_8identityIjEEEEvT1_mT2_T3_
		.amdhsa_group_segment_fixed_size 0
		.amdhsa_private_segment_fixed_size 0
		.amdhsa_kernarg_size 288
		.amdhsa_user_sgpr_count 2
		.amdhsa_user_sgpr_dispatch_ptr 0
		.amdhsa_user_sgpr_queue_ptr 0
		.amdhsa_user_sgpr_kernarg_segment_ptr 1
		.amdhsa_user_sgpr_dispatch_id 0
		.amdhsa_user_sgpr_kernarg_preload_length 0
		.amdhsa_user_sgpr_kernarg_preload_offset 0
		.amdhsa_user_sgpr_private_segment_size 0
		.amdhsa_uses_dynamic_stack 0
		.amdhsa_enable_private_segment 0
		.amdhsa_system_sgpr_workgroup_id_x 1
		.amdhsa_system_sgpr_workgroup_id_y 0
		.amdhsa_system_sgpr_workgroup_id_z 0
		.amdhsa_system_sgpr_workgroup_info 0
		.amdhsa_system_vgpr_workitem_id 0
		.amdhsa_next_free_vgpr 10
		.amdhsa_next_free_sgpr 14
		.amdhsa_accum_offset 12
		.amdhsa_reserve_vcc 1
		.amdhsa_float_round_mode_32 0
		.amdhsa_float_round_mode_16_64 0
		.amdhsa_float_denorm_mode_32 3
		.amdhsa_float_denorm_mode_16_64 3
		.amdhsa_dx10_clamp 1
		.amdhsa_ieee_mode 1
		.amdhsa_fp16_overflow 0
		.amdhsa_tg_split 0
		.amdhsa_exception_fp_ieee_invalid_op 0
		.amdhsa_exception_fp_denorm_src 0
		.amdhsa_exception_fp_ieee_div_zero 0
		.amdhsa_exception_fp_ieee_overflow 0
		.amdhsa_exception_fp_ieee_underflow 0
		.amdhsa_exception_fp_ieee_inexact 0
		.amdhsa_exception_int_div_zero 0
	.end_amdhsa_kernel
	.section	.text._ZN7rocprim6detail16transform_kernelINS0_24wrapped_transform_configINS_14default_configEjEEjPjS5_NS_8identityIjEEEEvT1_mT2_T3_,"axG",@progbits,_ZN7rocprim6detail16transform_kernelINS0_24wrapped_transform_configINS_14default_configEjEEjPjS5_NS_8identityIjEEEEvT1_mT2_T3_,comdat
.Lfunc_end120:
	.size	_ZN7rocprim6detail16transform_kernelINS0_24wrapped_transform_configINS_14default_configEjEEjPjS5_NS_8identityIjEEEEvT1_mT2_T3_, .Lfunc_end120-_ZN7rocprim6detail16transform_kernelINS0_24wrapped_transform_configINS_14default_configEjEEjPjS5_NS_8identityIjEEEEvT1_mT2_T3_
                                        ; -- End function
	.section	.AMDGPU.csdata,"",@progbits
; Kernel info:
; codeLenInByte = 512
; NumSgprs: 20
; NumVgprs: 10
; NumAgprs: 0
; TotalNumVgprs: 10
; ScratchSize: 0
; MemoryBound: 0
; FloatMode: 240
; IeeeMode: 1
; LDSByteSize: 0 bytes/workgroup (compile time only)
; SGPRBlocks: 2
; VGPRBlocks: 1
; NumSGPRsForWavesPerEU: 20
; NumVGPRsForWavesPerEU: 10
; AccumOffset: 12
; Occupancy: 8
; WaveLimiterHint : 1
; COMPUTE_PGM_RSRC2:SCRATCH_EN: 0
; COMPUTE_PGM_RSRC2:USER_SGPR: 2
; COMPUTE_PGM_RSRC2:TRAP_HANDLER: 0
; COMPUTE_PGM_RSRC2:TGID_X_EN: 1
; COMPUTE_PGM_RSRC2:TGID_Y_EN: 0
; COMPUTE_PGM_RSRC2:TGID_Z_EN: 0
; COMPUTE_PGM_RSRC2:TIDIG_COMP_CNT: 0
; COMPUTE_PGM_RSRC3_GFX90A:ACCUM_OFFSET: 2
; COMPUTE_PGM_RSRC3_GFX90A:TG_SPLIT: 0
	.section	.text._ZN7rocprim6detail18single_scan_kernelILb0ENS0_19wrapped_scan_configINS_14default_configEjEEN6hipcub21CountingInputIteratorIjlEEN10test_utils21single_index_iteratorIjEENS5_3SumEjjEEvT1_mT4_T2_T3_,"axG",@progbits,_ZN7rocprim6detail18single_scan_kernelILb0ENS0_19wrapped_scan_configINS_14default_configEjEEN6hipcub21CountingInputIteratorIjlEEN10test_utils21single_index_iteratorIjEENS5_3SumEjjEEvT1_mT4_T2_T3_,comdat
	.protected	_ZN7rocprim6detail18single_scan_kernelILb0ENS0_19wrapped_scan_configINS_14default_configEjEEN6hipcub21CountingInputIteratorIjlEEN10test_utils21single_index_iteratorIjEENS5_3SumEjjEEvT1_mT4_T2_T3_ ; -- Begin function _ZN7rocprim6detail18single_scan_kernelILb0ENS0_19wrapped_scan_configINS_14default_configEjEEN6hipcub21CountingInputIteratorIjlEEN10test_utils21single_index_iteratorIjEENS5_3SumEjjEEvT1_mT4_T2_T3_
	.globl	_ZN7rocprim6detail18single_scan_kernelILb0ENS0_19wrapped_scan_configINS_14default_configEjEEN6hipcub21CountingInputIteratorIjlEEN10test_utils21single_index_iteratorIjEENS5_3SumEjjEEvT1_mT4_T2_T3_
	.p2align	8
	.type	_ZN7rocprim6detail18single_scan_kernelILb0ENS0_19wrapped_scan_configINS_14default_configEjEEN6hipcub21CountingInputIteratorIjlEEN10test_utils21single_index_iteratorIjEENS5_3SumEjjEEvT1_mT4_T2_T3_,@function
_ZN7rocprim6detail18single_scan_kernelILb0ENS0_19wrapped_scan_configINS_14default_configEjEEN6hipcub21CountingInputIteratorIjlEEN10test_utils21single_index_iteratorIjEENS5_3SumEjjEEvT1_mT4_T2_T3_: ; @_ZN7rocprim6detail18single_scan_kernelILb0ENS0_19wrapped_scan_configINS_14default_configEjEEN6hipcub21CountingInputIteratorIjlEEN10test_utils21single_index_iteratorIjEENS5_3SumEjjEEvT1_mT4_T2_T3_
; %bb.0:
	s_load_dword s2, s[0:1], 0x0
	s_load_dword s33, s[0:1], 0x8
	s_load_dwordx4 s[44:47], s[0:1], 0x18
	s_load_dwordx2 s[48:49], s[0:1], 0x28
	v_or_b32_e32 v4, 0x100, v0
	s_waitcnt lgkmcnt(0)
	v_add_u32_e32 v1, s2, v0
	v_mov_b32_e32 v2, s2
	v_add_u32_e32 v5, 0x100, v1
	v_cmp_gt_u32_e64 s[0:1], s33, v4
	v_add_u32_e32 v6, 0x200, v1
	v_add_u32_e32 v7, 0x300, v1
	v_cndmask_b32_e64 v4, v2, v5, s[0:1]
	v_or_b32_e32 v5, 0x200, v0
	v_cmp_gt_u32_e64 s[2:3], s33, v5
	v_add_u32_e32 v8, 0x400, v1
	v_add_u32_e32 v9, 0x500, v1
	v_cndmask_b32_e64 v5, v2, v6, s[2:3]
	v_or_b32_e32 v6, 0x300, v0
	;; [unrolled: 5-line block ×8, first 2 shown]
	v_cmp_gt_u32_e64 s[16:17], s33, v12
	v_add_u32_e32 v22, 0x1200, v1
	v_cmp_gt_u32_e32 vcc, s33, v0
	v_cndmask_b32_e64 v12, v2, v13, s[16:17]
	v_or_b32_e32 v13, 0xa00, v0
	v_cmp_gt_u32_e64 s[18:19], s33, v13
	v_cndmask_b32_e32 v3, v2, v1, vcc
	v_add_u32_e32 v23, 0x1300, v1
	v_cndmask_b32_e64 v13, v2, v14, s[18:19]
	v_or_b32_e32 v14, 0xb00, v0
	v_cmp_gt_u32_e64 s[20:21], s33, v14
	v_add_u32_e32 v1, 0x1400, v1
	v_mbcnt_lo_u32_b32 v24, -1, 0
	v_cndmask_b32_e64 v14, v2, v15, s[20:21]
	v_or_b32_e32 v15, 0xc00, v0
	v_cmp_gt_u32_e64 s[22:23], s33, v15
	v_mbcnt_hi_u32_b32 v24, -1, v24
	v_and_b32_e32 v25, 15, v24
	v_cndmask_b32_e64 v15, v2, v16, s[22:23]
	v_or_b32_e32 v16, 0xd00, v0
	v_cmp_gt_u32_e64 s[24:25], s33, v16
	v_cmp_ne_u32_e64 s[42:43], 0, v25
	v_lshrrev_b32_e32 v27, 6, v0
	v_cndmask_b32_e64 v16, v2, v17, s[24:25]
	v_or_b32_e32 v17, 0xe00, v0
	v_cmp_gt_u32_e64 s[26:27], s33, v17
	s_nop 1
	v_cndmask_b32_e64 v17, v2, v18, s[26:27]
	v_or_b32_e32 v18, 0xf00, v0
	v_cmp_gt_u32_e64 s[28:29], s33, v18
	s_nop 1
	;; [unrolled: 4-line block ×5, first 2 shown]
	v_cndmask_b32_e64 v21, v2, v22, s[36:37]
	v_or_b32_e32 v22, 0x1300, v0
	v_cmp_gt_u32_e64 s[38:39], s33, v22
	v_or_b32_e32 v22, 0x1400, v0
	v_cmp_gt_u32_e64 s[40:41], s33, v22
	v_lshlrev_b32_e32 v22, 2, v0
	s_movk_i32 s33, 0x50
	v_cndmask_b32_e64 v1, v2, v1, s[40:41]
	v_cndmask_b32_e64 v23, v2, v23, s[38:39]
	ds_write2st64_b32 v22, v3, v4 offset1:4
	ds_write2st64_b32 v22, v5, v6 offset0:8 offset1:12
	ds_write2st64_b32 v22, v7, v8 offset0:16 offset1:20
	;; [unrolled: 1-line block ×9, first 2 shown]
	ds_write_b32 v22, v1 offset:20480
	v_mad_u32_u24 v1, v0, s33, v22
	s_waitcnt lgkmcnt(0)
	s_barrier
	ds_read2_b32 v[20:21], v1 offset1:1
	ds_read2_b32 v[18:19], v1 offset0:2 offset1:3
	ds_read2_b32 v[16:17], v1 offset0:4 offset1:5
	;; [unrolled: 1-line block ×9, first 2 shown]
	ds_read_b32 v23, v1 offset:80
	s_waitcnt lgkmcnt(9)
	v_add3_u32 v1, v21, v20, v18
	s_waitcnt lgkmcnt(8)
	v_add3_u32 v1, v1, v19, v16
	;; [unrolled: 2-line block ×10, first 2 shown]
	s_barrier
	s_nop 0
	v_mov_b32_dpp v26, v1 row_shr:1 row_mask:0xf bank_mask:0xf
	v_cndmask_b32_e64 v26, 0, v26, s[42:43]
	v_add_u32_e32 v1, v26, v1
	v_cmp_lt_u32_e64 s[42:43], 1, v25
	s_nop 0
	v_mov_b32_dpp v26, v1 row_shr:2 row_mask:0xf bank_mask:0xf
	v_cndmask_b32_e64 v26, 0, v26, s[42:43]
	v_add_u32_e32 v1, v1, v26
	v_cmp_lt_u32_e64 s[42:43], 3, v25
	;; [unrolled: 5-line block ×3, first 2 shown]
	s_nop 0
	v_mov_b32_dpp v26, v1 row_shr:8 row_mask:0xf bank_mask:0xf
	v_cndmask_b32_e64 v25, 0, v26, s[42:43]
	v_add_u32_e32 v1, v1, v25
	v_bfe_i32 v26, v24, 4, 1
	v_cmp_lt_u32_e64 s[42:43], 31, v24
	v_mov_b32_dpp v25, v1 row_bcast:15 row_mask:0xf bank_mask:0xf
	v_and_b32_e32 v25, v26, v25
	v_add_u32_e32 v1, v1, v25
	s_nop 1
	v_mov_b32_dpp v25, v1 row_bcast:31 row_mask:0xf bank_mask:0xf
	v_cndmask_b32_e64 v25, 0, v25, s[42:43]
	v_add_u32_e32 v25, v1, v25
	v_or_b32_e32 v1, 63, v0
	v_cmp_eq_u32_e64 s[42:43], v1, v0
	s_and_saveexec_b64 s[50:51], s[42:43]
	s_cbranch_execz .LBB121_2
; %bb.1:
	v_lshlrev_b32_e32 v1, 2, v27
	ds_write_b32 v1, v25
.LBB121_2:
	s_or_b64 exec, exec, s[50:51]
	v_mov_b32_e32 v1, 0
	v_cmp_gt_u32_e64 s[42:43], 4, v0
	s_waitcnt lgkmcnt(0)
	s_barrier
	s_and_saveexec_b64 s[50:51], s[42:43]
	s_cbranch_execz .LBB121_4
; %bb.3:
	ds_read_b32 v26, v22
	v_and_b32_e32 v28, 3, v24
	v_cmp_ne_u32_e64 s[42:43], 0, v28
	s_waitcnt lgkmcnt(0)
	v_mov_b32_dpp v29, v26 row_shr:1 row_mask:0xf bank_mask:0xf
	v_cndmask_b32_e64 v29, 0, v29, s[42:43]
	v_add_u32_e32 v26, v29, v26
	v_cmp_lt_u32_e64 s[42:43], 1, v28
	s_nop 0
	v_mov_b32_dpp v29, v26 row_shr:2 row_mask:0xf bank_mask:0xf
	v_cndmask_b32_e64 v28, 0, v29, s[42:43]
	v_add_u32_e32 v26, v26, v28
	ds_write_b32 v22, v26
.LBB121_4:
	s_or_b64 exec, exec, s[50:51]
	v_mul_u32_u24_e32 v26, 0x50, v0
	v_cmp_lt_u32_e64 s[42:43], 63, v0
	s_waitcnt lgkmcnt(0)
	s_barrier
	s_waitcnt lgkmcnt(0)
                                        ; implicit-def: $vgpr28
	s_and_saveexec_b64 s[50:51], s[42:43]
	s_cbranch_execz .LBB121_6
; %bb.5:
	v_lshl_add_u32 v27, v27, 2, -4
	ds_read_b32 v28, v27
	s_waitcnt lgkmcnt(0)
	v_add_u32_e32 v25, v28, v25
.LBB121_6:
	s_or_b64 exec, exec, s[50:51]
	v_add_u32_e32 v27, -1, v24
	v_and_b32_e32 v29, 64, v24
	v_cmp_lt_i32_e64 s[42:43], v27, v29
	s_barrier
	s_nop 0
	v_cndmask_b32_e64 v27, v27, v24, s[42:43]
	v_lshlrev_b32_e32 v27, 2, v27
	ds_bpermute_b32 v25, v27, v25
	v_cmp_eq_u32_e64 s[42:43], 0, v24
	s_waitcnt lgkmcnt(0)
	s_nop 0
	v_cndmask_b32_e64 v24, v25, v28, s[42:43]
	v_cmp_ne_u32_e64 s[42:43], 0, v0
	v_lshl_add_u64 v[0:1], s[48:49], 0, v[0:1]
	s_mov_b64 s[48:49], 0x100
	v_cndmask_b32_e64 v24, 0, v24, s[42:43]
	v_add_u32_e32 v20, v24, v20
	v_add_u32_e32 v21, v20, v21
	;; [unrolled: 1-line block ×22, first 2 shown]
	ds_write2_b32 v24, v20, v21 offset1:1
	ds_write2_b32 v24, v18, v19 offset0:2 offset1:3
	ds_write2_b32 v24, v16, v17 offset0:4 offset1:5
	;; [unrolled: 1-line block ×9, first 2 shown]
	ds_write_b32 v24, v23 offset:80
	v_cmp_eq_u64_e64 s[42:43], s[46:47], v[0:1]
	v_lshl_add_u64 v[2:3], v[0:1], 0, s[48:49]
	s_and_b64 s[42:43], vcc, s[42:43]
	v_cmp_eq_u64_e32 vcc, s[46:47], v[2:3]
	s_and_b64 vcc, s[0:1], vcc
	s_mov_b64 s[0:1], 0x200
	v_lshl_add_u64 v[2:3], v[0:1], 0, s[0:1]
	v_cmp_eq_u64_e64 s[0:1], s[46:47], v[2:3]
	s_and_b64 s[0:1], s[2:3], s[0:1]
	s_mov_b64 s[2:3], 0x300
	v_lshl_add_u64 v[2:3], v[0:1], 0, s[2:3]
	v_cmp_eq_u64_e64 s[2:3], s[46:47], v[2:3]
	s_and_b64 s[2:3], s[4:5], s[2:3]
	;; [unrolled: 4-line block ×12, first 2 shown]
	s_mov_b64 s[24:25], 0xe00
	v_lshl_add_u64 v[2:3], v[0:1], 0, s[24:25]
	v_cmp_eq_u64_e64 s[24:25], s[46:47], v[2:3]
	s_or_b64 s[42:43], s[42:43], vcc
	s_and_b64 s[24:25], s[26:27], s[24:25]
	s_mov_b64 s[26:27], 0xf00
	s_or_b64 s[42:43], s[0:1], s[42:43]
	v_lshl_add_u64 v[2:3], v[0:1], 0, s[26:27]
	s_or_b64 s[42:43], s[2:3], s[42:43]
	v_cmp_eq_u64_e64 s[26:27], s[46:47], v[2:3]
	s_or_b64 s[42:43], s[4:5], s[42:43]
	s_and_b64 s[26:27], s[28:29], s[26:27]
	s_mov_b64 s[28:29], 0x1000
	s_or_b64 s[42:43], s[6:7], s[42:43]
	v_lshl_add_u64 v[2:3], v[0:1], 0, s[28:29]
	s_or_b64 s[42:43], s[8:9], s[42:43]
	v_cmp_eq_u64_e64 s[28:29], s[46:47], v[2:3]
	s_or_b64 s[42:43], s[10:11], s[42:43]
	;; [unrolled: 7-line block ×6, first 2 shown]
	s_and_b64 s[38:39], s[40:41], s[38:39]
	s_or_b64 s[40:41], s[38:39], s[42:43]
	s_waitcnt lgkmcnt(0)
	s_barrier
	s_and_saveexec_b64 s[42:43], s[40:41]
	s_cbranch_execz .LBB121_8
; %bb.7:
	ds_read_b32 v21, v22 offset:20480
	ds_read2st64_b32 v[0:1], v22 offset0:72 offset1:76
	ds_read2st64_b32 v[2:3], v22 offset0:64 offset1:68
	;; [unrolled: 1-line block ×5, first 2 shown]
	ds_read2st64_b32 v[10:11], v22 offset1:4
	ds_read2st64_b32 v[12:13], v22 offset0:8 offset1:12
	ds_read2st64_b32 v[14:15], v22 offset0:32 offset1:36
	;; [unrolled: 1-line block ×4, first 2 shown]
	s_waitcnt lgkmcnt(4)
	v_cndmask_b32_e32 v10, v10, v11, vcc
	s_waitcnt lgkmcnt(3)
	v_cndmask_b32_e64 v10, v10, v12, s[0:1]
	v_cndmask_b32_e64 v10, v10, v13, s[2:3]
	s_waitcnt lgkmcnt(1)
	v_cndmask_b32_e64 v10, v10, v16, s[4:5]
	v_cndmask_b32_e64 v10, v10, v17, s[6:7]
	;; [unrolled: 3-line block ×3, first 2 shown]
	v_cndmask_b32_e64 v10, v10, v14, s[12:13]
	v_cndmask_b32_e64 v10, v10, v15, s[14:15]
	;; [unrolled: 1-line block ×12, first 2 shown]
	v_mov_b32_e32 v20, 0
	v_cndmask_b32_e64 v0, v0, v21, s[38:39]
	global_store_dword v20, v0, s[44:45]
.LBB121_8:
	s_endpgm
	.section	.rodata,"a",@progbits
	.p2align	6, 0x0
	.amdhsa_kernel _ZN7rocprim6detail18single_scan_kernelILb0ENS0_19wrapped_scan_configINS_14default_configEjEEN6hipcub21CountingInputIteratorIjlEEN10test_utils21single_index_iteratorIjEENS5_3SumEjjEEvT1_mT4_T2_T3_
		.amdhsa_group_segment_fixed_size 21504
		.amdhsa_private_segment_fixed_size 0
		.amdhsa_kernarg_size 52
		.amdhsa_user_sgpr_count 2
		.amdhsa_user_sgpr_dispatch_ptr 0
		.amdhsa_user_sgpr_queue_ptr 0
		.amdhsa_user_sgpr_kernarg_segment_ptr 1
		.amdhsa_user_sgpr_dispatch_id 0
		.amdhsa_user_sgpr_kernarg_preload_length 0
		.amdhsa_user_sgpr_kernarg_preload_offset 0
		.amdhsa_user_sgpr_private_segment_size 0
		.amdhsa_uses_dynamic_stack 0
		.amdhsa_enable_private_segment 0
		.amdhsa_system_sgpr_workgroup_id_x 1
		.amdhsa_system_sgpr_workgroup_id_y 0
		.amdhsa_system_sgpr_workgroup_id_z 0
		.amdhsa_system_sgpr_workgroup_info 0
		.amdhsa_system_vgpr_workitem_id 0
		.amdhsa_next_free_vgpr 30
		.amdhsa_next_free_sgpr 52
		.amdhsa_accum_offset 32
		.amdhsa_reserve_vcc 1
		.amdhsa_float_round_mode_32 0
		.amdhsa_float_round_mode_16_64 0
		.amdhsa_float_denorm_mode_32 3
		.amdhsa_float_denorm_mode_16_64 3
		.amdhsa_dx10_clamp 1
		.amdhsa_ieee_mode 1
		.amdhsa_fp16_overflow 0
		.amdhsa_tg_split 0
		.amdhsa_exception_fp_ieee_invalid_op 0
		.amdhsa_exception_fp_denorm_src 0
		.amdhsa_exception_fp_ieee_div_zero 0
		.amdhsa_exception_fp_ieee_overflow 0
		.amdhsa_exception_fp_ieee_underflow 0
		.amdhsa_exception_fp_ieee_inexact 0
		.amdhsa_exception_int_div_zero 0
	.end_amdhsa_kernel
	.section	.text._ZN7rocprim6detail18single_scan_kernelILb0ENS0_19wrapped_scan_configINS_14default_configEjEEN6hipcub21CountingInputIteratorIjlEEN10test_utils21single_index_iteratorIjEENS5_3SumEjjEEvT1_mT4_T2_T3_,"axG",@progbits,_ZN7rocprim6detail18single_scan_kernelILb0ENS0_19wrapped_scan_configINS_14default_configEjEEN6hipcub21CountingInputIteratorIjlEEN10test_utils21single_index_iteratorIjEENS5_3SumEjjEEvT1_mT4_T2_T3_,comdat
.Lfunc_end121:
	.size	_ZN7rocprim6detail18single_scan_kernelILb0ENS0_19wrapped_scan_configINS_14default_configEjEEN6hipcub21CountingInputIteratorIjlEEN10test_utils21single_index_iteratorIjEENS5_3SumEjjEEvT1_mT4_T2_T3_, .Lfunc_end121-_ZN7rocprim6detail18single_scan_kernelILb0ENS0_19wrapped_scan_configINS_14default_configEjEEN6hipcub21CountingInputIteratorIjlEEN10test_utils21single_index_iteratorIjEENS5_3SumEjjEEvT1_mT4_T2_T3_
                                        ; -- End function
	.section	.AMDGPU.csdata,"",@progbits
; Kernel info:
; codeLenInByte = 2668
; NumSgprs: 58
; NumVgprs: 30
; NumAgprs: 0
; TotalNumVgprs: 30
; ScratchSize: 0
; MemoryBound: 0
; FloatMode: 240
; IeeeMode: 1
; LDSByteSize: 21504 bytes/workgroup (compile time only)
; SGPRBlocks: 7
; VGPRBlocks: 3
; NumSGPRsForWavesPerEU: 58
; NumVGPRsForWavesPerEU: 30
; AccumOffset: 32
; Occupancy: 3
; WaveLimiterHint : 0
; COMPUTE_PGM_RSRC2:SCRATCH_EN: 0
; COMPUTE_PGM_RSRC2:USER_SGPR: 2
; COMPUTE_PGM_RSRC2:TRAP_HANDLER: 0
; COMPUTE_PGM_RSRC2:TGID_X_EN: 1
; COMPUTE_PGM_RSRC2:TGID_Y_EN: 0
; COMPUTE_PGM_RSRC2:TGID_Z_EN: 0
; COMPUTE_PGM_RSRC2:TIDIG_COMP_CNT: 0
; COMPUTE_PGM_RSRC3_GFX90A:ACCUM_OFFSET: 7
; COMPUTE_PGM_RSRC3_GFX90A:TG_SPLIT: 0
	.section	.text._ZN7rocprim6detail20lookback_scan_kernelILNS0_25lookback_scan_determinismE0ELb1ENS0_19wrapped_scan_configINS_14default_configEjEEN6hipcub21CountingInputIteratorIjlEEN10test_utils21single_index_iteratorIjEENS6_3SumEjjNS0_19lookback_scan_stateIjLb1ELb1EEEEEvT2_T3_mT5_T4_T7_jPT6_SL_bb,"axG",@progbits,_ZN7rocprim6detail20lookback_scan_kernelILNS0_25lookback_scan_determinismE0ELb1ENS0_19wrapped_scan_configINS_14default_configEjEEN6hipcub21CountingInputIteratorIjlEEN10test_utils21single_index_iteratorIjEENS6_3SumEjjNS0_19lookback_scan_stateIjLb1ELb1EEEEEvT2_T3_mT5_T4_T7_jPT6_SL_bb,comdat
	.protected	_ZN7rocprim6detail20lookback_scan_kernelILNS0_25lookback_scan_determinismE0ELb1ENS0_19wrapped_scan_configINS_14default_configEjEEN6hipcub21CountingInputIteratorIjlEEN10test_utils21single_index_iteratorIjEENS6_3SumEjjNS0_19lookback_scan_stateIjLb1ELb1EEEEEvT2_T3_mT5_T4_T7_jPT6_SL_bb ; -- Begin function _ZN7rocprim6detail20lookback_scan_kernelILNS0_25lookback_scan_determinismE0ELb1ENS0_19wrapped_scan_configINS_14default_configEjEEN6hipcub21CountingInputIteratorIjlEEN10test_utils21single_index_iteratorIjEENS6_3SumEjjNS0_19lookback_scan_stateIjLb1ELb1EEEEEvT2_T3_mT5_T4_T7_jPT6_SL_bb
	.globl	_ZN7rocprim6detail20lookback_scan_kernelILNS0_25lookback_scan_determinismE0ELb1ENS0_19wrapped_scan_configINS_14default_configEjEEN6hipcub21CountingInputIteratorIjlEEN10test_utils21single_index_iteratorIjEENS6_3SumEjjNS0_19lookback_scan_stateIjLb1ELb1EEEEEvT2_T3_mT5_T4_T7_jPT6_SL_bb
	.p2align	8
	.type	_ZN7rocprim6detail20lookback_scan_kernelILNS0_25lookback_scan_determinismE0ELb1ENS0_19wrapped_scan_configINS_14default_configEjEEN6hipcub21CountingInputIteratorIjlEEN10test_utils21single_index_iteratorIjEENS6_3SumEjjNS0_19lookback_scan_stateIjLb1ELb1EEEEEvT2_T3_mT5_T4_T7_jPT6_SL_bb,@function
_ZN7rocprim6detail20lookback_scan_kernelILNS0_25lookback_scan_determinismE0ELb1ENS0_19wrapped_scan_configINS_14default_configEjEEN6hipcub21CountingInputIteratorIjlEEN10test_utils21single_index_iteratorIjEENS6_3SumEjjNS0_19lookback_scan_stateIjLb1ELb1EEEEEvT2_T3_mT5_T4_T7_jPT6_SL_bb: ; @_ZN7rocprim6detail20lookback_scan_kernelILNS0_25lookback_scan_determinismE0ELb1ENS0_19wrapped_scan_configINS_14default_configEjEEN6hipcub21CountingInputIteratorIjlEEN10test_utils21single_index_iteratorIjEENS6_3SumEjjNS0_19lookback_scan_stateIjLb1ELb1EEEEEvT2_T3_mT5_T4_T7_jPT6_SL_bb
; %bb.0:
	s_endpgm
	.section	.rodata,"a",@progbits
	.p2align	6, 0x0
	.amdhsa_kernel _ZN7rocprim6detail20lookback_scan_kernelILNS0_25lookback_scan_determinismE0ELb1ENS0_19wrapped_scan_configINS_14default_configEjEEN6hipcub21CountingInputIteratorIjlEEN10test_utils21single_index_iteratorIjEENS6_3SumEjjNS0_19lookback_scan_stateIjLb1ELb1EEEEEvT2_T3_mT5_T4_T7_jPT6_SL_bb
		.amdhsa_group_segment_fixed_size 0
		.amdhsa_private_segment_fixed_size 0
		.amdhsa_kernarg_size 84
		.amdhsa_user_sgpr_count 2
		.amdhsa_user_sgpr_dispatch_ptr 0
		.amdhsa_user_sgpr_queue_ptr 0
		.amdhsa_user_sgpr_kernarg_segment_ptr 1
		.amdhsa_user_sgpr_dispatch_id 0
		.amdhsa_user_sgpr_kernarg_preload_length 0
		.amdhsa_user_sgpr_kernarg_preload_offset 0
		.amdhsa_user_sgpr_private_segment_size 0
		.amdhsa_uses_dynamic_stack 0
		.amdhsa_enable_private_segment 0
		.amdhsa_system_sgpr_workgroup_id_x 1
		.amdhsa_system_sgpr_workgroup_id_y 0
		.amdhsa_system_sgpr_workgroup_id_z 0
		.amdhsa_system_sgpr_workgroup_info 0
		.amdhsa_system_vgpr_workitem_id 0
		.amdhsa_next_free_vgpr 1
		.amdhsa_next_free_sgpr 0
		.amdhsa_accum_offset 4
		.amdhsa_reserve_vcc 0
		.amdhsa_float_round_mode_32 0
		.amdhsa_float_round_mode_16_64 0
		.amdhsa_float_denorm_mode_32 3
		.amdhsa_float_denorm_mode_16_64 3
		.amdhsa_dx10_clamp 1
		.amdhsa_ieee_mode 1
		.amdhsa_fp16_overflow 0
		.amdhsa_tg_split 0
		.amdhsa_exception_fp_ieee_invalid_op 0
		.amdhsa_exception_fp_denorm_src 0
		.amdhsa_exception_fp_ieee_div_zero 0
		.amdhsa_exception_fp_ieee_overflow 0
		.amdhsa_exception_fp_ieee_underflow 0
		.amdhsa_exception_fp_ieee_inexact 0
		.amdhsa_exception_int_div_zero 0
	.end_amdhsa_kernel
	.section	.text._ZN7rocprim6detail20lookback_scan_kernelILNS0_25lookback_scan_determinismE0ELb1ENS0_19wrapped_scan_configINS_14default_configEjEEN6hipcub21CountingInputIteratorIjlEEN10test_utils21single_index_iteratorIjEENS6_3SumEjjNS0_19lookback_scan_stateIjLb1ELb1EEEEEvT2_T3_mT5_T4_T7_jPT6_SL_bb,"axG",@progbits,_ZN7rocprim6detail20lookback_scan_kernelILNS0_25lookback_scan_determinismE0ELb1ENS0_19wrapped_scan_configINS_14default_configEjEEN6hipcub21CountingInputIteratorIjlEEN10test_utils21single_index_iteratorIjEENS6_3SumEjjNS0_19lookback_scan_stateIjLb1ELb1EEEEEvT2_T3_mT5_T4_T7_jPT6_SL_bb,comdat
.Lfunc_end122:
	.size	_ZN7rocprim6detail20lookback_scan_kernelILNS0_25lookback_scan_determinismE0ELb1ENS0_19wrapped_scan_configINS_14default_configEjEEN6hipcub21CountingInputIteratorIjlEEN10test_utils21single_index_iteratorIjEENS6_3SumEjjNS0_19lookback_scan_stateIjLb1ELb1EEEEEvT2_T3_mT5_T4_T7_jPT6_SL_bb, .Lfunc_end122-_ZN7rocprim6detail20lookback_scan_kernelILNS0_25lookback_scan_determinismE0ELb1ENS0_19wrapped_scan_configINS_14default_configEjEEN6hipcub21CountingInputIteratorIjlEEN10test_utils21single_index_iteratorIjEENS6_3SumEjjNS0_19lookback_scan_stateIjLb1ELb1EEEEEvT2_T3_mT5_T4_T7_jPT6_SL_bb
                                        ; -- End function
	.section	.AMDGPU.csdata,"",@progbits
; Kernel info:
; codeLenInByte = 4
; NumSgprs: 6
; NumVgprs: 0
; NumAgprs: 0
; TotalNumVgprs: 0
; ScratchSize: 0
; MemoryBound: 0
; FloatMode: 240
; IeeeMode: 1
; LDSByteSize: 0 bytes/workgroup (compile time only)
; SGPRBlocks: 0
; VGPRBlocks: 0
; NumSGPRsForWavesPerEU: 6
; NumVGPRsForWavesPerEU: 1
; AccumOffset: 4
; Occupancy: 8
; WaveLimiterHint : 0
; COMPUTE_PGM_RSRC2:SCRATCH_EN: 0
; COMPUTE_PGM_RSRC2:USER_SGPR: 2
; COMPUTE_PGM_RSRC2:TRAP_HANDLER: 0
; COMPUTE_PGM_RSRC2:TGID_X_EN: 1
; COMPUTE_PGM_RSRC2:TGID_Y_EN: 0
; COMPUTE_PGM_RSRC2:TGID_Z_EN: 0
; COMPUTE_PGM_RSRC2:TIDIG_COMP_CNT: 0
; COMPUTE_PGM_RSRC3_GFX90A:ACCUM_OFFSET: 0
; COMPUTE_PGM_RSRC3_GFX90A:TG_SPLIT: 0
	.section	.text._ZN7rocprim6detail20lookback_scan_kernelILNS0_25lookback_scan_determinismE0ELb1ENS0_19wrapped_scan_configINS_14default_configEjEEN6hipcub21CountingInputIteratorIjlEEN10test_utils21single_index_iteratorIjEENS6_3SumEjjNS0_19lookback_scan_stateIjLb0ELb1EEEEEvT2_T3_mT5_T4_T7_jPT6_SL_bb,"axG",@progbits,_ZN7rocprim6detail20lookback_scan_kernelILNS0_25lookback_scan_determinismE0ELb1ENS0_19wrapped_scan_configINS_14default_configEjEEN6hipcub21CountingInputIteratorIjlEEN10test_utils21single_index_iteratorIjEENS6_3SumEjjNS0_19lookback_scan_stateIjLb0ELb1EEEEEvT2_T3_mT5_T4_T7_jPT6_SL_bb,comdat
	.protected	_ZN7rocprim6detail20lookback_scan_kernelILNS0_25lookback_scan_determinismE0ELb1ENS0_19wrapped_scan_configINS_14default_configEjEEN6hipcub21CountingInputIteratorIjlEEN10test_utils21single_index_iteratorIjEENS6_3SumEjjNS0_19lookback_scan_stateIjLb0ELb1EEEEEvT2_T3_mT5_T4_T7_jPT6_SL_bb ; -- Begin function _ZN7rocprim6detail20lookback_scan_kernelILNS0_25lookback_scan_determinismE0ELb1ENS0_19wrapped_scan_configINS_14default_configEjEEN6hipcub21CountingInputIteratorIjlEEN10test_utils21single_index_iteratorIjEENS6_3SumEjjNS0_19lookback_scan_stateIjLb0ELb1EEEEEvT2_T3_mT5_T4_T7_jPT6_SL_bb
	.globl	_ZN7rocprim6detail20lookback_scan_kernelILNS0_25lookback_scan_determinismE0ELb1ENS0_19wrapped_scan_configINS_14default_configEjEEN6hipcub21CountingInputIteratorIjlEEN10test_utils21single_index_iteratorIjEENS6_3SumEjjNS0_19lookback_scan_stateIjLb0ELb1EEEEEvT2_T3_mT5_T4_T7_jPT6_SL_bb
	.p2align	8
	.type	_ZN7rocprim6detail20lookback_scan_kernelILNS0_25lookback_scan_determinismE0ELb1ENS0_19wrapped_scan_configINS_14default_configEjEEN6hipcub21CountingInputIteratorIjlEEN10test_utils21single_index_iteratorIjEENS6_3SumEjjNS0_19lookback_scan_stateIjLb0ELb1EEEEEvT2_T3_mT5_T4_T7_jPT6_SL_bb,@function
_ZN7rocprim6detail20lookback_scan_kernelILNS0_25lookback_scan_determinismE0ELb1ENS0_19wrapped_scan_configINS_14default_configEjEEN6hipcub21CountingInputIteratorIjlEEN10test_utils21single_index_iteratorIjEENS6_3SumEjjNS0_19lookback_scan_stateIjLb0ELb1EEEEEvT2_T3_mT5_T4_T7_jPT6_SL_bb: ; @_ZN7rocprim6detail20lookback_scan_kernelILNS0_25lookback_scan_determinismE0ELb1ENS0_19wrapped_scan_configINS_14default_configEjEEN6hipcub21CountingInputIteratorIjlEEN10test_utils21single_index_iteratorIjEENS6_3SumEjjNS0_19lookback_scan_stateIjLb0ELb1EEEEEvT2_T3_mT5_T4_T7_jPT6_SL_bb
; %bb.0:
	s_load_dword s3, s[0:1], 0x38
	s_load_dwordx8 s[44:51], s[0:1], 0x8
	s_load_dword s16, s[0:1], 0x0
	s_mul_i32 s42, s2, 0x1500
	s_waitcnt lgkmcnt(0)
	s_add_i32 s3, s3, -1
	s_mul_i32 s4, s3, 0x1500
	s_sub_u32 s33, s50, s4
	s_subb_u32 s56, s51, 0
	s_cmp_lg_u32 s2, s3
	s_cselect_b64 s[6:7], -1, 0
	s_add_i32 s3, s42, s16
	s_mov_b64 s[4:5], -1
	s_and_b64 vcc, exec, s[6:7]
	v_add_u32_e32 v1, s3, v0
	s_cbranch_vccz .LBB123_2
; %bb.1:
	v_add_u32_e32 v2, 0x100, v1
	v_lshlrev_b32_e32 v22, 2, v0
	v_add_u32_e32 v3, 0x200, v1
	v_add_u32_e32 v4, 0x300, v1
	;; [unrolled: 1-line block ×19, first 2 shown]
	ds_write2st64_b32 v22, v1, v2 offset1:4
	ds_write2st64_b32 v22, v3, v4 offset0:8 offset1:12
	ds_write2st64_b32 v22, v5, v6 offset0:16 offset1:20
	;; [unrolled: 1-line block ×9, first 2 shown]
	ds_write_b32 v22, v21 offset:20480
	s_waitcnt lgkmcnt(0)
	s_barrier
	s_mov_b64 s[4:5], 0
.LBB123_2:
	s_andn2_b64 vcc, exec, s[4:5]
	v_cmp_gt_u32_e64 s[4:5], s33, v0
	s_cbranch_vccnz .LBB123_4
; %bb.3:
	v_or_b32_e32 v4, 0x100, v0
	v_mov_b32_e32 v2, s3
	v_add_u32_e32 v5, 0x100, v1
	v_cmp_gt_u32_e32 vcc, s33, v4
	v_add_u32_e32 v6, 0x200, v1
	v_add_u32_e32 v7, 0x300, v1
	v_cndmask_b32_e32 v4, v2, v5, vcc
	v_or_b32_e32 v5, 0x200, v0
	v_cmp_gt_u32_e32 vcc, s33, v5
	v_add_u32_e32 v8, 0x400, v1
	v_add_u32_e32 v9, 0x500, v1
	v_cndmask_b32_e32 v5, v2, v6, vcc
	v_or_b32_e32 v6, 0x300, v0
	;; [unrolled: 5-line block ×9, first 2 shown]
	v_cmp_gt_u32_e32 vcc, s33, v13
	v_cndmask_b32_e64 v3, v2, v1, s[4:5]
	v_add_u32_e32 v1, 0x1400, v1
	v_cndmask_b32_e32 v13, v2, v14, vcc
	v_or_b32_e32 v14, 0xb00, v0
	v_cmp_gt_u32_e32 vcc, s33, v14
	s_nop 1
	v_cndmask_b32_e32 v14, v2, v15, vcc
	v_or_b32_e32 v15, 0xc00, v0
	v_cmp_gt_u32_e32 vcc, s33, v15
	s_nop 1
	;; [unrolled: 4-line block ×10, first 2 shown]
	v_cndmask_b32_e32 v1, v2, v1, vcc
	v_lshlrev_b32_e32 v2, 2, v0
	ds_write2st64_b32 v2, v3, v4 offset1:4
	ds_write2st64_b32 v2, v5, v6 offset0:8 offset1:12
	ds_write2st64_b32 v2, v7, v8 offset0:16 offset1:20
	;; [unrolled: 1-line block ×9, first 2 shown]
	ds_write_b32 v2, v1 offset:20480
	s_waitcnt lgkmcnt(0)
	s_barrier
.LBB123_4:
	s_load_dwordx2 s[8:9], s[0:1], 0x30
	v_mul_u32_u24_e32 v32, 21, v0
	v_lshlrev_b32_e32 v1, 2, v32
	s_waitcnt lgkmcnt(0)
	ds_read2_b32 v[20:21], v1 offset1:1
	ds_read2_b32 v[18:19], v1 offset0:2 offset1:3
	ds_read2_b32 v[16:17], v1 offset0:4 offset1:5
	;; [unrolled: 1-line block ×9, first 2 shown]
	ds_read_b32 v34, v1 offset:80
	s_waitcnt lgkmcnt(9)
	v_add3_u32 v1, v21, v20, v18
	s_cmp_lg_u32 s2, 0
	s_waitcnt lgkmcnt(8)
	v_add3_u32 v36, v1, v19, v16
	v_mbcnt_lo_u32_b32 v35, -1, 0
	v_lshrrev_b32_e32 v1, 6, v0
	v_or_b32_e32 v33, 63, v0
	s_waitcnt lgkmcnt(0)
	s_barrier
	s_cbranch_scc0 .LBB123_31
; %bb.5:
	v_add3_u32 v22, v36, v17, v14
	v_add3_u32 v22, v22, v15, v12
	;; [unrolled: 1-line block ×7, first 2 shown]
	v_mbcnt_hi_u32_b32 v25, -1, v35
	v_add3_u32 v22, v22, v3, v34
	v_and_b32_e32 v23, 15, v25
	v_cmp_ne_u32_e32 vcc, 0, v23
	v_mov_b32_dpp v24, v22 row_shr:1 row_mask:0xf bank_mask:0xf
	s_nop 0
	v_cndmask_b32_e32 v24, 0, v24, vcc
	v_add_u32_e32 v22, v24, v22
	v_cmp_lt_u32_e32 vcc, 1, v23
	s_nop 0
	v_mov_b32_dpp v24, v22 row_shr:2 row_mask:0xf bank_mask:0xf
	v_cndmask_b32_e32 v24, 0, v24, vcc
	v_add_u32_e32 v22, v22, v24
	v_cmp_lt_u32_e32 vcc, 3, v23
	s_nop 0
	v_mov_b32_dpp v24, v22 row_shr:4 row_mask:0xf bank_mask:0xf
	;; [unrolled: 5-line block ×3, first 2 shown]
	v_cndmask_b32_e32 v23, 0, v24, vcc
	v_add_u32_e32 v22, v22, v23
	v_bfe_i32 v24, v25, 4, 1
	v_cmp_lt_u32_e32 vcc, 31, v25
	v_mov_b32_dpp v23, v22 row_bcast:15 row_mask:0xf bank_mask:0xf
	v_and_b32_e32 v23, v24, v23
	v_add_u32_e32 v22, v22, v23
	s_nop 1
	v_mov_b32_dpp v23, v22 row_bcast:31 row_mask:0xf bank_mask:0xf
	v_cndmask_b32_e32 v23, 0, v23, vcc
	v_add_u32_e32 v22, v22, v23
	v_cmp_eq_u32_e32 vcc, v33, v0
	s_and_saveexec_b64 s[4:5], vcc
	s_cbranch_execz .LBB123_7
; %bb.6:
	v_lshlrev_b32_e32 v23, 2, v1
	ds_write_b32 v23, v22
.LBB123_7:
	s_or_b64 exec, exec, s[4:5]
	v_cmp_gt_u32_e32 vcc, 4, v0
	s_waitcnt lgkmcnt(0)
	s_barrier
	s_and_saveexec_b64 s[4:5], vcc
	s_cbranch_execz .LBB123_9
; %bb.8:
	v_lshlrev_b32_e32 v23, 2, v0
	ds_read_b32 v24, v23
	v_and_b32_e32 v26, 3, v25
	v_cmp_ne_u32_e32 vcc, 0, v26
	s_waitcnt lgkmcnt(0)
	v_mov_b32_dpp v27, v24 row_shr:1 row_mask:0xf bank_mask:0xf
	v_cndmask_b32_e32 v27, 0, v27, vcc
	v_add_u32_e32 v24, v27, v24
	v_cmp_lt_u32_e32 vcc, 1, v26
	s_nop 0
	v_mov_b32_dpp v27, v24 row_shr:2 row_mask:0xf bank_mask:0xf
	v_cndmask_b32_e32 v26, 0, v27, vcc
	v_add_u32_e32 v24, v24, v26
	ds_write_b32 v23, v24
.LBB123_9:
	s_or_b64 exec, exec, s[4:5]
	v_cmp_gt_u32_e32 vcc, 64, v0
	v_cmp_lt_u32_e64 s[4:5], 63, v0
	s_waitcnt lgkmcnt(0)
	s_barrier
	s_waitcnt lgkmcnt(0)
                                        ; implicit-def: $vgpr37
	s_and_saveexec_b64 s[10:11], s[4:5]
	s_cbranch_execz .LBB123_11
; %bb.10:
	v_lshl_add_u32 v23, v1, 2, -4
	ds_read_b32 v37, v23
	s_waitcnt lgkmcnt(0)
	v_add_u32_e32 v22, v37, v22
.LBB123_11:
	s_or_b64 exec, exec, s[10:11]
	v_add_u32_e32 v23, -1, v25
	v_and_b32_e32 v24, 64, v25
	v_cmp_lt_i32_e64 s[4:5], v23, v24
	s_nop 1
	v_cndmask_b32_e64 v23, v23, v25, s[4:5]
	v_lshlrev_b32_e32 v23, 2, v23
	ds_bpermute_b32 v38, v23, v22
	v_cmp_eq_u32_e64 s[4:5], 0, v25
	s_and_saveexec_b64 s[10:11], vcc
	s_cbranch_execz .LBB123_30
; %bb.12:
	v_mov_b32_e32 v29, 0
	ds_read_b32 v22, v29 offset:12
	s_and_saveexec_b64 s[12:13], s[4:5]
	s_cbranch_execz .LBB123_14
; %bb.13:
	s_add_i32 s14, s2, 64
	s_mov_b32 s15, 0
	s_lshl_b64 s[14:15], s[14:15], 3
	s_add_u32 s14, s8, s14
	s_addc_u32 s15, s9, s15
	v_mov_b32_e32 v23, 1
	s_waitcnt lgkmcnt(0)
	global_store_dwordx2 v29, v[22:23], s[14:15] sc1
.LBB123_14:
	s_or_b64 exec, exec, s[12:13]
	v_xad_u32 v24, v25, -1, s2
	v_add_u32_e32 v28, 64, v24
	v_lshl_add_u64 v[30:31], v[28:29], 3, s[8:9]
	global_load_dwordx2 v[26:27], v[30:31], off sc1
	s_waitcnt vmcnt(0)
	v_cmp_eq_u16_sdwa s[14:15], v27, v29 src0_sel:BYTE_0 src1_sel:DWORD
	s_and_saveexec_b64 s[12:13], s[14:15]
	s_cbranch_execz .LBB123_18
; %bb.15:
	s_mov_b64 s[14:15], 0
	v_mov_b32_e32 v23, 0
.LBB123_16:                             ; =>This Inner Loop Header: Depth=1
	global_load_dwordx2 v[26:27], v[30:31], off sc1
	s_waitcnt vmcnt(0)
	v_cmp_ne_u16_sdwa s[18:19], v27, v23 src0_sel:BYTE_0 src1_sel:DWORD
	s_or_b64 s[14:15], s[18:19], s[14:15]
	s_andn2_b64 exec, exec, s[14:15]
	s_cbranch_execnz .LBB123_16
; %bb.17:
	s_or_b64 exec, exec, s[14:15]
.LBB123_18:
	s_or_b64 exec, exec, s[12:13]
	v_and_b32_e32 v47, 63, v25
	v_mov_b32_e32 v23, 2
	v_cmp_ne_u32_e32 vcc, 63, v47
	v_cmp_eq_u16_sdwa s[12:13], v27, v23 src0_sel:BYTE_0 src1_sel:DWORD
	v_lshlrev_b64 v[28:29], v25, -1
	v_addc_co_u32_e32 v39, vcc, 0, v25, vcc
	v_and_b32_e32 v30, s13, v29
	v_lshlrev_b32_e32 v39, 2, v39
	v_or_b32_e32 v30, 0x80000000, v30
	ds_bpermute_b32 v41, v39, v26
	v_and_b32_e32 v31, s12, v28
	v_ffbl_b32_e32 v30, v30
	v_add_u32_e32 v30, 32, v30
	v_ffbl_b32_e32 v31, v31
	v_min_u32_e32 v30, v31, v30
	v_add_u32_e32 v40, 1, v25
	v_cmp_le_u32_e32 vcc, v40, v30
	v_add_u32_e32 v42, 2, v25
	v_add_u32_e32 v44, 4, v25
	s_waitcnt lgkmcnt(0)
	v_cndmask_b32_e32 v31, 0, v41, vcc
	v_cmp_gt_u32_e32 vcc, 62, v47
	v_add_u32_e32 v26, v31, v26
	v_add_u32_e32 v46, 8, v25
	v_cndmask_b32_e64 v31, 0, 1, vcc
	v_lshlrev_b32_e32 v31, 1, v31
	v_add_lshl_u32 v41, v31, v25, 2
	ds_bpermute_b32 v31, v41, v26
	v_cmp_le_u32_e32 vcc, v42, v30
	v_add_u32_e32 v49, 16, v25
	v_add_u32_e32 v51, 32, v25
	s_waitcnt lgkmcnt(0)
	v_cndmask_b32_e32 v31, 0, v31, vcc
	v_cmp_gt_u32_e32 vcc, 60, v47
	v_add_u32_e32 v26, v26, v31
	s_nop 0
	v_cndmask_b32_e64 v31, 0, 1, vcc
	v_lshlrev_b32_e32 v31, 2, v31
	v_add_lshl_u32 v43, v31, v25, 2
	ds_bpermute_b32 v31, v43, v26
	v_cmp_le_u32_e32 vcc, v44, v30
	s_waitcnt lgkmcnt(0)
	s_nop 0
	v_cndmask_b32_e32 v31, 0, v31, vcc
	v_cmp_gt_u32_e32 vcc, 56, v47
	v_add_u32_e32 v26, v26, v31
	s_nop 0
	v_cndmask_b32_e64 v31, 0, 1, vcc
	v_lshlrev_b32_e32 v31, 3, v31
	v_add_lshl_u32 v45, v31, v25, 2
	ds_bpermute_b32 v31, v45, v26
	v_cmp_le_u32_e32 vcc, v46, v30
	s_waitcnt lgkmcnt(0)
	s_nop 0
	;; [unrolled: 11-line block ×4, first 2 shown]
	v_cndmask_b32_e32 v25, 0, v31, vcc
	v_add_u32_e32 v26, v26, v25
	v_mov_b32_e32 v25, 0
	s_branch .LBB123_20
.LBB123_19:                             ;   in Loop: Header=BB123_20 Depth=1
	s_or_b64 exec, exec, s[12:13]
	v_cmp_eq_u16_sdwa s[12:13], v27, v23 src0_sel:BYTE_0 src1_sel:DWORD
	ds_bpermute_b32 v52, v39, v26
	v_subrev_u32_e32 v24, 64, v24
	v_and_b32_e32 v30, s13, v29
	v_or_b32_e32 v30, 0x80000000, v30
	v_and_b32_e32 v31, s12, v28
	v_ffbl_b32_e32 v30, v30
	v_add_u32_e32 v30, 32, v30
	v_ffbl_b32_e32 v31, v31
	v_min_u32_e32 v30, v31, v30
	v_cmp_le_u32_e32 vcc, v40, v30
	s_waitcnt lgkmcnt(0)
	s_nop 0
	v_cndmask_b32_e32 v31, 0, v52, vcc
	v_add_u32_e32 v26, v31, v26
	ds_bpermute_b32 v31, v41, v26
	v_cmp_le_u32_e32 vcc, v42, v30
	s_waitcnt lgkmcnt(0)
	s_nop 0
	v_cndmask_b32_e32 v31, 0, v31, vcc
	v_add_u32_e32 v26, v26, v31
	ds_bpermute_b32 v31, v43, v26
	;; [unrolled: 6-line block ×5, first 2 shown]
	v_cmp_le_u32_e32 vcc, v51, v30
	s_waitcnt lgkmcnt(0)
	s_nop 0
	v_cndmask_b32_e32 v30, 0, v31, vcc
	v_add3_u32 v26, v30, v47, v26
.LBB123_20:                             ; =>This Loop Header: Depth=1
                                        ;     Child Loop BB123_23 Depth 2
	v_cmp_ne_u16_sdwa s[12:13], v27, v23 src0_sel:BYTE_0 src1_sel:DWORD
	v_mov_b32_e32 v47, v26
	s_nop 0
	v_cndmask_b32_e64 v27, 0, 1, s[12:13]
	;;#ASMSTART
	;;#ASMEND
	s_nop 0
	v_cmp_ne_u32_e32 vcc, 0, v27
	s_cmp_lg_u64 vcc, exec
	s_cbranch_scc1 .LBB123_25
; %bb.21:                               ;   in Loop: Header=BB123_20 Depth=1
	v_lshl_add_u64 v[30:31], v[24:25], 3, s[8:9]
	global_load_dwordx2 v[26:27], v[30:31], off sc1
	s_waitcnt vmcnt(0)
	v_cmp_eq_u16_sdwa s[14:15], v27, v25 src0_sel:BYTE_0 src1_sel:DWORD
	s_and_saveexec_b64 s[12:13], s[14:15]
	s_cbranch_execz .LBB123_19
; %bb.22:                               ;   in Loop: Header=BB123_20 Depth=1
	s_mov_b64 s[14:15], 0
.LBB123_23:                             ;   Parent Loop BB123_20 Depth=1
                                        ; =>  This Inner Loop Header: Depth=2
	global_load_dwordx2 v[26:27], v[30:31], off sc1
	s_waitcnt vmcnt(0)
	v_cmp_ne_u16_sdwa s[18:19], v27, v25 src0_sel:BYTE_0 src1_sel:DWORD
	s_or_b64 s[14:15], s[18:19], s[14:15]
	s_andn2_b64 exec, exec, s[14:15]
	s_cbranch_execnz .LBB123_23
; %bb.24:                               ;   in Loop: Header=BB123_20 Depth=1
	s_or_b64 exec, exec, s[14:15]
	s_branch .LBB123_19
.LBB123_25:                             ;   in Loop: Header=BB123_20 Depth=1
                                        ; implicit-def: $vgpr26
                                        ; implicit-def: $vgpr27
	s_cbranch_execz .LBB123_20
; %bb.26:
	s_and_saveexec_b64 s[12:13], s[4:5]
	s_cbranch_execz .LBB123_28
; %bb.27:
	s_add_i32 s2, s2, 64
	s_mov_b32 s3, 0
	s_lshl_b64 s[2:3], s[2:3], 3
	s_add_u32 s2, s8, s2
	s_addc_u32 s3, s9, s3
	v_mov_b32_e32 v24, 0
	v_add_u32_e32 v22, v47, v22
	v_mov_b32_e32 v23, 2
	global_store_dwordx2 v24, v[22:23], s[2:3] sc1
.LBB123_28:
	s_or_b64 exec, exec, s[12:13]
	v_cmp_eq_u32_e32 vcc, 0, v0
	s_and_b64 exec, exec, vcc
	s_cbranch_execz .LBB123_30
; %bb.29:
	v_mov_b32_e32 v22, 0
	ds_write_b32 v22, v47 offset:12
.LBB123_30:
	s_or_b64 exec, exec, s[10:11]
	v_mov_b32_e32 v22, 0
	s_waitcnt lgkmcnt(0)
	s_barrier
	ds_read_b32 v22, v22 offset:12
	v_cndmask_b32_e64 v23, v38, v37, s[4:5]
	v_cmp_ne_u32_e32 vcc, 0, v0
	s_nop 1
	v_cndmask_b32_e32 v23, 0, v23, vcc
	s_waitcnt lgkmcnt(0)
	v_add_u32_e32 v22, v22, v23
	s_load_dwordx4 s[52:55], s[0:1], 0x40
	s_branch .LBB123_44
.LBB123_31:
                                        ; implicit-def: $vgpr22
	s_load_dwordx4 s[52:55], s[0:1], 0x40
	s_cbranch_execz .LBB123_44
; %bb.32:
	s_load_dword s2, s[0:1], 0x50
	s_waitcnt lgkmcnt(0)
	s_bitcmp0_b32 s2, 0
	s_cbranch_scc1 .LBB123_34
; %bb.33:
	s_load_dword s2, s[52:53], 0x0
	s_waitcnt lgkmcnt(0)
	s_add_i32 s2, s16, s2
	s_add_i32 s4, s2, -1
	s_branch .LBB123_35
.LBB123_34:
	s_load_dword s4, s[0:1], 0x28
.LBB123_35:
	v_add3_u32 v22, v36, v17, v14
	v_add3_u32 v22, v22, v15, v12
	;; [unrolled: 1-line block ×8, first 2 shown]
	v_mbcnt_hi_u32_b32 v22, -1, v35
	v_and_b32_e32 v24, 15, v22
	v_mov_b32_dpp v25, v23 row_shr:1 row_mask:0xf bank_mask:0xf
	v_cmp_ne_u32_e32 vcc, 0, v24
	s_nop 1
	v_cndmask_b32_e32 v25, 0, v25, vcc
	v_add_u32_e32 v23, v25, v23
	v_cmp_lt_u32_e32 vcc, 1, v24
	s_nop 0
	v_mov_b32_dpp v25, v23 row_shr:2 row_mask:0xf bank_mask:0xf
	v_cndmask_b32_e32 v25, 0, v25, vcc
	v_add_u32_e32 v23, v23, v25
	v_cmp_lt_u32_e32 vcc, 3, v24
	s_nop 0
	v_mov_b32_dpp v25, v23 row_shr:4 row_mask:0xf bank_mask:0xf
	;; [unrolled: 5-line block ×3, first 2 shown]
	v_cndmask_b32_e32 v24, 0, v25, vcc
	v_add_u32_e32 v23, v23, v24
	v_bfe_i32 v25, v22, 4, 1
	v_cmp_lt_u32_e32 vcc, 31, v22
	v_mov_b32_dpp v24, v23 row_bcast:15 row_mask:0xf bank_mask:0xf
	v_and_b32_e32 v24, v25, v24
	v_add_u32_e32 v23, v23, v24
	s_nop 1
	v_mov_b32_dpp v24, v23 row_bcast:31 row_mask:0xf bank_mask:0xf
	v_cndmask_b32_e32 v24, 0, v24, vcc
	v_add_u32_e32 v23, v23, v24
	v_cmp_eq_u32_e32 vcc, v33, v0
	s_and_saveexec_b64 s[2:3], vcc
	s_cbranch_execz .LBB123_37
; %bb.36:
	v_lshlrev_b32_e32 v24, 2, v1
	ds_write_b32 v24, v23
.LBB123_37:
	s_or_b64 exec, exec, s[2:3]
	v_cmp_gt_u32_e32 vcc, 4, v0
	s_waitcnt lgkmcnt(0)
	s_barrier
	s_and_saveexec_b64 s[2:3], vcc
	s_cbranch_execz .LBB123_39
; %bb.38:
	v_lshlrev_b32_e32 v24, 2, v0
	ds_read_b32 v25, v24
	v_and_b32_e32 v26, 3, v22
	v_cmp_ne_u32_e32 vcc, 0, v26
	s_waitcnt lgkmcnt(0)
	v_mov_b32_dpp v27, v25 row_shr:1 row_mask:0xf bank_mask:0xf
	v_cndmask_b32_e32 v27, 0, v27, vcc
	v_add_u32_e32 v25, v27, v25
	v_cmp_lt_u32_e32 vcc, 1, v26
	s_nop 0
	v_mov_b32_dpp v27, v25 row_shr:2 row_mask:0xf bank_mask:0xf
	v_cndmask_b32_e32 v26, 0, v27, vcc
	v_add_u32_e32 v25, v25, v26
	ds_write_b32 v24, v25
.LBB123_39:
	s_or_b64 exec, exec, s[2:3]
	v_cmp_lt_u32_e32 vcc, 63, v0
	v_mov_b32_e32 v24, s4
	s_waitcnt lgkmcnt(0)
	s_barrier
	s_and_saveexec_b64 s[2:3], vcc
	s_cbranch_execz .LBB123_41
; %bb.40:
	v_lshl_add_u32 v1, v1, 2, -4
	ds_read_b32 v1, v1
	s_waitcnt lgkmcnt(0)
	v_add_u32_e32 v24, s4, v1
.LBB123_41:
	s_or_b64 exec, exec, s[2:3]
	v_add_u32_e32 v1, v24, v23
	v_add_u32_e32 v23, -1, v22
	v_and_b32_e32 v25, 64, v22
	v_cmp_lt_i32_e32 vcc, v23, v25
	s_nop 1
	v_cndmask_b32_e32 v23, v23, v22, vcc
	v_lshlrev_b32_e32 v23, 2, v23
	ds_bpermute_b32 v1, v23, v1
	v_cmp_eq_u32_e32 vcc, 0, v22
	s_waitcnt lgkmcnt(0)
	s_nop 0
	v_cndmask_b32_e32 v22, v1, v24, vcc
	v_cmp_eq_u32_e32 vcc, 0, v0
	s_and_saveexec_b64 s[2:3], vcc
	s_cbranch_execz .LBB123_43
; %bb.42:
	v_mov_b32_e32 v1, 0
	ds_read_b32 v22, v1 offset:12
	v_mov_b32_e32 v23, 2
	s_waitcnt lgkmcnt(0)
	v_add_u32_e32 v22, s4, v22
	global_store_dwordx2 v1, v[22:23], s[8:9] offset:512 sc1
	v_mov_b32_e32 v22, s4
.LBB123_43:
	s_or_b64 exec, exec, s[2:3]
.LBB123_44:
	v_add_u32_e32 v20, v22, v20
	v_add_u32_e32 v21, v20, v21
	;; [unrolled: 1-line block ×20, first 2 shown]
	s_mov_b32 s43, 0
	s_mov_b64 s[2:3], -1
	s_and_b64 vcc, exec, s[6:7]
	s_waitcnt lgkmcnt(0)
	s_barrier
	s_cbranch_vccz .LBB123_48
; %bb.45:
	v_mul_u32_u24_e32 v1, 0x54, v0
	s_add_u32 s2, s48, s42
	ds_write2_b32 v1, v22, v20 offset1:1
	ds_write2_b32 v1, v21, v18 offset0:2 offset1:3
	ds_write2_b32 v1, v19, v16 offset0:4 offset1:5
	;; [unrolled: 1-line block ×9, first 2 shown]
	ds_write_b32 v1, v3 offset:80
	v_mov_b32_e32 v1, 0
	s_addc_u32 s3, s49, 0
	v_lshl_add_u64 v[24:25], s[2:3], 0, v[0:1]
	s_mov_b64 s[4:5], 0x100
	v_lshl_add_u64 v[26:27], v[24:25], 0, s[4:5]
	v_cmp_eq_u64_e64 s[2:3], s[46:47], v[24:25]
	v_cmp_eq_u64_e32 vcc, s[46:47], v[26:27]
	s_or_b64 s[4:5], s[2:3], vcc
	s_mov_b64 s[2:3], 0x200
	v_lshl_add_u64 v[26:27], v[24:25], 0, s[2:3]
	v_cmp_eq_u64_e64 s[2:3], s[46:47], v[26:27]
	s_or_b64 s[6:7], s[2:3], s[4:5]
	s_mov_b64 s[4:5], 0x300
	v_lshl_add_u64 v[26:27], v[24:25], 0, s[4:5]
	v_cmp_eq_u64_e64 s[4:5], s[46:47], v[26:27]
	s_or_b64 s[8:9], s[4:5], s[6:7]
	;; [unrolled: 4-line block ×19, first 2 shown]
	s_waitcnt lgkmcnt(0)
	s_barrier
	s_and_saveexec_b64 s[50:51], s[52:53]
	s_cbranch_execz .LBB123_47
; %bb.46:
	v_lshlrev_b32_e32 v23, 2, v0
	ds_read_b32 v33, v23 offset:20480
	ds_read2st64_b32 v[24:25], v23 offset0:72 offset1:76
	ds_read2st64_b32 v[26:27], v23 offset0:64 offset1:68
	;; [unrolled: 1-line block ×5, first 2 shown]
	ds_read2st64_b32 v[36:37], v23 offset1:4
	ds_read2st64_b32 v[38:39], v23 offset0:8 offset1:12
	ds_read2st64_b32 v[40:41], v23 offset0:32 offset1:36
	;; [unrolled: 1-line block ×4, first 2 shown]
	s_waitcnt lgkmcnt(4)
	v_cndmask_b32_e32 v23, v36, v37, vcc
	s_waitcnt lgkmcnt(3)
	v_cndmask_b32_e64 v23, v23, v38, s[2:3]
	v_cndmask_b32_e64 v23, v23, v39, s[4:5]
	s_waitcnt lgkmcnt(1)
	v_cndmask_b32_e64 v23, v23, v42, s[6:7]
	v_cndmask_b32_e64 v23, v23, v43, s[8:9]
	;; [unrolled: 3-line block ×3, first 2 shown]
	v_cndmask_b32_e64 v23, v23, v40, s[14:15]
	v_cndmask_b32_e64 v23, v23, v41, s[16:17]
	;; [unrolled: 1-line block ×13, first 2 shown]
	global_store_dword v1, v23, s[44:45]
.LBB123_47:
	s_or_b64 exec, exec, s[50:51]
	s_mov_b64 s[2:3], 0
.LBB123_48:
	s_andn2_b64 vcc, exec, s[2:3]
	s_cbranch_vccnz .LBB123_129
; %bb.49:
	v_mul_u32_u24_e32 v1, 0x54, v0
	ds_write2_b32 v1, v22, v20 offset1:1
	ds_write2_b32 v1, v21, v18 offset0:2 offset1:3
	ds_write2_b32 v1, v19, v16 offset0:4 offset1:5
	ds_write2_b32 v1, v17, v14 offset0:6 offset1:7
	ds_write2_b32 v1, v15, v12 offset0:8 offset1:9
	ds_write2_b32 v1, v13, v10 offset0:10 offset1:11
	ds_write2_b32 v1, v11, v8 offset0:12 offset1:13
	ds_write2_b32 v1, v9, v6 offset0:14 offset1:15
	ds_write2_b32 v1, v7, v4 offset0:16 offset1:17
	ds_write2_b32 v1, v5, v2 offset0:18 offset1:19
	ds_write_b32 v1, v3 offset:80
	v_mov_b32_e32 v1, 0
	v_lshl_add_u64 v[24:25], s[42:43], 0, v[0:1]
	s_movk_i32 s2, 0x54
	v_mul_i32_i24_e32 v2, 0xffffffb0, v0
	v_lshl_add_u64 v[24:25], v[24:25], 0, s[48:49]
	v_mad_u32_u24 v22, v0, s2, v2
	v_cmp_gt_u32_e32 vcc, s33, v0
	v_cmp_eq_u64_e64 s[2:3], s[46:47], v[24:25]
	s_and_b64 s[4:5], vcc, s[2:3]
	s_mov_b64 s[2:3], 0x100
	v_or_b32_e32 v23, 0x100, v0
	v_lshl_add_u64 v[26:27], v[24:25], 0, s[2:3]
	v_cmp_gt_u32_e32 vcc, s33, v23
	v_cmp_eq_u64_e64 s[2:3], s[46:47], v[26:27]
	s_and_b64 vcc, vcc, s[2:3]
	s_or_b64 s[6:7], s[4:5], vcc
	s_mov_b64 s[4:5], 0x200
	v_or_b32_e32 v28, 0x200, v0
	v_lshl_add_u64 v[26:27], v[24:25], 0, s[4:5]
	v_cmp_gt_u32_e64 s[2:3], s33, v28
	v_cmp_eq_u64_e64 s[4:5], s[46:47], v[26:27]
	s_and_b64 s[2:3], s[2:3], s[4:5]
	s_or_b64 s[8:9], s[2:3], s[6:7]
	s_mov_b64 s[6:7], 0x300
	v_or_b32_e32 v29, 0x300, v0
	v_lshl_add_u64 v[26:27], v[24:25], 0, s[6:7]
	v_cmp_gt_u32_e64 s[4:5], s33, v29
	v_cmp_eq_u64_e64 s[6:7], s[46:47], v[26:27]
	s_and_b64 s[4:5], s[4:5], s[6:7]
	s_or_b64 s[10:11], s[4:5], s[8:9]
	;; [unrolled: 7-line block ×17, first 2 shown]
	s_mov_b64 s[40:41], 0x1300
	v_or_b32_e32 v46, 0x1300, v0
	v_lshl_add_u64 v[26:27], v[24:25], 0, s[40:41]
	v_cmp_gt_u32_e64 s[38:39], s33, v46
	v_cmp_eq_u64_e64 s[40:41], s[46:47], v[26:27]
	s_and_b64 s[38:39], s[38:39], s[40:41]
	s_waitcnt lgkmcnt(0)
	s_barrier
	ds_read2st64_b32 v[4:5], v22 offset1:4
	ds_read2st64_b32 v[6:7], v22 offset0:8 offset1:12
	ds_read2st64_b32 v[8:9], v22 offset0:16 offset1:20
	;; [unrolled: 1-line block ×9, first 2 shown]
	ds_read_b32 v22, v22 offset:20480
	s_or_b64 s[48:49], s[38:39], s[42:43]
	s_mov_b64 s[42:43], 0x1400
	v_or_b32_e32 v47, 0x1400, v0
	v_lshl_add_u64 v[24:25], v[24:25], 0, s[42:43]
	v_cmp_gt_u32_e64 s[40:41], s33, v47
	v_cmp_eq_u64_e64 s[42:43], s[46:47], v[24:25]
	s_and_b64 s[40:41], s[40:41], s[42:43]
	s_or_b64 s[46:47], s[40:41], s[48:49]
	s_and_saveexec_b64 s[42:43], s[46:47]
	s_cbranch_execz .LBB123_51
; %bb.50:
	s_waitcnt lgkmcnt(10)
	v_cndmask_b32_e32 v23, v4, v5, vcc
	s_waitcnt lgkmcnt(9)
	v_cndmask_b32_e64 v23, v23, v6, s[2:3]
	v_cndmask_b32_e64 v23, v23, v7, s[4:5]
	s_waitcnt lgkmcnt(8)
	v_cndmask_b32_e64 v23, v23, v8, s[6:7]
	v_cndmask_b32_e64 v23, v23, v9, s[8:9]
	;; [unrolled: 3-line block ×9, first 2 shown]
	s_waitcnt lgkmcnt(0)
	v_cndmask_b32_e64 v23, v23, v22, s[40:41]
	global_store_dword v1, v23, s[44:45]
.LBB123_51:
	s_or_b64 exec, exec, s[42:43]
	s_load_dword s0, s[0:1], 0x50
	s_waitcnt lgkmcnt(0)
	s_bfe_u32 s0, s0, 0x10008
	s_cmp_eq_u32 s0, 0
	s_cbranch_scc1 .LBB123_129
; %bb.52:
	s_add_u32 s0, s33, -1
	s_addc_u32 s1, s56, -1
	s_add_u32 s2, 0, 0x30c26c00
	s_addc_u32 s3, 0, 44
	s_add_i32 s3, s3, 0xc30c2e0
	s_mul_hi_u32 s7, s2, 0xffffffeb
	s_sub_i32 s7, s7, s2
	s_mul_i32 s8, s3, 0xffffffeb
	s_mul_i32 s4, s2, 0xffffffeb
	s_add_i32 s7, s7, s8
	s_mul_hi_u32 s5, s3, s4
	s_mul_i32 s6, s3, s4
	s_mul_i32 s9, s2, s7
	s_mul_hi_u32 s4, s2, s4
	s_mul_hi_u32 s8, s2, s7
	s_add_u32 s4, s4, s9
	s_addc_u32 s8, 0, s8
	s_add_u32 s4, s4, s6
	s_mul_hi_u32 s9, s3, s7
	s_addc_u32 s4, s8, s5
	s_addc_u32 s5, s9, 0
	s_mul_i32 s6, s3, s7
	s_add_u32 s4, s4, s6
	v_mov_b32_e32 v23, s4
	s_addc_u32 s5, 0, s5
	v_add_co_u32_e32 v23, vcc, s2, v23
	s_cmp_lg_u64 vcc, 0
	s_addc_u32 s2, s3, s5
	v_readfirstlane_b32 s5, v23
	s_mul_i32 s4, s0, s2
	s_mul_hi_u32 s6, s0, s5
	s_mul_hi_u32 s3, s0, s2
	s_add_u32 s4, s6, s4
	s_addc_u32 s3, 0, s3
	s_mul_hi_u32 s7, s1, s5
	s_mul_i32 s5, s1, s5
	s_add_u32 s4, s4, s5
	s_mul_hi_u32 s6, s1, s2
	s_addc_u32 s3, s3, s7
	s_addc_u32 s4, s6, 0
	s_mul_i32 s2, s1, s2
	s_add_u32 s2, s3, s2
	s_addc_u32 s3, 0, s4
	s_add_u32 s4, s2, 1
	s_addc_u32 s5, s3, 0
	s_add_u32 s6, s2, 2
	s_mul_i32 s8, s3, 21
	s_mul_hi_u32 s9, s2, 21
	s_addc_u32 s7, s3, 0
	s_add_i32 s9, s9, s8
	s_mul_i32 s8, s2, 21
	v_mov_b32_e32 v23, s8
	v_sub_co_u32_e32 v23, vcc, s0, v23
	s_cmp_lg_u64 vcc, 0
	s_subb_u32 s8, s1, s9
	v_subrev_co_u32_e32 v24, vcc, 21, v23
	s_cmp_lg_u64 vcc, 0
	s_subb_u32 s9, s8, 0
	v_readfirstlane_b32 s10, v24
	s_cmp_gt_u32 s10, 20
	s_cselect_b32 s10, -1, 0
	s_cmp_eq_u32 s9, 0
	s_cselect_b32 s9, s10, -1
	s_cmp_lg_u32 s9, 0
	s_cselect_b32 s4, s6, s4
	v_readfirstlane_b32 s6, v23
	s_cselect_b32 s5, s7, s5
	s_cmp_gt_u32 s6, 20
	s_cselect_b32 s6, -1, 0
	s_cmp_eq_u32 s8, 0
	s_cselect_b32 s6, s6, -1
	s_cmp_lg_u32 s6, 0
	s_cselect_b32 s3, s5, s3
	s_cselect_b32 s2, s4, s2
	v_cmp_eq_u64_e32 vcc, s[2:3], v[0:1]
	s_and_saveexec_b64 s[2:3], vcc
	s_cbranch_execz .LBB123_129
; %bb.53:
	v_mul_hi_u32_u24_e32 v1, 21, v0
	v_mov_b32_e32 v23, s1
	v_sub_co_u32_e32 v0, vcc, s0, v32
	s_nop 1
	v_subb_co_u32_e32 v1, vcc, v23, v1, vcc
	v_cmp_lt_i64_e32 vcc, 10, v[0:1]
	s_and_saveexec_b64 s[0:1], vcc
	s_xor_b64 s[0:1], exec, s[0:1]
	s_cbranch_execz .LBB123_91
; %bb.54:
	v_cmp_lt_i64_e32 vcc, 15, v[0:1]
	s_and_saveexec_b64 s[2:3], vcc
	s_xor_b64 s[2:3], exec, s[2:3]
	s_cbranch_execz .LBB123_72
; %bb.55:
	;; [unrolled: 5-line block ×5, first 2 shown]
	v_mov_b32_e32 v0, 0
	global_store_dword v0, v22, s[54:55]
                                        ; implicit-def: $vgpr18_vgpr19
.LBB123_59:
	s_andn2_saveexec_b64 s[8:9], s[8:9]
	s_cbranch_execz .LBB123_61
; %bb.60:
	v_mov_b32_e32 v0, 0
	global_store_dword v0, v19, s[54:55]
.LBB123_61:
	s_or_b64 exec, exec, s[8:9]
                                        ; implicit-def: $vgpr18_vgpr19
.LBB123_62:
	s_andn2_saveexec_b64 s[6:7], s[6:7]
	s_cbranch_execz .LBB123_64
; %bb.63:
	v_mov_b32_e32 v0, 0
	global_store_dword v0, v18, s[54:55]
.LBB123_64:
	s_or_b64 exec, exec, s[6:7]
                                        ; implicit-def: $vgpr20_vgpr21
                                        ; implicit-def: $vgpr0_vgpr1
.LBB123_65:
	s_andn2_saveexec_b64 s[4:5], s[4:5]
	s_cbranch_execz .LBB123_71
; %bb.66:
	v_cmp_lt_i64_e32 vcc, 16, v[0:1]
	s_and_saveexec_b64 s[6:7], vcc
	s_xor_b64 s[6:7], exec, s[6:7]
	s_cbranch_execz .LBB123_68
; %bb.67:
	v_mov_b32_e32 v0, 0
	global_store_dword v0, v21, s[54:55]
                                        ; implicit-def: $vgpr20_vgpr21
.LBB123_68:
	s_andn2_saveexec_b64 s[6:7], s[6:7]
	s_cbranch_execz .LBB123_70
; %bb.69:
	v_mov_b32_e32 v0, 0
	global_store_dword v0, v20, s[54:55]
.LBB123_70:
	s_or_b64 exec, exec, s[6:7]
.LBB123_71:
	s_or_b64 exec, exec, s[4:5]
                                        ; implicit-def: $vgpr0_vgpr1
                                        ; implicit-def: $vgpr2_vgpr3
                                        ; implicit-def: $vgpr14_vgpr15
                                        ; implicit-def: $vgpr16_vgpr17
.LBB123_72:
	s_andn2_saveexec_b64 s[2:3], s[2:3]
	s_cbranch_execz .LBB123_90
; %bb.73:
	v_cmp_lt_i64_e32 vcc, 12, v[0:1]
	s_and_saveexec_b64 s[4:5], vcc
	s_xor_b64 s[4:5], exec, s[4:5]
	s_cbranch_execz .LBB123_83
; %bb.74:
	v_cmp_lt_i64_e32 vcc, 13, v[0:1]
	s_and_saveexec_b64 s[6:7], vcc
	s_xor_b64 s[6:7], exec, s[6:7]
	;; [unrolled: 5-line block ×3, first 2 shown]
	s_cbranch_execz .LBB123_77
; %bb.76:
	v_mov_b32_e32 v0, 0
	global_store_dword v0, v17, s[54:55]
                                        ; implicit-def: $vgpr16_vgpr17
.LBB123_77:
	s_andn2_saveexec_b64 s[8:9], s[8:9]
	s_cbranch_execz .LBB123_79
; %bb.78:
	v_mov_b32_e32 v0, 0
	global_store_dword v0, v16, s[54:55]
.LBB123_79:
	s_or_b64 exec, exec, s[8:9]
                                        ; implicit-def: $vgpr14_vgpr15
.LBB123_80:
	s_andn2_saveexec_b64 s[6:7], s[6:7]
	s_cbranch_execz .LBB123_82
; %bb.81:
	v_mov_b32_e32 v0, 0
	global_store_dword v0, v15, s[54:55]
.LBB123_82:
	s_or_b64 exec, exec, s[6:7]
                                        ; implicit-def: $vgpr2_vgpr3
                                        ; implicit-def: $vgpr0_vgpr1
                                        ; implicit-def: $vgpr14_vgpr15
.LBB123_83:
	s_andn2_saveexec_b64 s[4:5], s[4:5]
	s_cbranch_execz .LBB123_89
; %bb.84:
	v_cmp_lt_i64_e32 vcc, 11, v[0:1]
	s_and_saveexec_b64 s[6:7], vcc
	s_xor_b64 s[6:7], exec, s[6:7]
	s_cbranch_execz .LBB123_86
; %bb.85:
	v_mov_b32_e32 v0, 0
	global_store_dword v0, v14, s[54:55]
                                        ; implicit-def: $vgpr2_vgpr3
.LBB123_86:
	s_andn2_saveexec_b64 s[6:7], s[6:7]
	s_cbranch_execz .LBB123_88
; %bb.87:
	v_mov_b32_e32 v0, 0
	global_store_dword v0, v3, s[54:55]
.LBB123_88:
	s_or_b64 exec, exec, s[6:7]
.LBB123_89:
	s_or_b64 exec, exec, s[4:5]
.LBB123_90:
	s_or_b64 exec, exec, s[2:3]
                                        ; implicit-def: $vgpr0_vgpr1
                                        ; implicit-def: $vgpr12_vgpr13
                                        ; implicit-def: $vgpr6_vgpr7
                                        ; implicit-def: $vgpr4_vgpr5
                                        ; implicit-def: $vgpr10_vgpr11
                                        ; implicit-def: $vgpr8_vgpr9
                                        ; implicit-def: $vgpr2_vgpr3
.LBB123_91:
	s_andn2_saveexec_b64 s[0:1], s[0:1]
	s_cbranch_execz .LBB123_129
; %bb.92:
	v_cmp_lt_i64_e32 vcc, 5, v[0:1]
	s_and_saveexec_b64 s[0:1], vcc
	s_xor_b64 s[0:1], exec, s[0:1]
	s_cbranch_execz .LBB123_110
; %bb.93:
	v_cmp_lt_i64_e32 vcc, 7, v[0:1]
	s_and_saveexec_b64 s[2:3], vcc
	s_xor_b64 s[2:3], exec, s[2:3]
	;; [unrolled: 5-line block ×4, first 2 shown]
	s_cbranch_execz .LBB123_97
; %bb.96:
	v_mov_b32_e32 v0, 0
	global_store_dword v0, v2, s[54:55]
                                        ; implicit-def: $vgpr10_vgpr11
.LBB123_97:
	s_andn2_saveexec_b64 s[6:7], s[6:7]
	s_cbranch_execz .LBB123_99
; %bb.98:
	v_mov_b32_e32 v0, 0
	global_store_dword v0, v11, s[54:55]
.LBB123_99:
	s_or_b64 exec, exec, s[6:7]
                                        ; implicit-def: $vgpr10_vgpr11
.LBB123_100:
	s_andn2_saveexec_b64 s[4:5], s[4:5]
	s_cbranch_execz .LBB123_102
; %bb.101:
	v_mov_b32_e32 v0, 0
	global_store_dword v0, v10, s[54:55]
.LBB123_102:
	s_or_b64 exec, exec, s[4:5]
                                        ; implicit-def: $vgpr12_vgpr13
                                        ; implicit-def: $vgpr0_vgpr1
.LBB123_103:
	s_andn2_saveexec_b64 s[2:3], s[2:3]
	s_cbranch_execz .LBB123_109
; %bb.104:
	v_cmp_lt_i64_e32 vcc, 6, v[0:1]
	s_and_saveexec_b64 s[4:5], vcc
	s_xor_b64 s[4:5], exec, s[4:5]
	s_cbranch_execz .LBB123_106
; %bb.105:
	v_mov_b32_e32 v0, 0
	global_store_dword v0, v13, s[54:55]
                                        ; implicit-def: $vgpr12_vgpr13
.LBB123_106:
	s_andn2_saveexec_b64 s[4:5], s[4:5]
	s_cbranch_execz .LBB123_108
; %bb.107:
	v_mov_b32_e32 v0, 0
	global_store_dword v0, v12, s[54:55]
.LBB123_108:
	s_or_b64 exec, exec, s[4:5]
.LBB123_109:
	s_or_b64 exec, exec, s[2:3]
                                        ; implicit-def: $vgpr0_vgpr1
                                        ; implicit-def: $vgpr6_vgpr7
                                        ; implicit-def: $vgpr4_vgpr5
                                        ; implicit-def: $vgpr8_vgpr9
.LBB123_110:
	s_andn2_saveexec_b64 s[0:1], s[0:1]
	s_cbranch_execz .LBB123_129
; %bb.111:
	v_cmp_lt_i64_e32 vcc, 2, v[0:1]
	s_and_saveexec_b64 s[0:1], vcc
	s_xor_b64 s[0:1], exec, s[0:1]
	s_cbranch_execz .LBB123_121
; %bb.112:
	v_cmp_lt_i64_e32 vcc, 3, v[0:1]
	s_and_saveexec_b64 s[2:3], vcc
	s_xor_b64 s[2:3], exec, s[2:3]
	;; [unrolled: 5-line block ×3, first 2 shown]
	s_cbranch_execz .LBB123_115
; %bb.114:
	v_mov_b32_e32 v0, 0
	global_store_dword v0, v9, s[54:55]
                                        ; implicit-def: $vgpr8_vgpr9
.LBB123_115:
	s_andn2_saveexec_b64 s[4:5], s[4:5]
	s_cbranch_execz .LBB123_117
; %bb.116:
	v_mov_b32_e32 v0, 0
	global_store_dword v0, v8, s[54:55]
.LBB123_117:
	s_or_b64 exec, exec, s[4:5]
                                        ; implicit-def: $vgpr6_vgpr7
.LBB123_118:
	s_andn2_saveexec_b64 s[2:3], s[2:3]
	s_cbranch_execz .LBB123_120
; %bb.119:
	v_mov_b32_e32 v0, 0
	global_store_dword v0, v7, s[54:55]
.LBB123_120:
	s_or_b64 exec, exec, s[2:3]
                                        ; implicit-def: $vgpr0_vgpr1
                                        ; implicit-def: $vgpr6_vgpr7
                                        ; implicit-def: $vgpr4_vgpr5
.LBB123_121:
	s_andn2_saveexec_b64 s[0:1], s[0:1]
	s_cbranch_execz .LBB123_129
; %bb.122:
	v_cmp_lt_i64_e32 vcc, 1, v[0:1]
	s_and_saveexec_b64 s[0:1], vcc
	s_xor_b64 s[0:1], exec, s[0:1]
	s_cbranch_execz .LBB123_124
; %bb.123:
	v_mov_b32_e32 v0, 0
	global_store_dword v0, v6, s[54:55]
                                        ; implicit-def: $vgpr4_vgpr5
                                        ; implicit-def: $vgpr0_vgpr1
.LBB123_124:
	s_andn2_saveexec_b64 s[0:1], s[0:1]
	s_cbranch_execz .LBB123_129
; %bb.125:
	v_cmp_ne_u64_e32 vcc, 1, v[0:1]
	s_and_saveexec_b64 s[0:1], vcc
	s_xor_b64 s[0:1], exec, s[0:1]
	s_cbranch_execz .LBB123_127
; %bb.126:
	v_mov_b32_e32 v0, 0
	global_store_dword v0, v4, s[54:55]
                                        ; implicit-def: $vgpr4_vgpr5
.LBB123_127:
	s_andn2_saveexec_b64 s[0:1], s[0:1]
	s_cbranch_execz .LBB123_129
; %bb.128:
	v_mov_b32_e32 v0, 0
	global_store_dword v0, v5, s[54:55]
.LBB123_129:
	s_endpgm
	.section	.rodata,"a",@progbits
	.p2align	6, 0x0
	.amdhsa_kernel _ZN7rocprim6detail20lookback_scan_kernelILNS0_25lookback_scan_determinismE0ELb1ENS0_19wrapped_scan_configINS_14default_configEjEEN6hipcub21CountingInputIteratorIjlEEN10test_utils21single_index_iteratorIjEENS6_3SumEjjNS0_19lookback_scan_stateIjLb0ELb1EEEEEvT2_T3_mT5_T4_T7_jPT6_SL_bb
		.amdhsa_group_segment_fixed_size 21504
		.amdhsa_private_segment_fixed_size 0
		.amdhsa_kernarg_size 84
		.amdhsa_user_sgpr_count 2
		.amdhsa_user_sgpr_dispatch_ptr 0
		.amdhsa_user_sgpr_queue_ptr 0
		.amdhsa_user_sgpr_kernarg_segment_ptr 1
		.amdhsa_user_sgpr_dispatch_id 0
		.amdhsa_user_sgpr_kernarg_preload_length 0
		.amdhsa_user_sgpr_kernarg_preload_offset 0
		.amdhsa_user_sgpr_private_segment_size 0
		.amdhsa_uses_dynamic_stack 0
		.amdhsa_enable_private_segment 0
		.amdhsa_system_sgpr_workgroup_id_x 1
		.amdhsa_system_sgpr_workgroup_id_y 0
		.amdhsa_system_sgpr_workgroup_id_z 0
		.amdhsa_system_sgpr_workgroup_info 0
		.amdhsa_system_vgpr_workitem_id 0
		.amdhsa_next_free_vgpr 53
		.amdhsa_next_free_sgpr 57
		.amdhsa_accum_offset 56
		.amdhsa_reserve_vcc 1
		.amdhsa_float_round_mode_32 0
		.amdhsa_float_round_mode_16_64 0
		.amdhsa_float_denorm_mode_32 3
		.amdhsa_float_denorm_mode_16_64 3
		.amdhsa_dx10_clamp 1
		.amdhsa_ieee_mode 1
		.amdhsa_fp16_overflow 0
		.amdhsa_tg_split 0
		.amdhsa_exception_fp_ieee_invalid_op 0
		.amdhsa_exception_fp_denorm_src 0
		.amdhsa_exception_fp_ieee_div_zero 0
		.amdhsa_exception_fp_ieee_overflow 0
		.amdhsa_exception_fp_ieee_underflow 0
		.amdhsa_exception_fp_ieee_inexact 0
		.amdhsa_exception_int_div_zero 0
	.end_amdhsa_kernel
	.section	.text._ZN7rocprim6detail20lookback_scan_kernelILNS0_25lookback_scan_determinismE0ELb1ENS0_19wrapped_scan_configINS_14default_configEjEEN6hipcub21CountingInputIteratorIjlEEN10test_utils21single_index_iteratorIjEENS6_3SumEjjNS0_19lookback_scan_stateIjLb0ELb1EEEEEvT2_T3_mT5_T4_T7_jPT6_SL_bb,"axG",@progbits,_ZN7rocprim6detail20lookback_scan_kernelILNS0_25lookback_scan_determinismE0ELb1ENS0_19wrapped_scan_configINS_14default_configEjEEN6hipcub21CountingInputIteratorIjlEEN10test_utils21single_index_iteratorIjEENS6_3SumEjjNS0_19lookback_scan_stateIjLb0ELb1EEEEEvT2_T3_mT5_T4_T7_jPT6_SL_bb,comdat
.Lfunc_end123:
	.size	_ZN7rocprim6detail20lookback_scan_kernelILNS0_25lookback_scan_determinismE0ELb1ENS0_19wrapped_scan_configINS_14default_configEjEEN6hipcub21CountingInputIteratorIjlEEN10test_utils21single_index_iteratorIjEENS6_3SumEjjNS0_19lookback_scan_stateIjLb0ELb1EEEEEvT2_T3_mT5_T4_T7_jPT6_SL_bb, .Lfunc_end123-_ZN7rocprim6detail20lookback_scan_kernelILNS0_25lookback_scan_determinismE0ELb1ENS0_19wrapped_scan_configINS_14default_configEjEEN6hipcub21CountingInputIteratorIjlEEN10test_utils21single_index_iteratorIjEENS6_3SumEjjNS0_19lookback_scan_stateIjLb0ELb1EEEEEvT2_T3_mT5_T4_T7_jPT6_SL_bb
                                        ; -- End function
	.section	.AMDGPU.csdata,"",@progbits
; Kernel info:
; codeLenInByte = 6904
; NumSgprs: 63
; NumVgprs: 53
; NumAgprs: 0
; TotalNumVgprs: 53
; ScratchSize: 0
; MemoryBound: 0
; FloatMode: 240
; IeeeMode: 1
; LDSByteSize: 21504 bytes/workgroup (compile time only)
; SGPRBlocks: 7
; VGPRBlocks: 6
; NumSGPRsForWavesPerEU: 63
; NumVGPRsForWavesPerEU: 53
; AccumOffset: 56
; Occupancy: 3
; WaveLimiterHint : 0
; COMPUTE_PGM_RSRC2:SCRATCH_EN: 0
; COMPUTE_PGM_RSRC2:USER_SGPR: 2
; COMPUTE_PGM_RSRC2:TRAP_HANDLER: 0
; COMPUTE_PGM_RSRC2:TGID_X_EN: 1
; COMPUTE_PGM_RSRC2:TGID_Y_EN: 0
; COMPUTE_PGM_RSRC2:TGID_Z_EN: 0
; COMPUTE_PGM_RSRC2:TIDIG_COMP_CNT: 0
; COMPUTE_PGM_RSRC3_GFX90A:ACCUM_OFFSET: 13
; COMPUTE_PGM_RSRC3_GFX90A:TG_SPLIT: 0
	.section	.text._ZN7rocprim6detail18single_scan_kernelILb1ENS0_19wrapped_scan_configINS_14default_configEjEEN6hipcub21CountingInputIteratorIjlEEN10test_utils21single_index_iteratorIjEENS5_3SumEjjEEvT1_mT4_T2_T3_,"axG",@progbits,_ZN7rocprim6detail18single_scan_kernelILb1ENS0_19wrapped_scan_configINS_14default_configEjEEN6hipcub21CountingInputIteratorIjlEEN10test_utils21single_index_iteratorIjEENS5_3SumEjjEEvT1_mT4_T2_T3_,comdat
	.protected	_ZN7rocprim6detail18single_scan_kernelILb1ENS0_19wrapped_scan_configINS_14default_configEjEEN6hipcub21CountingInputIteratorIjlEEN10test_utils21single_index_iteratorIjEENS5_3SumEjjEEvT1_mT4_T2_T3_ ; -- Begin function _ZN7rocprim6detail18single_scan_kernelILb1ENS0_19wrapped_scan_configINS_14default_configEjEEN6hipcub21CountingInputIteratorIjlEEN10test_utils21single_index_iteratorIjEENS5_3SumEjjEEvT1_mT4_T2_T3_
	.globl	_ZN7rocprim6detail18single_scan_kernelILb1ENS0_19wrapped_scan_configINS_14default_configEjEEN6hipcub21CountingInputIteratorIjlEEN10test_utils21single_index_iteratorIjEENS5_3SumEjjEEvT1_mT4_T2_T3_
	.p2align	8
	.type	_ZN7rocprim6detail18single_scan_kernelILb1ENS0_19wrapped_scan_configINS_14default_configEjEEN6hipcub21CountingInputIteratorIjlEEN10test_utils21single_index_iteratorIjEENS5_3SumEjjEEvT1_mT4_T2_T3_,@function
_ZN7rocprim6detail18single_scan_kernelILb1ENS0_19wrapped_scan_configINS_14default_configEjEEN6hipcub21CountingInputIteratorIjlEEN10test_utils21single_index_iteratorIjEENS5_3SumEjjEEvT1_mT4_T2_T3_: ; @_ZN7rocprim6detail18single_scan_kernelILb1ENS0_19wrapped_scan_configINS_14default_configEjEEN6hipcub21CountingInputIteratorIjlEEN10test_utils21single_index_iteratorIjEENS5_3SumEjjEEvT1_mT4_T2_T3_
; %bb.0:
	s_load_dword s2, s[0:1], 0x0
	s_load_dword s33, s[0:1], 0x8
	s_load_dwordx4 s[48:51], s[0:1], 0x18
	s_load_dwordx2 s[46:47], s[0:1], 0x28
	v_or_b32_e32 v4, 0x100, v0
	s_waitcnt lgkmcnt(0)
	v_add_u32_e32 v1, s2, v0
	v_mov_b32_e32 v2, s2
	v_add_u32_e32 v5, 0x100, v1
	v_cmp_gt_u32_e64 s[42:43], s33, v4
	v_add_u32_e32 v6, 0x200, v1
	v_add_u32_e32 v7, 0x300, v1
	v_cndmask_b32_e64 v4, v2, v5, s[42:43]
	v_or_b32_e32 v5, 0x200, v0
	v_cmp_gt_u32_e64 s[2:3], s33, v5
	v_add_u32_e32 v8, 0x400, v1
	v_add_u32_e32 v9, 0x500, v1
	v_cndmask_b32_e64 v5, v2, v6, s[2:3]
	v_or_b32_e32 v6, 0x300, v0
	;; [unrolled: 5-line block ×8, first 2 shown]
	v_cmp_gt_u32_e64 s[16:17], s33, v12
	v_add_u32_e32 v22, 0x1200, v1
	v_cmp_gt_u32_e32 vcc, s33, v0
	v_cndmask_b32_e64 v12, v2, v13, s[16:17]
	v_or_b32_e32 v13, 0xa00, v0
	v_cmp_gt_u32_e64 s[18:19], s33, v13
	v_cndmask_b32_e32 v3, v2, v1, vcc
	v_add_u32_e32 v23, 0x1300, v1
	v_cndmask_b32_e64 v13, v2, v14, s[18:19]
	v_or_b32_e32 v14, 0xb00, v0
	v_cmp_gt_u32_e64 s[20:21], s33, v14
	v_add_u32_e32 v1, 0x1400, v1
	v_lshrrev_b32_e32 v26, 6, v0
	v_cndmask_b32_e64 v14, v2, v15, s[20:21]
	v_or_b32_e32 v15, 0xc00, v0
	v_cmp_gt_u32_e64 s[22:23], s33, v15
	s_nop 1
	v_cndmask_b32_e64 v15, v2, v16, s[22:23]
	v_or_b32_e32 v16, 0xd00, v0
	v_cmp_gt_u32_e64 s[24:25], s33, v16
	s_nop 1
	;; [unrolled: 4-line block ×7, first 2 shown]
	v_cndmask_b32_e64 v21, v2, v22, s[36:37]
	v_or_b32_e32 v22, 0x1300, v0
	v_cmp_gt_u32_e64 s[38:39], s33, v22
	v_or_b32_e32 v22, 0x1400, v0
	v_cmp_gt_u32_e64 s[40:41], s33, v22
	v_lshlrev_b32_e32 v22, 2, v0
	s_movk_i32 s33, 0x50
	v_cndmask_b32_e64 v1, v2, v1, s[40:41]
	v_cndmask_b32_e64 v23, v2, v23, s[38:39]
	ds_write2st64_b32 v22, v3, v4 offset1:4
	ds_write2st64_b32 v22, v5, v6 offset0:8 offset1:12
	ds_write2st64_b32 v22, v7, v8 offset0:16 offset1:20
	;; [unrolled: 1-line block ×9, first 2 shown]
	ds_write_b32 v22, v1 offset:20480
	v_mad_u32_u24 v1, v0, s33, v22
	s_waitcnt lgkmcnt(0)
	s_barrier
	ds_read2_b32 v[20:21], v1 offset1:1
	ds_read2_b32 v[18:19], v1 offset0:2 offset1:3
	ds_read2_b32 v[16:17], v1 offset0:4 offset1:5
	;; [unrolled: 1-line block ×9, first 2 shown]
	ds_read_b32 v1, v1 offset:80
	s_waitcnt lgkmcnt(9)
	v_add3_u32 v23, v21, v20, v18
	s_waitcnt lgkmcnt(8)
	v_add3_u32 v23, v23, v19, v16
	;; [unrolled: 2-line block ×10, first 2 shown]
	v_mbcnt_lo_u32_b32 v23, -1, 0
	v_mbcnt_hi_u32_b32 v23, -1, v23
	v_and_b32_e32 v24, 15, v23
	v_mov_b32_dpp v25, v1 row_shr:1 row_mask:0xf bank_mask:0xf
	v_cmp_ne_u32_e64 s[44:45], 0, v24
	s_barrier
	s_nop 0
	v_cndmask_b32_e64 v25, 0, v25, s[44:45]
	v_add_u32_e32 v1, v25, v1
	v_cmp_lt_u32_e64 s[44:45], 1, v24
	s_nop 0
	v_mov_b32_dpp v25, v1 row_shr:2 row_mask:0xf bank_mask:0xf
	v_cndmask_b32_e64 v25, 0, v25, s[44:45]
	v_add_u32_e32 v1, v1, v25
	v_cmp_lt_u32_e64 s[44:45], 3, v24
	s_nop 0
	v_mov_b32_dpp v25, v1 row_shr:4 row_mask:0xf bank_mask:0xf
	v_cndmask_b32_e64 v25, 0, v25, s[44:45]
	v_add_u32_e32 v1, v1, v25
	v_cmp_lt_u32_e64 s[44:45], 7, v24
	s_nop 0
	v_mov_b32_dpp v25, v1 row_shr:8 row_mask:0xf bank_mask:0xf
	v_cndmask_b32_e64 v24, 0, v25, s[44:45]
	v_add_u32_e32 v1, v1, v24
	v_bfe_i32 v25, v23, 4, 1
	v_cmp_lt_u32_e64 s[44:45], 31, v23
	v_mov_b32_dpp v24, v1 row_bcast:15 row_mask:0xf bank_mask:0xf
	v_and_b32_e32 v24, v25, v24
	v_add_u32_e32 v1, v1, v24
	s_nop 1
	v_mov_b32_dpp v24, v1 row_bcast:31 row_mask:0xf bank_mask:0xf
	v_cndmask_b32_e64 v24, 0, v24, s[44:45]
	v_add_u32_e32 v24, v1, v24
	v_or_b32_e32 v1, 63, v0
	v_cmp_eq_u32_e64 s[44:45], v1, v0
	s_and_saveexec_b64 s[52:53], s[44:45]
	s_cbranch_execz .LBB124_2
; %bb.1:
	v_lshlrev_b32_e32 v1, 2, v26
	ds_write_b32 v1, v24
.LBB124_2:
	s_or_b64 exec, exec, s[52:53]
	v_mov_b32_e32 v1, 0
	v_cmp_gt_u32_e64 s[44:45], 4, v0
	s_waitcnt lgkmcnt(0)
	s_barrier
	s_and_saveexec_b64 s[52:53], s[44:45]
	s_cbranch_execz .LBB124_4
; %bb.3:
	ds_read_b32 v25, v22
	v_and_b32_e32 v27, 3, v23
	v_cmp_ne_u32_e64 s[44:45], 0, v27
	s_waitcnt lgkmcnt(0)
	v_mov_b32_dpp v28, v25 row_shr:1 row_mask:0xf bank_mask:0xf
	v_cndmask_b32_e64 v28, 0, v28, s[44:45]
	v_add_u32_e32 v25, v28, v25
	v_cmp_lt_u32_e64 s[44:45], 1, v27
	s_nop 0
	v_mov_b32_dpp v28, v25 row_shr:2 row_mask:0xf bank_mask:0xf
	v_cndmask_b32_e64 v27, 0, v28, s[44:45]
	v_add_u32_e32 v25, v25, v27
	ds_write_b32 v22, v25
.LBB124_4:
	s_or_b64 exec, exec, s[52:53]
	s_load_dword s33, s[0:1], 0x10
	v_mul_u32_u24_e32 v25, 0x50, v0
	v_cmp_lt_u32_e64 s[0:1], 63, v0
	s_waitcnt lgkmcnt(0)
	s_barrier
	v_mov_b32_e32 v27, s33
	s_and_saveexec_b64 s[44:45], s[0:1]
	s_cbranch_execz .LBB124_6
; %bb.5:
	v_lshl_add_u32 v26, v26, 2, -4
	ds_read_b32 v26, v26
	s_waitcnt lgkmcnt(0)
	v_add_u32_e32 v27, s33, v26
.LBB124_6:
	s_or_b64 exec, exec, s[44:45]
	v_add_u32_e32 v26, -1, v23
	v_and_b32_e32 v28, 64, v23
	v_cmp_lt_i32_e64 s[0:1], v26, v28
	v_add_u32_e32 v24, v27, v24
	s_mov_b64 s[44:45], 0x100
	v_cndmask_b32_e64 v26, v26, v23, s[0:1]
	v_lshlrev_b32_e32 v26, 2, v26
	ds_bpermute_b32 v24, v26, v24
	v_cmp_eq_u32_e64 s[0:1], 0, v23
	s_waitcnt lgkmcnt(0)
	s_barrier
	v_cndmask_b32_e64 v23, v24, v27, s[0:1]
	v_mov_b32_e32 v24, s33
	v_cmp_eq_u32_e64 s[0:1], 0, v0
	v_lshl_add_u64 v[0:1], s[46:47], 0, v[0:1]
	s_nop 0
	v_cndmask_b32_e64 v23, v23, v24, s[0:1]
	v_add_u32_e32 v20, v23, v20
	v_add_u32_e32 v21, v20, v21
	v_add_u32_e32 v18, v21, v18
	v_add_u32_e32 v19, v18, v19
	v_add_u32_e32 v16, v19, v16
	v_add_u32_e32 v17, v16, v17
	v_add_u32_e32 v14, v17, v14
	v_add_u32_e32 v15, v14, v15
	v_add_u32_e32 v12, v15, v12
	v_add_u32_e32 v13, v12, v13
	v_add_u32_e32 v10, v13, v10
	v_add_u32_e32 v11, v10, v11
	v_add_u32_e32 v8, v11, v8
	v_add_u32_e32 v9, v8, v9
	v_add_u32_e32 v6, v9, v6
	v_add_u32_e32 v7, v6, v7
	v_add_u32_e32 v4, v7, v4
	v_add_u32_e32 v5, v4, v5
	v_add_u32_e32 v2, v5, v2
	v_add_u32_e32 v3, v2, v3
	v_add_u32_e32 v24, v22, v25
	ds_write2_b32 v24, v23, v20 offset1:1
	ds_write2_b32 v24, v21, v18 offset0:2 offset1:3
	ds_write2_b32 v24, v19, v16 offset0:4 offset1:5
	;; [unrolled: 1-line block ×9, first 2 shown]
	ds_write_b32 v24, v3 offset:80
	v_cmp_eq_u64_e64 s[0:1], s[50:51], v[0:1]
	v_lshl_add_u64 v[2:3], v[0:1], 0, s[44:45]
	s_and_b64 s[0:1], vcc, s[0:1]
	v_cmp_eq_u64_e32 vcc, s[50:51], v[2:3]
	s_and_b64 vcc, s[42:43], vcc
	s_or_b64 s[42:43], s[0:1], vcc
	s_mov_b64 s[0:1], 0x200
	v_lshl_add_u64 v[2:3], v[0:1], 0, s[0:1]
	v_cmp_eq_u64_e64 s[0:1], s[50:51], v[2:3]
	s_and_b64 s[0:1], s[2:3], s[0:1]
	s_mov_b64 s[2:3], 0x300
	v_lshl_add_u64 v[2:3], v[0:1], 0, s[2:3]
	v_cmp_eq_u64_e64 s[2:3], s[50:51], v[2:3]
	s_and_b64 s[2:3], s[4:5], s[2:3]
	;; [unrolled: 4-line block ×13, first 2 shown]
	s_mov_b64 s[26:27], 0xf00
	s_or_b64 s[42:43], s[0:1], s[42:43]
	v_lshl_add_u64 v[2:3], v[0:1], 0, s[26:27]
	s_or_b64 s[42:43], s[2:3], s[42:43]
	v_cmp_eq_u64_e64 s[26:27], s[50:51], v[2:3]
	s_or_b64 s[42:43], s[4:5], s[42:43]
	s_and_b64 s[26:27], s[28:29], s[26:27]
	s_mov_b64 s[28:29], 0x1000
	s_or_b64 s[42:43], s[6:7], s[42:43]
	v_lshl_add_u64 v[2:3], v[0:1], 0, s[28:29]
	s_or_b64 s[42:43], s[8:9], s[42:43]
	v_cmp_eq_u64_e64 s[28:29], s[50:51], v[2:3]
	s_or_b64 s[42:43], s[10:11], s[42:43]
	s_and_b64 s[28:29], s[30:31], s[28:29]
	;; [unrolled: 7-line block ×6, first 2 shown]
	s_or_b64 s[40:41], s[38:39], s[42:43]
	s_waitcnt lgkmcnt(0)
	s_barrier
	s_and_saveexec_b64 s[42:43], s[40:41]
	s_cbranch_execz .LBB124_8
; %bb.7:
	ds_read_b32 v21, v22 offset:20480
	ds_read2st64_b32 v[0:1], v22 offset0:72 offset1:76
	ds_read2st64_b32 v[2:3], v22 offset0:64 offset1:68
	;; [unrolled: 1-line block ×5, first 2 shown]
	ds_read2st64_b32 v[10:11], v22 offset1:4
	ds_read2st64_b32 v[12:13], v22 offset0:8 offset1:12
	ds_read2st64_b32 v[14:15], v22 offset0:32 offset1:36
	;; [unrolled: 1-line block ×4, first 2 shown]
	s_waitcnt lgkmcnt(4)
	v_cndmask_b32_e32 v10, v10, v11, vcc
	s_waitcnt lgkmcnt(3)
	v_cndmask_b32_e64 v10, v10, v12, s[0:1]
	v_cndmask_b32_e64 v10, v10, v13, s[2:3]
	s_waitcnt lgkmcnt(1)
	v_cndmask_b32_e64 v10, v10, v16, s[4:5]
	v_cndmask_b32_e64 v10, v10, v17, s[6:7]
	s_waitcnt lgkmcnt(0)
	v_cndmask_b32_e64 v10, v10, v18, s[8:9]
	v_cndmask_b32_e64 v10, v10, v19, s[10:11]
	v_cndmask_b32_e64 v10, v10, v14, s[12:13]
	v_cndmask_b32_e64 v10, v10, v15, s[14:15]
	;; [unrolled: 1-line block ×12, first 2 shown]
	v_mov_b32_e32 v20, 0
	v_cndmask_b32_e64 v0, v0, v21, s[38:39]
	global_store_dword v20, v0, s[48:49]
.LBB124_8:
	s_endpgm
	.section	.rodata,"a",@progbits
	.p2align	6, 0x0
	.amdhsa_kernel _ZN7rocprim6detail18single_scan_kernelILb1ENS0_19wrapped_scan_configINS_14default_configEjEEN6hipcub21CountingInputIteratorIjlEEN10test_utils21single_index_iteratorIjEENS5_3SumEjjEEvT1_mT4_T2_T3_
		.amdhsa_group_segment_fixed_size 21504
		.amdhsa_private_segment_fixed_size 0
		.amdhsa_kernarg_size 52
		.amdhsa_user_sgpr_count 2
		.amdhsa_user_sgpr_dispatch_ptr 0
		.amdhsa_user_sgpr_queue_ptr 0
		.amdhsa_user_sgpr_kernarg_segment_ptr 1
		.amdhsa_user_sgpr_dispatch_id 0
		.amdhsa_user_sgpr_kernarg_preload_length 0
		.amdhsa_user_sgpr_kernarg_preload_offset 0
		.amdhsa_user_sgpr_private_segment_size 0
		.amdhsa_uses_dynamic_stack 0
		.amdhsa_enable_private_segment 0
		.amdhsa_system_sgpr_workgroup_id_x 1
		.amdhsa_system_sgpr_workgroup_id_y 0
		.amdhsa_system_sgpr_workgroup_id_z 0
		.amdhsa_system_sgpr_workgroup_info 0
		.amdhsa_system_vgpr_workitem_id 0
		.amdhsa_next_free_vgpr 29
		.amdhsa_next_free_sgpr 54
		.amdhsa_accum_offset 32
		.amdhsa_reserve_vcc 1
		.amdhsa_float_round_mode_32 0
		.amdhsa_float_round_mode_16_64 0
		.amdhsa_float_denorm_mode_32 3
		.amdhsa_float_denorm_mode_16_64 3
		.amdhsa_dx10_clamp 1
		.amdhsa_ieee_mode 1
		.amdhsa_fp16_overflow 0
		.amdhsa_tg_split 0
		.amdhsa_exception_fp_ieee_invalid_op 0
		.amdhsa_exception_fp_denorm_src 0
		.amdhsa_exception_fp_ieee_div_zero 0
		.amdhsa_exception_fp_ieee_overflow 0
		.amdhsa_exception_fp_ieee_underflow 0
		.amdhsa_exception_fp_ieee_inexact 0
		.amdhsa_exception_int_div_zero 0
	.end_amdhsa_kernel
	.section	.text._ZN7rocprim6detail18single_scan_kernelILb1ENS0_19wrapped_scan_configINS_14default_configEjEEN6hipcub21CountingInputIteratorIjlEEN10test_utils21single_index_iteratorIjEENS5_3SumEjjEEvT1_mT4_T2_T3_,"axG",@progbits,_ZN7rocprim6detail18single_scan_kernelILb1ENS0_19wrapped_scan_configINS_14default_configEjEEN6hipcub21CountingInputIteratorIjlEEN10test_utils21single_index_iteratorIjEENS5_3SumEjjEEvT1_mT4_T2_T3_,comdat
.Lfunc_end124:
	.size	_ZN7rocprim6detail18single_scan_kernelILb1ENS0_19wrapped_scan_configINS_14default_configEjEEN6hipcub21CountingInputIteratorIjlEEN10test_utils21single_index_iteratorIjEENS5_3SumEjjEEvT1_mT4_T2_T3_, .Lfunc_end124-_ZN7rocprim6detail18single_scan_kernelILb1ENS0_19wrapped_scan_configINS_14default_configEjEEN6hipcub21CountingInputIteratorIjlEEN10test_utils21single_index_iteratorIjEENS5_3SumEjjEEvT1_mT4_T2_T3_
                                        ; -- End function
	.section	.AMDGPU.csdata,"",@progbits
; Kernel info:
; codeLenInByte = 2684
; NumSgprs: 60
; NumVgprs: 29
; NumAgprs: 0
; TotalNumVgprs: 29
; ScratchSize: 0
; MemoryBound: 0
; FloatMode: 240
; IeeeMode: 1
; LDSByteSize: 21504 bytes/workgroup (compile time only)
; SGPRBlocks: 7
; VGPRBlocks: 3
; NumSGPRsForWavesPerEU: 60
; NumVGPRsForWavesPerEU: 29
; AccumOffset: 32
; Occupancy: 3
; WaveLimiterHint : 0
; COMPUTE_PGM_RSRC2:SCRATCH_EN: 0
; COMPUTE_PGM_RSRC2:USER_SGPR: 2
; COMPUTE_PGM_RSRC2:TRAP_HANDLER: 0
; COMPUTE_PGM_RSRC2:TGID_X_EN: 1
; COMPUTE_PGM_RSRC2:TGID_Y_EN: 0
; COMPUTE_PGM_RSRC2:TGID_Z_EN: 0
; COMPUTE_PGM_RSRC2:TIDIG_COMP_CNT: 0
; COMPUTE_PGM_RSRC3_GFX90A:ACCUM_OFFSET: 7
; COMPUTE_PGM_RSRC3_GFX90A:TG_SPLIT: 0
	.section	.text._ZN7rocprim6detail31init_lookback_scan_state_kernelINS0_19lookback_scan_stateIlLb1ELb1EEEEEvT_jjPNS4_10value_typeE,"axG",@progbits,_ZN7rocprim6detail31init_lookback_scan_state_kernelINS0_19lookback_scan_stateIlLb1ELb1EEEEEvT_jjPNS4_10value_typeE,comdat
	.protected	_ZN7rocprim6detail31init_lookback_scan_state_kernelINS0_19lookback_scan_stateIlLb1ELb1EEEEEvT_jjPNS4_10value_typeE ; -- Begin function _ZN7rocprim6detail31init_lookback_scan_state_kernelINS0_19lookback_scan_stateIlLb1ELb1EEEEEvT_jjPNS4_10value_typeE
	.globl	_ZN7rocprim6detail31init_lookback_scan_state_kernelINS0_19lookback_scan_stateIlLb1ELb1EEEEEvT_jjPNS4_10value_typeE
	.p2align	8
	.type	_ZN7rocprim6detail31init_lookback_scan_state_kernelINS0_19lookback_scan_stateIlLb1ELb1EEEEEvT_jjPNS4_10value_typeE,@function
_ZN7rocprim6detail31init_lookback_scan_state_kernelINS0_19lookback_scan_stateIlLb1ELb1EEEEEvT_jjPNS4_10value_typeE: ; @_ZN7rocprim6detail31init_lookback_scan_state_kernelINS0_19lookback_scan_stateIlLb1ELb1EEEEEvT_jjPNS4_10value_typeE
; %bb.0:
	s_load_dword s3, s[0:1], 0x24
	s_load_dwordx2 s[8:9], s[0:1], 0x10
	s_load_dwordx4 s[4:7], s[0:1], 0x0
	s_waitcnt lgkmcnt(0)
	s_and_b32 s0, s3, 0xffff
	s_mul_i32 s2, s2, s0
	s_cmp_eq_u64 s[8:9], 0
	v_add_u32_e32 v0, s2, v0
	s_cbranch_scc1 .LBB125_10
; %bb.1:
	s_cmp_lt_u32 s7, s6
	s_cselect_b32 s0, s7, 0
	s_mov_b32 s3, 0
	v_cmp_eq_u32_e32 vcc, s0, v0
	s_and_saveexec_b64 s[0:1], vcc
	s_cbranch_execz .LBB125_9
; %bb.2:
	s_add_i32 s2, s7, 64
	s_lshl_b64 s[2:3], s[2:3], 4
	s_add_u32 s12, s4, s2
	s_addc_u32 s13, s5, s3
	v_mov_b64_e32 v[2:3], s[12:13]
	;;#ASMSTART
	global_load_dwordx4 v[2:5], v[2:3] off sc1	
s_waitcnt vmcnt(0)
	;;#ASMEND
	v_mov_b32_e32 v7, 0
	v_and_b32_e32 v6, 0xff, v4
	s_mov_b64 s[10:11], 0
	v_cmp_eq_u64_e32 vcc, 0, v[6:7]
	s_and_saveexec_b64 s[2:3], vcc
	s_cbranch_execz .LBB125_8
; %bb.3:
	s_mov_b32 s7, 1
	v_mov_b64_e32 v[8:9], s[12:13]
.LBB125_4:                              ; =>This Loop Header: Depth=1
                                        ;     Child Loop BB125_5 Depth 2
	s_max_u32 s12, s7, 1
.LBB125_5:                              ;   Parent Loop BB125_4 Depth=1
                                        ; =>  This Inner Loop Header: Depth=2
	s_add_i32 s12, s12, -1
	s_cmp_eq_u32 s12, 0
	s_sleep 1
	s_cbranch_scc0 .LBB125_5
; %bb.6:                                ;   in Loop: Header=BB125_4 Depth=1
	s_cmp_lt_u32 s7, 32
	s_cselect_b64 s[12:13], -1, 0
	s_cmp_lg_u64 s[12:13], 0
	;;#ASMSTART
	global_load_dwordx4 v[2:5], v[8:9] off sc1	
s_waitcnt vmcnt(0)
	;;#ASMEND
	s_addc_u32 s7, s7, 0
	v_and_b32_e32 v6, 0xff, v4
	v_cmp_ne_u64_e32 vcc, 0, v[6:7]
	s_or_b64 s[10:11], vcc, s[10:11]
	s_andn2_b64 exec, exec, s[10:11]
	s_cbranch_execnz .LBB125_4
; %bb.7:
	s_or_b64 exec, exec, s[10:11]
.LBB125_8:
	s_or_b64 exec, exec, s[2:3]
	v_mov_b32_e32 v1, 0
	global_store_dwordx2 v1, v[2:3], s[8:9]
.LBB125_9:
	s_or_b64 exec, exec, s[0:1]
.LBB125_10:
	v_cmp_gt_u32_e32 vcc, s6, v0
	s_and_saveexec_b64 s[0:1], vcc
	s_cbranch_execnz .LBB125_13
; %bb.11:
	s_or_b64 exec, exec, s[0:1]
	v_cmp_gt_u32_e32 vcc, 64, v0
	s_and_saveexec_b64 s[0:1], vcc
	s_cbranch_execnz .LBB125_14
.LBB125_12:
	s_endpgm
.LBB125_13:
	v_add_u32_e32 v2, 64, v0
	v_mov_b32_e32 v3, 0
	v_lshl_add_u64 v[6:7], v[2:3], 4, s[4:5]
	v_mov_b32_e32 v2, v3
	v_mov_b32_e32 v4, v3
	;; [unrolled: 1-line block ×3, first 2 shown]
	global_store_dwordx4 v[6:7], v[2:5], off
	s_or_b64 exec, exec, s[0:1]
	v_cmp_gt_u32_e32 vcc, 64, v0
	s_and_saveexec_b64 s[0:1], vcc
	s_cbranch_execz .LBB125_12
.LBB125_14:
	v_mov_b32_e32 v1, 0
	v_lshl_add_u64 v[4:5], v[0:1], 4, s[4:5]
	v_mov_b32_e32 v2, 0xff
	v_mov_b32_e32 v0, v1
	;; [unrolled: 1-line block ×3, first 2 shown]
	global_store_dwordx4 v[4:5], v[0:3], off
	s_endpgm
	.section	.rodata,"a",@progbits
	.p2align	6, 0x0
	.amdhsa_kernel _ZN7rocprim6detail31init_lookback_scan_state_kernelINS0_19lookback_scan_stateIlLb1ELb1EEEEEvT_jjPNS4_10value_typeE
		.amdhsa_group_segment_fixed_size 0
		.amdhsa_private_segment_fixed_size 0
		.amdhsa_kernarg_size 280
		.amdhsa_user_sgpr_count 2
		.amdhsa_user_sgpr_dispatch_ptr 0
		.amdhsa_user_sgpr_queue_ptr 0
		.amdhsa_user_sgpr_kernarg_segment_ptr 1
		.amdhsa_user_sgpr_dispatch_id 0
		.amdhsa_user_sgpr_kernarg_preload_length 0
		.amdhsa_user_sgpr_kernarg_preload_offset 0
		.amdhsa_user_sgpr_private_segment_size 0
		.amdhsa_uses_dynamic_stack 0
		.amdhsa_enable_private_segment 0
		.amdhsa_system_sgpr_workgroup_id_x 1
		.amdhsa_system_sgpr_workgroup_id_y 0
		.amdhsa_system_sgpr_workgroup_id_z 0
		.amdhsa_system_sgpr_workgroup_info 0
		.amdhsa_system_vgpr_workitem_id 0
		.amdhsa_next_free_vgpr 10
		.amdhsa_next_free_sgpr 14
		.amdhsa_accum_offset 12
		.amdhsa_reserve_vcc 1
		.amdhsa_float_round_mode_32 0
		.amdhsa_float_round_mode_16_64 0
		.amdhsa_float_denorm_mode_32 3
		.amdhsa_float_denorm_mode_16_64 3
		.amdhsa_dx10_clamp 1
		.amdhsa_ieee_mode 1
		.amdhsa_fp16_overflow 0
		.amdhsa_tg_split 0
		.amdhsa_exception_fp_ieee_invalid_op 0
		.amdhsa_exception_fp_denorm_src 0
		.amdhsa_exception_fp_ieee_div_zero 0
		.amdhsa_exception_fp_ieee_overflow 0
		.amdhsa_exception_fp_ieee_underflow 0
		.amdhsa_exception_fp_ieee_inexact 0
		.amdhsa_exception_int_div_zero 0
	.end_amdhsa_kernel
	.section	.text._ZN7rocprim6detail31init_lookback_scan_state_kernelINS0_19lookback_scan_stateIlLb1ELb1EEEEEvT_jjPNS4_10value_typeE,"axG",@progbits,_ZN7rocprim6detail31init_lookback_scan_state_kernelINS0_19lookback_scan_stateIlLb1ELb1EEEEEvT_jjPNS4_10value_typeE,comdat
.Lfunc_end125:
	.size	_ZN7rocprim6detail31init_lookback_scan_state_kernelINS0_19lookback_scan_stateIlLb1ELb1EEEEEvT_jjPNS4_10value_typeE, .Lfunc_end125-_ZN7rocprim6detail31init_lookback_scan_state_kernelINS0_19lookback_scan_stateIlLb1ELb1EEEEEvT_jjPNS4_10value_typeE
                                        ; -- End function
	.section	.AMDGPU.csdata,"",@progbits
; Kernel info:
; codeLenInByte = 372
; NumSgprs: 20
; NumVgprs: 10
; NumAgprs: 0
; TotalNumVgprs: 10
; ScratchSize: 0
; MemoryBound: 0
; FloatMode: 240
; IeeeMode: 1
; LDSByteSize: 0 bytes/workgroup (compile time only)
; SGPRBlocks: 2
; VGPRBlocks: 1
; NumSGPRsForWavesPerEU: 20
; NumVGPRsForWavesPerEU: 10
; AccumOffset: 12
; Occupancy: 8
; WaveLimiterHint : 0
; COMPUTE_PGM_RSRC2:SCRATCH_EN: 0
; COMPUTE_PGM_RSRC2:USER_SGPR: 2
; COMPUTE_PGM_RSRC2:TRAP_HANDLER: 0
; COMPUTE_PGM_RSRC2:TGID_X_EN: 1
; COMPUTE_PGM_RSRC2:TGID_Y_EN: 0
; COMPUTE_PGM_RSRC2:TGID_Z_EN: 0
; COMPUTE_PGM_RSRC2:TIDIG_COMP_CNT: 0
; COMPUTE_PGM_RSRC3_GFX90A:ACCUM_OFFSET: 2
; COMPUTE_PGM_RSRC3_GFX90A:TG_SPLIT: 0
	.section	.text._ZN7rocprim6detail31init_lookback_scan_state_kernelINS0_19lookback_scan_stateIlLb0ELb1EEEEEvT_jjPNS4_10value_typeE,"axG",@progbits,_ZN7rocprim6detail31init_lookback_scan_state_kernelINS0_19lookback_scan_stateIlLb0ELb1EEEEEvT_jjPNS4_10value_typeE,comdat
	.protected	_ZN7rocprim6detail31init_lookback_scan_state_kernelINS0_19lookback_scan_stateIlLb0ELb1EEEEEvT_jjPNS4_10value_typeE ; -- Begin function _ZN7rocprim6detail31init_lookback_scan_state_kernelINS0_19lookback_scan_stateIlLb0ELb1EEEEEvT_jjPNS4_10value_typeE
	.globl	_ZN7rocprim6detail31init_lookback_scan_state_kernelINS0_19lookback_scan_stateIlLb0ELb1EEEEEvT_jjPNS4_10value_typeE
	.p2align	8
	.type	_ZN7rocprim6detail31init_lookback_scan_state_kernelINS0_19lookback_scan_stateIlLb0ELb1EEEEEvT_jjPNS4_10value_typeE,@function
_ZN7rocprim6detail31init_lookback_scan_state_kernelINS0_19lookback_scan_stateIlLb0ELb1EEEEEvT_jjPNS4_10value_typeE: ; @_ZN7rocprim6detail31init_lookback_scan_state_kernelINS0_19lookback_scan_stateIlLb0ELb1EEEEEvT_jjPNS4_10value_typeE
; %bb.0:
	s_load_dword s3, s[0:1], 0x24
	s_load_dwordx2 s[8:9], s[0:1], 0x10
	s_load_dwordx4 s[4:7], s[0:1], 0x0
	s_waitcnt lgkmcnt(0)
	s_and_b32 s0, s3, 0xffff
	s_mul_i32 s2, s2, s0
	s_cmp_eq_u64 s[8:9], 0
	v_add_u32_e32 v0, s2, v0
	s_cbranch_scc1 .LBB126_8
; %bb.1:
	s_cmp_lt_u32 s7, s6
	s_cselect_b32 s0, s7, 0
	s_mov_b32 s3, 0
	v_cmp_eq_u32_e32 vcc, s0, v0
	s_and_saveexec_b64 s[0:1], vcc
	s_cbranch_execz .LBB126_7
; %bb.2:
	s_add_i32 s2, s7, 64
	s_lshl_b64 s[2:3], s[2:3], 4
	s_add_u32 s12, s4, s2
	s_addc_u32 s13, s5, s3
	v_mov_b64_e32 v[2:3], s[12:13]
	;;#ASMSTART
	global_load_dwordx4 v[2:5], v[2:3] off sc1	
s_waitcnt vmcnt(0)
	;;#ASMEND
	v_mov_b32_e32 v7, 0
	v_and_b32_e32 v6, 0xff, v4
	s_mov_b64 s[10:11], 0
	v_cmp_eq_u64_e32 vcc, 0, v[6:7]
	s_and_saveexec_b64 s[2:3], vcc
	s_cbranch_execz .LBB126_6
; %bb.3:
	v_mov_b64_e32 v[8:9], s[12:13]
.LBB126_4:                              ; =>This Inner Loop Header: Depth=1
	;;#ASMSTART
	global_load_dwordx4 v[2:5], v[8:9] off sc1	
s_waitcnt vmcnt(0)
	;;#ASMEND
	s_nop 0
	v_and_b32_e32 v6, 0xff, v4
	v_cmp_ne_u64_e32 vcc, 0, v[6:7]
	s_or_b64 s[10:11], vcc, s[10:11]
	s_andn2_b64 exec, exec, s[10:11]
	s_cbranch_execnz .LBB126_4
; %bb.5:
	s_or_b64 exec, exec, s[10:11]
.LBB126_6:
	s_or_b64 exec, exec, s[2:3]
	v_mov_b32_e32 v1, 0
	global_store_dwordx2 v1, v[2:3], s[8:9]
.LBB126_7:
	s_or_b64 exec, exec, s[0:1]
.LBB126_8:
	v_cmp_gt_u32_e32 vcc, s6, v0
	s_and_saveexec_b64 s[0:1], vcc
	s_cbranch_execnz .LBB126_11
; %bb.9:
	s_or_b64 exec, exec, s[0:1]
	v_cmp_gt_u32_e32 vcc, 64, v0
	s_and_saveexec_b64 s[0:1], vcc
	s_cbranch_execnz .LBB126_12
.LBB126_10:
	s_endpgm
.LBB126_11:
	v_add_u32_e32 v2, 64, v0
	v_mov_b32_e32 v3, 0
	v_lshl_add_u64 v[6:7], v[2:3], 4, s[4:5]
	v_mov_b32_e32 v2, v3
	v_mov_b32_e32 v4, v3
	;; [unrolled: 1-line block ×3, first 2 shown]
	global_store_dwordx4 v[6:7], v[2:5], off
	s_or_b64 exec, exec, s[0:1]
	v_cmp_gt_u32_e32 vcc, 64, v0
	s_and_saveexec_b64 s[0:1], vcc
	s_cbranch_execz .LBB126_10
.LBB126_12:
	v_mov_b32_e32 v1, 0
	v_lshl_add_u64 v[4:5], v[0:1], 4, s[4:5]
	v_mov_b32_e32 v2, 0xff
	v_mov_b32_e32 v0, v1
	;; [unrolled: 1-line block ×3, first 2 shown]
	global_store_dwordx4 v[4:5], v[0:3], off
	s_endpgm
	.section	.rodata,"a",@progbits
	.p2align	6, 0x0
	.amdhsa_kernel _ZN7rocprim6detail31init_lookback_scan_state_kernelINS0_19lookback_scan_stateIlLb0ELb1EEEEEvT_jjPNS4_10value_typeE
		.amdhsa_group_segment_fixed_size 0
		.amdhsa_private_segment_fixed_size 0
		.amdhsa_kernarg_size 280
		.amdhsa_user_sgpr_count 2
		.amdhsa_user_sgpr_dispatch_ptr 0
		.amdhsa_user_sgpr_queue_ptr 0
		.amdhsa_user_sgpr_kernarg_segment_ptr 1
		.amdhsa_user_sgpr_dispatch_id 0
		.amdhsa_user_sgpr_kernarg_preload_length 0
		.amdhsa_user_sgpr_kernarg_preload_offset 0
		.amdhsa_user_sgpr_private_segment_size 0
		.amdhsa_uses_dynamic_stack 0
		.amdhsa_enable_private_segment 0
		.amdhsa_system_sgpr_workgroup_id_x 1
		.amdhsa_system_sgpr_workgroup_id_y 0
		.amdhsa_system_sgpr_workgroup_id_z 0
		.amdhsa_system_sgpr_workgroup_info 0
		.amdhsa_system_vgpr_workitem_id 0
		.amdhsa_next_free_vgpr 10
		.amdhsa_next_free_sgpr 14
		.amdhsa_accum_offset 12
		.amdhsa_reserve_vcc 1
		.amdhsa_float_round_mode_32 0
		.amdhsa_float_round_mode_16_64 0
		.amdhsa_float_denorm_mode_32 3
		.amdhsa_float_denorm_mode_16_64 3
		.amdhsa_dx10_clamp 1
		.amdhsa_ieee_mode 1
		.amdhsa_fp16_overflow 0
		.amdhsa_tg_split 0
		.amdhsa_exception_fp_ieee_invalid_op 0
		.amdhsa_exception_fp_denorm_src 0
		.amdhsa_exception_fp_ieee_div_zero 0
		.amdhsa_exception_fp_ieee_overflow 0
		.amdhsa_exception_fp_ieee_underflow 0
		.amdhsa_exception_fp_ieee_inexact 0
		.amdhsa_exception_int_div_zero 0
	.end_amdhsa_kernel
	.section	.text._ZN7rocprim6detail31init_lookback_scan_state_kernelINS0_19lookback_scan_stateIlLb0ELb1EEEEEvT_jjPNS4_10value_typeE,"axG",@progbits,_ZN7rocprim6detail31init_lookback_scan_state_kernelINS0_19lookback_scan_stateIlLb0ELb1EEEEEvT_jjPNS4_10value_typeE,comdat
.Lfunc_end126:
	.size	_ZN7rocprim6detail31init_lookback_scan_state_kernelINS0_19lookback_scan_stateIlLb0ELb1EEEEEvT_jjPNS4_10value_typeE, .Lfunc_end126-_ZN7rocprim6detail31init_lookback_scan_state_kernelINS0_19lookback_scan_stateIlLb0ELb1EEEEEvT_jjPNS4_10value_typeE
                                        ; -- End function
	.section	.AMDGPU.csdata,"",@progbits
; Kernel info:
; codeLenInByte = 336
; NumSgprs: 20
; NumVgprs: 10
; NumAgprs: 0
; TotalNumVgprs: 10
; ScratchSize: 0
; MemoryBound: 0
; FloatMode: 240
; IeeeMode: 1
; LDSByteSize: 0 bytes/workgroup (compile time only)
; SGPRBlocks: 2
; VGPRBlocks: 1
; NumSGPRsForWavesPerEU: 20
; NumVGPRsForWavesPerEU: 10
; AccumOffset: 12
; Occupancy: 8
; WaveLimiterHint : 0
; COMPUTE_PGM_RSRC2:SCRATCH_EN: 0
; COMPUTE_PGM_RSRC2:USER_SGPR: 2
; COMPUTE_PGM_RSRC2:TRAP_HANDLER: 0
; COMPUTE_PGM_RSRC2:TGID_X_EN: 1
; COMPUTE_PGM_RSRC2:TGID_Y_EN: 0
; COMPUTE_PGM_RSRC2:TGID_Z_EN: 0
; COMPUTE_PGM_RSRC2:TIDIG_COMP_CNT: 0
; COMPUTE_PGM_RSRC3_GFX90A:ACCUM_OFFSET: 2
; COMPUTE_PGM_RSRC3_GFX90A:TG_SPLIT: 0
	.section	.text._ZN7rocprim6detail20lookback_scan_kernelILNS0_25lookback_scan_determinismE0ELb1ENS0_19wrapped_scan_configINS_14default_configElEEN6hipcub22TransformInputIteratorIiNS6_6CastOpIiEEPilEEPlNS6_3SumENS_12future_valueIlSC_EElNS0_19lookback_scan_stateIlLb1ELb1EEEEEvT2_T3_mT5_T4_T7_jPT6_SO_bb,"axG",@progbits,_ZN7rocprim6detail20lookback_scan_kernelILNS0_25lookback_scan_determinismE0ELb1ENS0_19wrapped_scan_configINS_14default_configElEEN6hipcub22TransformInputIteratorIiNS6_6CastOpIiEEPilEEPlNS6_3SumENS_12future_valueIlSC_EElNS0_19lookback_scan_stateIlLb1ELb1EEEEEvT2_T3_mT5_T4_T7_jPT6_SO_bb,comdat
	.protected	_ZN7rocprim6detail20lookback_scan_kernelILNS0_25lookback_scan_determinismE0ELb1ENS0_19wrapped_scan_configINS_14default_configElEEN6hipcub22TransformInputIteratorIiNS6_6CastOpIiEEPilEEPlNS6_3SumENS_12future_valueIlSC_EElNS0_19lookback_scan_stateIlLb1ELb1EEEEEvT2_T3_mT5_T4_T7_jPT6_SO_bb ; -- Begin function _ZN7rocprim6detail20lookback_scan_kernelILNS0_25lookback_scan_determinismE0ELb1ENS0_19wrapped_scan_configINS_14default_configElEEN6hipcub22TransformInputIteratorIiNS6_6CastOpIiEEPilEEPlNS6_3SumENS_12future_valueIlSC_EElNS0_19lookback_scan_stateIlLb1ELb1EEEEEvT2_T3_mT5_T4_T7_jPT6_SO_bb
	.globl	_ZN7rocprim6detail20lookback_scan_kernelILNS0_25lookback_scan_determinismE0ELb1ENS0_19wrapped_scan_configINS_14default_configElEEN6hipcub22TransformInputIteratorIiNS6_6CastOpIiEEPilEEPlNS6_3SumENS_12future_valueIlSC_EElNS0_19lookback_scan_stateIlLb1ELb1EEEEEvT2_T3_mT5_T4_T7_jPT6_SO_bb
	.p2align	8
	.type	_ZN7rocprim6detail20lookback_scan_kernelILNS0_25lookback_scan_determinismE0ELb1ENS0_19wrapped_scan_configINS_14default_configElEEN6hipcub22TransformInputIteratorIiNS6_6CastOpIiEEPilEEPlNS6_3SumENS_12future_valueIlSC_EElNS0_19lookback_scan_stateIlLb1ELb1EEEEEvT2_T3_mT5_T4_T7_jPT6_SO_bb,@function
_ZN7rocprim6detail20lookback_scan_kernelILNS0_25lookback_scan_determinismE0ELb1ENS0_19wrapped_scan_configINS_14default_configElEEN6hipcub22TransformInputIteratorIiNS6_6CastOpIiEEPilEEPlNS6_3SumENS_12future_valueIlSC_EElNS0_19lookback_scan_stateIlLb1ELb1EEEEEvT2_T3_mT5_T4_T7_jPT6_SO_bb: ; @_ZN7rocprim6detail20lookback_scan_kernelILNS0_25lookback_scan_determinismE0ELb1ENS0_19wrapped_scan_configINS_14default_configElEEN6hipcub22TransformInputIteratorIiNS6_6CastOpIiEEPilEEPlNS6_3SumENS_12future_valueIlSC_EElNS0_19lookback_scan_stateIlLb1ELb1EEEEEvT2_T3_mT5_T4_T7_jPT6_SO_bb
; %bb.0:
	s_endpgm
	.section	.rodata,"a",@progbits
	.p2align	6, 0x0
	.amdhsa_kernel _ZN7rocprim6detail20lookback_scan_kernelILNS0_25lookback_scan_determinismE0ELb1ENS0_19wrapped_scan_configINS_14default_configElEEN6hipcub22TransformInputIteratorIiNS6_6CastOpIiEEPilEEPlNS6_3SumENS_12future_valueIlSC_EElNS0_19lookback_scan_stateIlLb1ELb1EEEEEvT2_T3_mT5_T4_T7_jPT6_SO_bb
		.amdhsa_group_segment_fixed_size 0
		.amdhsa_private_segment_fixed_size 0
		.amdhsa_kernarg_size 84
		.amdhsa_user_sgpr_count 2
		.amdhsa_user_sgpr_dispatch_ptr 0
		.amdhsa_user_sgpr_queue_ptr 0
		.amdhsa_user_sgpr_kernarg_segment_ptr 1
		.amdhsa_user_sgpr_dispatch_id 0
		.amdhsa_user_sgpr_kernarg_preload_length 0
		.amdhsa_user_sgpr_kernarg_preload_offset 0
		.amdhsa_user_sgpr_private_segment_size 0
		.amdhsa_uses_dynamic_stack 0
		.amdhsa_enable_private_segment 0
		.amdhsa_system_sgpr_workgroup_id_x 1
		.amdhsa_system_sgpr_workgroup_id_y 0
		.amdhsa_system_sgpr_workgroup_id_z 0
		.amdhsa_system_sgpr_workgroup_info 0
		.amdhsa_system_vgpr_workitem_id 0
		.amdhsa_next_free_vgpr 1
		.amdhsa_next_free_sgpr 0
		.amdhsa_accum_offset 4
		.amdhsa_reserve_vcc 0
		.amdhsa_float_round_mode_32 0
		.amdhsa_float_round_mode_16_64 0
		.amdhsa_float_denorm_mode_32 3
		.amdhsa_float_denorm_mode_16_64 3
		.amdhsa_dx10_clamp 1
		.amdhsa_ieee_mode 1
		.amdhsa_fp16_overflow 0
		.amdhsa_tg_split 0
		.amdhsa_exception_fp_ieee_invalid_op 0
		.amdhsa_exception_fp_denorm_src 0
		.amdhsa_exception_fp_ieee_div_zero 0
		.amdhsa_exception_fp_ieee_overflow 0
		.amdhsa_exception_fp_ieee_underflow 0
		.amdhsa_exception_fp_ieee_inexact 0
		.amdhsa_exception_int_div_zero 0
	.end_amdhsa_kernel
	.section	.text._ZN7rocprim6detail20lookback_scan_kernelILNS0_25lookback_scan_determinismE0ELb1ENS0_19wrapped_scan_configINS_14default_configElEEN6hipcub22TransformInputIteratorIiNS6_6CastOpIiEEPilEEPlNS6_3SumENS_12future_valueIlSC_EElNS0_19lookback_scan_stateIlLb1ELb1EEEEEvT2_T3_mT5_T4_T7_jPT6_SO_bb,"axG",@progbits,_ZN7rocprim6detail20lookback_scan_kernelILNS0_25lookback_scan_determinismE0ELb1ENS0_19wrapped_scan_configINS_14default_configElEEN6hipcub22TransformInputIteratorIiNS6_6CastOpIiEEPilEEPlNS6_3SumENS_12future_valueIlSC_EElNS0_19lookback_scan_stateIlLb1ELb1EEEEEvT2_T3_mT5_T4_T7_jPT6_SO_bb,comdat
.Lfunc_end127:
	.size	_ZN7rocprim6detail20lookback_scan_kernelILNS0_25lookback_scan_determinismE0ELb1ENS0_19wrapped_scan_configINS_14default_configElEEN6hipcub22TransformInputIteratorIiNS6_6CastOpIiEEPilEEPlNS6_3SumENS_12future_valueIlSC_EElNS0_19lookback_scan_stateIlLb1ELb1EEEEEvT2_T3_mT5_T4_T7_jPT6_SO_bb, .Lfunc_end127-_ZN7rocprim6detail20lookback_scan_kernelILNS0_25lookback_scan_determinismE0ELb1ENS0_19wrapped_scan_configINS_14default_configElEEN6hipcub22TransformInputIteratorIiNS6_6CastOpIiEEPilEEPlNS6_3SumENS_12future_valueIlSC_EElNS0_19lookback_scan_stateIlLb1ELb1EEEEEvT2_T3_mT5_T4_T7_jPT6_SO_bb
                                        ; -- End function
	.section	.AMDGPU.csdata,"",@progbits
; Kernel info:
; codeLenInByte = 4
; NumSgprs: 6
; NumVgprs: 0
; NumAgprs: 0
; TotalNumVgprs: 0
; ScratchSize: 0
; MemoryBound: 0
; FloatMode: 240
; IeeeMode: 1
; LDSByteSize: 0 bytes/workgroup (compile time only)
; SGPRBlocks: 0
; VGPRBlocks: 0
; NumSGPRsForWavesPerEU: 6
; NumVGPRsForWavesPerEU: 1
; AccumOffset: 4
; Occupancy: 8
; WaveLimiterHint : 0
; COMPUTE_PGM_RSRC2:SCRATCH_EN: 0
; COMPUTE_PGM_RSRC2:USER_SGPR: 2
; COMPUTE_PGM_RSRC2:TRAP_HANDLER: 0
; COMPUTE_PGM_RSRC2:TGID_X_EN: 1
; COMPUTE_PGM_RSRC2:TGID_Y_EN: 0
; COMPUTE_PGM_RSRC2:TGID_Z_EN: 0
; COMPUTE_PGM_RSRC2:TIDIG_COMP_CNT: 0
; COMPUTE_PGM_RSRC3_GFX90A:ACCUM_OFFSET: 0
; COMPUTE_PGM_RSRC3_GFX90A:TG_SPLIT: 0
	.section	.text._ZN7rocprim6detail20lookback_scan_kernelILNS0_25lookback_scan_determinismE0ELb1ENS0_19wrapped_scan_configINS_14default_configElEEN6hipcub22TransformInputIteratorIiNS6_6CastOpIiEEPilEEPlNS6_3SumENS_12future_valueIlSC_EElNS0_19lookback_scan_stateIlLb0ELb1EEEEEvT2_T3_mT5_T4_T7_jPT6_SO_bb,"axG",@progbits,_ZN7rocprim6detail20lookback_scan_kernelILNS0_25lookback_scan_determinismE0ELb1ENS0_19wrapped_scan_configINS_14default_configElEEN6hipcub22TransformInputIteratorIiNS6_6CastOpIiEEPilEEPlNS6_3SumENS_12future_valueIlSC_EElNS0_19lookback_scan_stateIlLb0ELb1EEEEEvT2_T3_mT5_T4_T7_jPT6_SO_bb,comdat
	.protected	_ZN7rocprim6detail20lookback_scan_kernelILNS0_25lookback_scan_determinismE0ELb1ENS0_19wrapped_scan_configINS_14default_configElEEN6hipcub22TransformInputIteratorIiNS6_6CastOpIiEEPilEEPlNS6_3SumENS_12future_valueIlSC_EElNS0_19lookback_scan_stateIlLb0ELb1EEEEEvT2_T3_mT5_T4_T7_jPT6_SO_bb ; -- Begin function _ZN7rocprim6detail20lookback_scan_kernelILNS0_25lookback_scan_determinismE0ELb1ENS0_19wrapped_scan_configINS_14default_configElEEN6hipcub22TransformInputIteratorIiNS6_6CastOpIiEEPilEEPlNS6_3SumENS_12future_valueIlSC_EElNS0_19lookback_scan_stateIlLb0ELb1EEEEEvT2_T3_mT5_T4_T7_jPT6_SO_bb
	.globl	_ZN7rocprim6detail20lookback_scan_kernelILNS0_25lookback_scan_determinismE0ELb1ENS0_19wrapped_scan_configINS_14default_configElEEN6hipcub22TransformInputIteratorIiNS6_6CastOpIiEEPilEEPlNS6_3SumENS_12future_valueIlSC_EElNS0_19lookback_scan_stateIlLb0ELb1EEEEEvT2_T3_mT5_T4_T7_jPT6_SO_bb
	.p2align	8
	.type	_ZN7rocprim6detail20lookback_scan_kernelILNS0_25lookback_scan_determinismE0ELb1ENS0_19wrapped_scan_configINS_14default_configElEEN6hipcub22TransformInputIteratorIiNS6_6CastOpIiEEPilEEPlNS6_3SumENS_12future_valueIlSC_EElNS0_19lookback_scan_stateIlLb0ELb1EEEEEvT2_T3_mT5_T4_T7_jPT6_SO_bb,@function
_ZN7rocprim6detail20lookback_scan_kernelILNS0_25lookback_scan_determinismE0ELb1ENS0_19wrapped_scan_configINS_14default_configElEEN6hipcub22TransformInputIteratorIiNS6_6CastOpIiEEPilEEPlNS6_3SumENS_12future_valueIlSC_EElNS0_19lookback_scan_stateIlLb0ELb1EEEEEvT2_T3_mT5_T4_T7_jPT6_SO_bb: ; @_ZN7rocprim6detail20lookback_scan_kernelILNS0_25lookback_scan_determinismE0ELb1ENS0_19wrapped_scan_configINS_14default_configElEEN6hipcub22TransformInputIteratorIiNS6_6CastOpIiEEPilEEPlNS6_3SumENS_12future_valueIlSC_EElNS0_19lookback_scan_stateIlLb0ELb1EEEEEvT2_T3_mT5_T4_T7_jPT6_SO_bb
; %bb.0:
	s_load_dwordx2 s[4:5], s[0:1], 0x20
	s_load_dword s3, s[0:1], 0x38
	s_load_dwordx2 s[20:21], s[0:1], 0x0
	s_load_dwordx4 s[16:19], s[0:1], 0x10
	s_mul_i32 s14, s2, 0xf00
	s_waitcnt lgkmcnt(0)
	s_load_dwordx2 s[22:23], s[4:5], 0x0
	s_add_i32 s3, s3, -1
	s_mul_i32 s4, s3, 0xf00
	s_sub_u32 s28, s18, s4
	s_subb_u32 s29, s19, 0
	s_mov_b32 s15, 0
	s_cmp_lg_u32 s2, s3
	s_cselect_b64 s[18:19], -1, 0
	s_lshl_b64 s[4:5], s[14:15], 2
	s_add_u32 s6, s20, s4
	s_addc_u32 s7, s21, s5
	s_mov_b64 s[4:5], -1
	s_and_b64 vcc, exec, s[18:19]
	v_lshlrev_b32_e32 v62, 3, v0
	s_cbranch_vccz .LBB128_2
; %bb.1:
	v_lshlrev_b32_e32 v2, 2, v0
	v_mov_b32_e32 v3, 0
	v_lshl_add_u64 v[4:5], s[6:7], 0, v[2:3]
	s_movk_i32 s3, 0x1000
	v_add_co_u32_e32 v10, vcc, s3, v4
	s_movk_i32 s3, 0x2000
	s_nop 0
	v_addc_co_u32_e32 v11, vcc, 0, v5, vcc
	v_add_co_u32_e32 v12, vcc, s3, v4
	s_movk_i32 s3, 0x3000
	s_nop 0
	v_addc_co_u32_e32 v13, vcc, 0, v5, vcc
	global_load_dword v6, v2, s[6:7]
	global_load_dword v8, v2, s[6:7] offset:1024
	global_load_dword v14, v[10:11], off offset:1024
	global_load_dword v16, v[10:11], off offset:2048
	;; [unrolled: 1-line block ×3, first 2 shown]
	global_load_dword v20, v2, s[6:7] offset:2048
	global_load_dword v22, v2, s[6:7] offset:3072
	global_load_dword v24, v[12:13], off offset:-4096
	global_load_dword v26, v[12:13], off
	global_load_dword v28, v[12:13], off offset:1024
	global_load_dword v30, v[12:13], off offset:2048
	;; [unrolled: 1-line block ×3, first 2 shown]
	v_add_co_u32_e32 v2, vcc, s3, v4
	s_mov_b64 s[4:5], 0
	s_nop 0
	v_addc_co_u32_e32 v3, vcc, 0, v5, vcc
	global_load_dword v4, v[2:3], off
	global_load_dword v10, v[2:3], off offset:1024
	global_load_dword v12, v[2:3], off offset:2048
	s_waitcnt vmcnt(12)
	v_ashrrev_i32_e32 v15, 31, v14
	s_waitcnt vmcnt(11)
	v_ashrrev_i32_e32 v17, 31, v16
	;; [unrolled: 2-line block ×7, first 2 shown]
	v_ashrrev_i32_e32 v7, 31, v6
	v_ashrrev_i32_e32 v9, 31, v8
	ds_write2st64_b64 v62, v[6:7], v[8:9] offset1:4
	ds_write2st64_b64 v62, v[20:21], v[22:23] offset0:8 offset1:12
	s_waitcnt vmcnt(5)
	v_ashrrev_i32_e32 v29, 31, v28
	s_waitcnt vmcnt(4)
	v_ashrrev_i32_e32 v31, 31, v30
	s_waitcnt vmcnt(3)
	v_ashrrev_i32_e32 v33, 31, v32
	s_waitcnt vmcnt(2)
	v_ashrrev_i32_e32 v5, 31, v4
	s_waitcnt vmcnt(1)
	v_ashrrev_i32_e32 v11, 31, v10
	s_waitcnt vmcnt(0)
	v_ashrrev_i32_e32 v13, 31, v12
	ds_write2st64_b64 v62, v[24:25], v[14:15] offset0:16 offset1:20
	ds_write2st64_b64 v62, v[16:17], v[18:19] offset0:24 offset1:28
	ds_write2st64_b64 v62, v[26:27], v[28:29] offset0:32 offset1:36
	ds_write2st64_b64 v62, v[30:31], v[32:33] offset0:40 offset1:44
	ds_write2st64_b64 v62, v[4:5], v[10:11] offset0:48 offset1:52
	ds_write_b64 v62, v[12:13] offset:28672
	s_waitcnt lgkmcnt(0)
	s_barrier
.LBB128_2:
	s_andn2_b64 vcc, exec, s[4:5]
	v_cmp_gt_u32_e64 s[4:5], s28, v0
	s_cbranch_vccnz .LBB128_34
; %bb.3:
	s_load_dword s36, s[6:7], 0x0
	v_lshlrev_b32_e32 v2, 2, v0
	v_mov_b32_e32 v3, 0
	v_lshl_add_u64 v[34:35], s[6:7], 0, v[2:3]
	s_waitcnt lgkmcnt(0)
	s_ashr_i32 s37, s36, 31
	s_mov_b32 s38, s36
	s_mov_b32 s40, s36
	;; [unrolled: 1-line block ×28, first 2 shown]
	v_mov_b64_e32 v[2:3], s[36:37]
	v_mov_b64_e32 v[4:5], s[38:39]
	v_mov_b64_e32 v[6:7], s[40:41]
	v_mov_b64_e32 v[8:9], s[42:43]
	v_mov_b64_e32 v[10:11], s[44:45]
	v_mov_b64_e32 v[12:13], s[46:47]
	v_mov_b64_e32 v[14:15], s[48:49]
	v_mov_b64_e32 v[16:17], s[50:51]
	v_mov_b64_e32 v[18:19], s[52:53]
	v_mov_b64_e32 v[20:21], s[54:55]
	v_mov_b64_e32 v[22:23], s[56:57]
	v_mov_b64_e32 v[24:25], s[58:59]
	v_mov_b64_e32 v[26:27], s[60:61]
	v_mov_b64_e32 v[28:29], s[62:63]
	v_mov_b64_e32 v[30:31], s[64:65]
	v_mov_b64_e32 v[32:33], s[66:67]
	s_and_saveexec_b64 s[6:7], s[4:5]
	s_cbranch_execz .LBB128_5
; %bb.4:
	global_load_dword v2, v[34:35], off
	v_mov_b32_e32 v4, s36
	v_mov_b32_e32 v5, s37
	;; [unrolled: 1-line block ×28, first 2 shown]
	s_waitcnt vmcnt(0)
	v_ashrrev_i32_e32 v3, 31, v2
.LBB128_5:
	s_or_b64 exec, exec, s[6:7]
	v_or_b32_e32 v1, 0x100, v0
	v_cmp_gt_u32_e32 vcc, s28, v1
	s_and_saveexec_b64 s[4:5], vcc
	s_cbranch_execz .LBB128_7
; %bb.6:
	global_load_dword v4, v[34:35], off offset:1024
	s_waitcnt vmcnt(0)
	v_ashrrev_i32_e32 v5, 31, v4
.LBB128_7:
	s_or_b64 exec, exec, s[4:5]
	v_or_b32_e32 v1, 0x200, v0
	v_cmp_gt_u32_e32 vcc, s28, v1
	s_and_saveexec_b64 s[4:5], vcc
	s_cbranch_execz .LBB128_9
; %bb.8:
	global_load_dword v6, v[34:35], off offset:2048
	s_waitcnt vmcnt(0)
	v_ashrrev_i32_e32 v7, 31, v6
.LBB128_9:
	;; [unrolled: 10-line block ×3, first 2 shown]
	s_or_b64 exec, exec, s[4:5]
	v_or_b32_e32 v1, 0x400, v0
	v_cmp_gt_u32_e32 vcc, s28, v1
	s_and_saveexec_b64 s[4:5], vcc
	s_cbranch_execz .LBB128_13
; %bb.12:
	v_add_co_u32_e32 v10, vcc, 0x1000, v34
	s_nop 1
	v_addc_co_u32_e32 v11, vcc, 0, v35, vcc
	global_load_dword v10, v[10:11], off
	s_waitcnt vmcnt(0)
	v_ashrrev_i32_e32 v11, 31, v10
.LBB128_13:
	s_or_b64 exec, exec, s[4:5]
	v_or_b32_e32 v1, 0x500, v0
	v_cmp_gt_u32_e32 vcc, s28, v1
	s_and_saveexec_b64 s[4:5], vcc
	s_cbranch_execz .LBB128_15
; %bb.14:
	v_add_co_u32_e32 v12, vcc, 0x1000, v34
	s_nop 1
	v_addc_co_u32_e32 v13, vcc, 0, v35, vcc
	global_load_dword v12, v[12:13], off offset:1024
	s_waitcnt vmcnt(0)
	v_ashrrev_i32_e32 v13, 31, v12
.LBB128_15:
	s_or_b64 exec, exec, s[4:5]
	v_or_b32_e32 v1, 0x600, v0
	v_cmp_gt_u32_e32 vcc, s28, v1
	s_and_saveexec_b64 s[4:5], vcc
	s_cbranch_execz .LBB128_17
; %bb.16:
	v_add_co_u32_e32 v14, vcc, 0x1000, v34
	s_nop 1
	v_addc_co_u32_e32 v15, vcc, 0, v35, vcc
	global_load_dword v14, v[14:15], off offset:2048
	s_waitcnt vmcnt(0)
	v_ashrrev_i32_e32 v15, 31, v14
.LBB128_17:
	;; [unrolled: 13-line block ×3, first 2 shown]
	s_or_b64 exec, exec, s[4:5]
	v_or_b32_e32 v1, 0x800, v0
	v_cmp_gt_u32_e32 vcc, s28, v1
	s_and_saveexec_b64 s[4:5], vcc
	s_cbranch_execz .LBB128_21
; %bb.20:
	v_add_co_u32_e32 v18, vcc, 0x2000, v34
	s_nop 1
	v_addc_co_u32_e32 v19, vcc, 0, v35, vcc
	global_load_dword v18, v[18:19], off
	s_waitcnt vmcnt(0)
	v_ashrrev_i32_e32 v19, 31, v18
.LBB128_21:
	s_or_b64 exec, exec, s[4:5]
	v_or_b32_e32 v1, 0x900, v0
	v_cmp_gt_u32_e32 vcc, s28, v1
	s_and_saveexec_b64 s[4:5], vcc
	s_cbranch_execz .LBB128_23
; %bb.22:
	v_add_co_u32_e32 v20, vcc, 0x2000, v34
	s_nop 1
	v_addc_co_u32_e32 v21, vcc, 0, v35, vcc
	global_load_dword v20, v[20:21], off offset:1024
	s_waitcnt vmcnt(0)
	v_ashrrev_i32_e32 v21, 31, v20
.LBB128_23:
	s_or_b64 exec, exec, s[4:5]
	v_or_b32_e32 v1, 0xa00, v0
	v_cmp_gt_u32_e32 vcc, s28, v1
	s_and_saveexec_b64 s[4:5], vcc
	s_cbranch_execz .LBB128_25
; %bb.24:
	v_add_co_u32_e32 v22, vcc, 0x2000, v34
	s_nop 1
	v_addc_co_u32_e32 v23, vcc, 0, v35, vcc
	global_load_dword v22, v[22:23], off offset:2048
	s_waitcnt vmcnt(0)
	v_ashrrev_i32_e32 v23, 31, v22
.LBB128_25:
	;; [unrolled: 13-line block ×3, first 2 shown]
	s_or_b64 exec, exec, s[4:5]
	v_or_b32_e32 v1, 0xc00, v0
	v_cmp_gt_u32_e32 vcc, s28, v1
	s_and_saveexec_b64 s[4:5], vcc
	s_cbranch_execz .LBB128_29
; %bb.28:
	v_add_co_u32_e32 v26, vcc, 0x3000, v34
	s_nop 1
	v_addc_co_u32_e32 v27, vcc, 0, v35, vcc
	global_load_dword v26, v[26:27], off
	s_waitcnt vmcnt(0)
	v_ashrrev_i32_e32 v27, 31, v26
.LBB128_29:
	s_or_b64 exec, exec, s[4:5]
	v_or_b32_e32 v1, 0xd00, v0
	v_cmp_gt_u32_e32 vcc, s28, v1
	s_and_saveexec_b64 s[4:5], vcc
	s_cbranch_execz .LBB128_31
; %bb.30:
	v_add_co_u32_e32 v28, vcc, 0x3000, v34
	s_nop 1
	v_addc_co_u32_e32 v29, vcc, 0, v35, vcc
	global_load_dword v28, v[28:29], off offset:1024
	s_waitcnt vmcnt(0)
	v_ashrrev_i32_e32 v29, 31, v28
.LBB128_31:
	s_or_b64 exec, exec, s[4:5]
	v_or_b32_e32 v1, 0xe00, v0
	v_cmp_gt_u32_e32 vcc, s28, v1
	s_and_saveexec_b64 s[4:5], vcc
	s_cbranch_execz .LBB128_33
; %bb.32:
	v_add_co_u32_e32 v30, vcc, 0x3000, v34
	s_nop 1
	v_addc_co_u32_e32 v31, vcc, 0, v35, vcc
	global_load_dword v30, v[30:31], off offset:2048
	s_waitcnt vmcnt(0)
	v_ashrrev_i32_e32 v31, 31, v30
.LBB128_33:
	s_or_b64 exec, exec, s[4:5]
	ds_write2st64_b64 v62, v[2:3], v[4:5] offset1:4
	ds_write2st64_b64 v62, v[6:7], v[8:9] offset0:8 offset1:12
	ds_write2st64_b64 v62, v[10:11], v[12:13] offset0:16 offset1:20
	;; [unrolled: 1-line block ×6, first 2 shown]
	ds_write_b64 v62, v[30:31] offset:28672
	s_waitcnt lgkmcnt(0)
	s_barrier
.LBB128_34:
	s_load_dwordx2 s[24:25], s[0:1], 0x30
	v_mul_u32_u24_e32 v68, 15, v0
	v_lshlrev_b32_e32 v1, 3, v68
	s_waitcnt lgkmcnt(0)
	ds_read2_b64 v[34:37], v1 offset1:1
	ds_read2_b64 v[38:41], v1 offset0:2 offset1:3
	ds_read2_b64 v[42:45], v1 offset0:4 offset1:5
	;; [unrolled: 1-line block ×6, first 2 shown]
	ds_read_b64 v[64:65], v1 offset:112
	s_waitcnt lgkmcnt(7)
	v_lshl_add_u64 v[2:3], v[36:37], 0, v[34:35]
	s_cmp_lg_u32 s2, 0
	s_waitcnt lgkmcnt(6)
	v_lshl_add_u64 v[66:67], v[2:3], 0, v[38:39]
	v_lshrrev_b32_e32 v1, 5, v0
	v_cmp_gt_u32_e32 vcc, 64, v0
	s_waitcnt lgkmcnt(0)
	s_barrier
	s_cbranch_scc0 .LBB128_59
; %bb.35:
	v_lshl_add_u64 v[2:3], v[66:67], 0, v[40:41]
	v_lshl_add_u64 v[2:3], v[2:3], 0, v[42:43]
	v_lshl_add_u64 v[2:3], v[2:3], 0, v[44:45]
	v_lshl_add_u64 v[2:3], v[2:3], 0, v[46:47]
	v_lshl_add_u64 v[2:3], v[2:3], 0, v[48:49]
	v_lshl_add_u64 v[2:3], v[2:3], 0, v[50:51]
	v_lshl_add_u64 v[2:3], v[2:3], 0, v[52:53]
	v_lshl_add_u64 v[2:3], v[2:3], 0, v[54:55]
	v_lshl_add_u64 v[2:3], v[2:3], 0, v[56:57]
	v_lshl_add_u64 v[2:3], v[2:3], 0, v[58:59]
	v_lshl_add_u64 v[2:3], v[2:3], 0, v[60:61]
	v_lshl_add_u64 v[2:3], v[2:3], 0, v[64:65]
	v_add_lshl_u32 v4, v1, v0, 3
	ds_write_b64 v4, v[2:3]
	s_waitcnt lgkmcnt(0)
	s_barrier
	s_and_saveexec_b64 s[6:7], vcc
	s_cbranch_execz .LBB128_37
; %bb.36:
	v_lshlrev_b32_e32 v4, 2, v0
	v_lshrrev_b32_e32 v5, 3, v0
	v_add_lshl_u32 v20, v5, v4, 3
	ds_read2_b64 v[4:7], v20 offset1:1
	ds_read2_b64 v[8:11], v20 offset0:2 offset1:3
	v_mbcnt_lo_u32_b32 v13, -1, 0
	v_mov_b32_e32 v12, 0
	v_mbcnt_hi_u32_b32 v21, -1, v13
	s_waitcnt lgkmcnt(1)
	v_lshl_add_u64 v[14:15], v[6:7], 0, v[4:5]
	s_waitcnt lgkmcnt(0)
	v_lshl_add_u64 v[14:15], v[14:15], 0, v[8:9]
	v_lshl_add_u64 v[14:15], v[14:15], 0, v[10:11]
	v_and_b32_e32 v22, 15, v21
	v_mov_b32_e32 v17, v12
	v_mov_b32_dpp v16, v14 row_shr:1 row_mask:0xf bank_mask:0xf
	v_mov_b32_dpp v13, v15 row_shr:1 row_mask:0xf bank_mask:0xf
	v_lshl_add_u64 v[16:17], v[14:15], 0, v[16:17]
	v_cmp_eq_u32_e64 s[4:5], 0, v22
	v_lshl_add_u64 v[18:19], v[12:13], 0, v[16:17]
	v_mov_b32_e32 v17, v12
	v_cndmask_b32_e64 v23, v16, v14, s[4:5]
	v_cndmask_b32_e64 v15, v19, v15, s[4:5]
	v_cndmask_b32_e64 v14, v18, v14, s[4:5]
	v_mov_b32_dpp v16, v23 row_shr:2 row_mask:0xf bank_mask:0xf
	v_mov_b32_dpp v13, v15 row_shr:2 row_mask:0xf bank_mask:0xf
	v_lshl_add_u64 v[16:17], v[14:15], 0, v[16:17]
	v_cmp_lt_u32_e64 s[4:5], 1, v22
	v_lshl_add_u64 v[18:19], v[16:17], 0, v[12:13]
	v_mov_b32_e32 v17, v12
	v_cndmask_b32_e64 v23, v23, v16, s[4:5]
	v_cndmask_b32_e64 v15, v15, v19, s[4:5]
	v_cndmask_b32_e64 v14, v14, v18, s[4:5]
	v_mov_b32_dpp v16, v23 row_shr:4 row_mask:0xf bank_mask:0xf
	v_mov_b32_dpp v13, v15 row_shr:4 row_mask:0xf bank_mask:0xf
	v_lshl_add_u64 v[16:17], v[14:15], 0, v[16:17]
	v_cmp_lt_u32_e64 s[4:5], 3, v22
	;; [unrolled: 9-line block ×3, first 2 shown]
	v_lshl_add_u64 v[18:19], v[16:17], 0, v[12:13]
	v_mov_b32_e32 v17, v12
	v_cndmask_b32_e64 v22, v23, v16, s[4:5]
	v_cndmask_b32_e64 v15, v15, v19, s[4:5]
	;; [unrolled: 1-line block ×3, first 2 shown]
	v_mov_b32_dpp v16, v22 row_bcast:15 row_mask:0xf bank_mask:0xf
	v_and_b32_e32 v23, 16, v21
	v_mov_b32_dpp v13, v15 row_bcast:15 row_mask:0xf bank_mask:0xf
	v_lshl_add_u64 v[16:17], v[14:15], 0, v[16:17]
	v_cmp_eq_u32_e64 s[4:5], 0, v23
	v_lshl_add_u64 v[18:19], v[16:17], 0, v[12:13]
	v_mov_b32_e32 v17, v12
	v_cndmask_b32_e64 v13, v16, v22, s[4:5]
	v_cndmask_b32_e64 v15, v19, v15, s[4:5]
	;; [unrolled: 1-line block ×3, first 2 shown]
	v_mov_b32_dpp v16, v13 row_bcast:31 row_mask:0xf bank_mask:0xf
	v_mov_b32_dpp v18, v15 row_bcast:31 row_mask:0xf bank_mask:0xf
	v_lshl_add_u64 v[16:17], v[14:15], 0, v[16:17]
	v_add_u32_e32 v14, v18, v17
	v_cmp_lt_u32_e64 s[4:5], 31, v21
	s_nop 1
	v_cndmask_b32_e64 v13, v13, v16, s[4:5]
	v_cndmask_b32_e64 v15, v15, v14, s[4:5]
	v_add_u32_e32 v14, -1, v21
	v_and_b32_e32 v16, 64, v21
	v_cmp_lt_i32_e64 s[4:5], v14, v16
	s_nop 1
	v_cndmask_b32_e64 v14, v14, v21, s[4:5]
	v_lshlrev_b32_e32 v16, 2, v14
	ds_bpermute_b32 v14, v16, v13
	ds_bpermute_b32 v13, v16, v15
	v_mov_b32_e32 v15, v12
	v_cmp_eq_u32_e64 s[4:5], 0, v0
	s_waitcnt lgkmcnt(1)
	v_lshl_add_u64 v[4:5], v[4:5], 0, v[14:15]
	s_waitcnt lgkmcnt(0)
	v_lshl_add_u64 v[4:5], v[4:5], 0, v[12:13]
	v_cndmask_b32_e64 v3, v5, v3, s[4:5]
	v_cndmask_b32_e64 v2, v4, v2, s[4:5]
	v_lshl_add_u64 v[4:5], v[2:3], 0, v[6:7]
	ds_write2_b64 v20, v[2:3], v[4:5] offset1:1
	v_lshl_add_u64 v[2:3], v[4:5], 0, v[8:9]
	v_lshl_add_u64 v[4:5], v[2:3], 0, v[10:11]
	ds_write2_b64 v20, v[2:3], v[4:5] offset0:2 offset1:3
.LBB128_37:
	s_or_b64 exec, exec, s[6:7]
	v_cmp_eq_u32_e64 s[6:7], 0, v0
	v_cmp_ne_u32_e64 s[4:5], 0, v0
	v_mov_b64_e32 v[10:11], 0
	s_waitcnt lgkmcnt(0)
	s_barrier
	s_and_saveexec_b64 s[8:9], s[4:5]
	s_cbranch_execz .LBB128_39
; %bb.38:
	v_add_u32_e32 v2, -1, v0
	v_lshrrev_b32_e32 v3, 5, v2
	v_add_lshl_u32 v2, v3, v2, 3
	ds_read_b64 v[10:11], v2
.LBB128_39:
	s_or_b64 exec, exec, s[8:9]
	s_and_saveexec_b64 s[26:27], vcc
	s_cbranch_execz .LBB128_58
; %bb.40:
	v_mov_b32_e32 v5, 0
	ds_read_b64 v[2:3], v5 offset:2096
	v_mbcnt_lo_u32_b32 v4, -1, 0
	v_mbcnt_hi_u32_b32 v16, -1, v4
	s_mov_b32 s11, 0
	v_cmp_eq_u32_e64 s[4:5], 0, v16
	s_and_saveexec_b64 s[8:9], s[4:5]
	s_cbranch_execz .LBB128_42
; %bb.41:
	s_add_i32 s10, s2, 64
	s_lshl_b64 s[10:11], s[10:11], 4
	s_add_u32 s10, s24, s10
	s_addc_u32 s11, s25, s11
	v_mov_b32_e32 v4, 1
	v_mov_b64_e32 v[6:7], s[10:11]
	s_waitcnt lgkmcnt(0)
	;;#ASMSTART
	global_store_dwordx4 v[6:7], v[2:5] off sc1	
s_waitcnt vmcnt(0)
	;;#ASMEND
.LBB128_42:
	s_or_b64 exec, exec, s[8:9]
	v_xad_u32 v12, v16, -1, s2
	v_add_u32_e32 v4, 64, v12
	v_lshl_add_u64 v[14:15], v[4:5], 4, s[24:25]
	;;#ASMSTART
	global_load_dwordx4 v[6:9], v[14:15] off sc1	
s_waitcnt vmcnt(0)
	;;#ASMEND
	s_nop 0
	v_cmp_eq_u16_sdwa s[10:11], v8, v5 src0_sel:BYTE_0 src1_sel:DWORD
	s_and_saveexec_b64 s[8:9], s[10:11]
	s_cbranch_execz .LBB128_46
; %bb.43:
	s_mov_b64 s[10:11], 0
	v_mov_b32_e32 v4, 0
.LBB128_44:                             ; =>This Inner Loop Header: Depth=1
	;;#ASMSTART
	global_load_dwordx4 v[6:9], v[14:15] off sc1	
s_waitcnt vmcnt(0)
	;;#ASMEND
	s_nop 0
	v_cmp_ne_u16_sdwa s[12:13], v8, v4 src0_sel:BYTE_0 src1_sel:DWORD
	s_or_b64 s[10:11], s[12:13], s[10:11]
	s_andn2_b64 exec, exec, s[10:11]
	s_cbranch_execnz .LBB128_44
; %bb.45:
	s_or_b64 exec, exec, s[10:11]
.LBB128_46:
	s_or_b64 exec, exec, s[8:9]
	v_and_b32_e32 v17, 63, v16
	v_mov_b32_e32 v18, 2
	v_cmp_ne_u32_e32 vcc, 63, v17
	v_cmp_eq_u16_sdwa s[8:9], v8, v18 src0_sel:BYTE_0 src1_sel:DWORD
	v_lshlrev_b64 v[4:5], v16, -1
	v_addc_co_u32_e32 v14, vcc, 0, v16, vcc
	v_and_b32_e32 v9, s9, v5
	v_lshlrev_b32_e32 v19, 2, v14
	v_or_b32_e32 v9, 0x80000000, v9
	ds_bpermute_b32 v14, v19, v6
	v_and_b32_e32 v13, s8, v4
	v_ffbl_b32_e32 v9, v9
	ds_bpermute_b32 v23, v19, v7
	v_add_u32_e32 v9, 32, v9
	v_ffbl_b32_e32 v13, v13
	v_min_u32_e32 v9, v13, v9
	v_mov_b32_e32 v13, 0
	v_add_u32_e32 v20, 1, v16
	v_mov_b32_e32 v15, v13
	v_mov_b32_e32 v22, v13
	s_waitcnt lgkmcnt(1)
	v_lshl_add_u64 v[14:15], v[6:7], 0, v[14:15]
	v_cmp_le_u32_e32 vcc, v20, v9
	v_cmp_gt_u32_e64 s[8:9], 62, v17
	s_waitcnt lgkmcnt(0)
	v_lshl_add_u64 v[22:23], v[22:23], 0, v[14:15]
	v_cndmask_b32_e32 v26, v6, v14, vcc
	v_cndmask_b32_e64 v14, 0, 1, s[8:9]
	v_lshlrev_b32_e32 v14, 1, v14
	v_cndmask_b32_e32 v15, v7, v23, vcc
	v_add_lshl_u32 v21, v14, v16, 2
	ds_bpermute_b32 v24, v21, v26
	ds_bpermute_b32 v25, v21, v15
	v_cmp_gt_u32_e64 s[10:11], 60, v17
	v_cndmask_b32_e32 v14, v6, v22, vcc
	v_add_u32_e32 v22, 2, v16
	v_cndmask_b32_e64 v23, 0, 1, s[10:11]
	s_waitcnt lgkmcnt(0)
	v_lshl_add_u64 v[24:25], v[24:25], 0, v[14:15]
	v_cmp_le_u32_e64 s[8:9], v22, v9
	v_lshlrev_b32_e32 v23, 2, v23
	v_add_lshl_u32 v23, v23, v16, 2
	v_cndmask_b32_e64 v28, v26, v24, s[8:9]
	v_cndmask_b32_e64 v15, v15, v25, s[8:9]
	ds_bpermute_b32 v26, v23, v28
	ds_bpermute_b32 v27, v23, v15
	v_cmp_gt_u32_e64 s[12:13], 56, v17
	v_cndmask_b32_e64 v14, v14, v24, s[8:9]
	v_add_u32_e32 v24, 4, v16
	v_cndmask_b32_e64 v25, 0, 1, s[12:13]
	s_waitcnt lgkmcnt(0)
	v_lshl_add_u64 v[26:27], v[26:27], 0, v[14:15]
	v_cmp_le_u32_e64 s[10:11], v24, v9
	v_lshlrev_b32_e32 v25, 3, v25
	v_add_lshl_u32 v25, v25, v16, 2
	v_cndmask_b32_e64 v30, v28, v26, s[10:11]
	v_cndmask_b32_e64 v15, v15, v27, s[10:11]
	ds_bpermute_b32 v28, v25, v30
	ds_bpermute_b32 v29, v25, v15
	s_or_b64 s[12:13], vcc, s[8:9]
	v_cmp_gt_u32_e64 s[8:9], 48, v17
	v_cndmask_b32_e64 v14, v14, v26, s[10:11]
	v_add_u32_e32 v26, 8, v16
	v_cndmask_b32_e64 v27, 0, 1, s[8:9]
	s_waitcnt lgkmcnt(0)
	v_lshl_add_u64 v[28:29], v[28:29], 0, v[14:15]
	v_cmp_le_u32_e32 vcc, v26, v9
	v_lshlrev_b32_e32 v27, 4, v27
	v_add_lshl_u32 v27, v27, v16, 2
	v_cndmask_b32_e32 v63, v30, v28, vcc
	v_cndmask_b32_e32 v15, v15, v29, vcc
	ds_bpermute_b32 v30, v27, v63
	ds_bpermute_b32 v31, v27, v15
	s_or_b64 s[8:9], s[10:11], s[12:13]
	v_cndmask_b32_e32 v14, v14, v28, vcc
	v_add_u32_e32 v28, 16, v16
	s_or_b64 s[8:9], vcc, s[8:9]
	v_cmp_le_u32_e32 vcc, v28, v9
	s_or_b64 s[10:11], vcc, s[8:9]
	v_cmp_gt_u32_e64 s[8:9], 32, v17
	s_waitcnt lgkmcnt(0)
	v_lshl_add_u64 v[32:33], v[30:31], 0, v[14:15]
	v_cndmask_b32_e32 v30, v63, v32, vcc
	v_cndmask_b32_e64 v17, 0, 1, s[8:9]
	v_lshlrev_b32_e32 v17, 5, v17
	v_add_lshl_u32 v29, v17, v16, 2
	v_cndmask_b32_e32 v15, v15, v33, vcc
	ds_bpermute_b32 v17, v29, v15
	ds_bpermute_b32 v31, v29, v30
	v_add_u32_e32 v30, 32, v16
	v_cndmask_b32_e32 v14, v14, v32, vcc
	v_cmp_le_u32_e32 vcc, v30, v9
	s_waitcnt lgkmcnt(1)
	s_nop 0
	v_cndmask_b32_e32 v17, 0, v17, vcc
	s_waitcnt lgkmcnt(0)
	v_cndmask_b32_e32 v16, 0, v31, vcc
	v_lshl_add_u64 v[14:15], v[16:17], 0, v[14:15]
	s_or_b64 vcc, vcc, s[10:11]
	v_cndmask_b32_e32 v7, v7, v15, vcc
	v_cndmask_b32_e32 v6, v6, v14, vcc
	s_branch .LBB128_48
.LBB128_47:                             ;   in Loop: Header=BB128_48 Depth=1
	s_or_b64 exec, exec, s[8:9]
	v_cmp_eq_u16_sdwa s[8:9], v8, v18 src0_sel:BYTE_0 src1_sel:DWORD
	v_subrev_u32_e32 v9, 64, v12
	ds_bpermute_b32 v17, v19, v7
	v_and_b32_e32 v12, s9, v5
	v_or_b32_e32 v12, 0x80000000, v12
	v_ffbl_b32_e32 v12, v12
	v_add_u32_e32 v31, 32, v12
	ds_bpermute_b32 v12, v19, v6
	v_and_b32_e32 v16, s8, v4
	v_ffbl_b32_e32 v16, v16
	v_min_u32_e32 v31, v16, v31
	v_mov_b32_e32 v16, v13
	s_waitcnt lgkmcnt(0)
	v_lshl_add_u64 v[32:33], v[6:7], 0, v[12:13]
	v_lshl_add_u64 v[16:17], v[16:17], 0, v[32:33]
	v_cmp_le_u32_e32 vcc, v20, v31
	v_cmp_le_u32_e64 s[8:9], v22, v31
	v_cmp_le_u32_e64 s[10:11], v24, v31
	v_cndmask_b32_e32 v12, v6, v32, vcc
	v_cndmask_b32_e32 v17, v7, v17, vcc
	ds_bpermute_b32 v32, v21, v12
	ds_bpermute_b32 v33, v21, v17
	v_cndmask_b32_e32 v16, v6, v16, vcc
	v_cmp_le_u32_e64 s[12:13], v26, v31
	s_waitcnt lgkmcnt(0)
	v_lshl_add_u64 v[32:33], v[32:33], 0, v[16:17]
	v_cndmask_b32_e64 v12, v12, v32, s[8:9]
	v_cndmask_b32_e64 v17, v17, v33, s[8:9]
	ds_bpermute_b32 v70, v23, v12
	ds_bpermute_b32 v71, v23, v17
	v_cndmask_b32_e64 v16, v16, v32, s[8:9]
	s_or_b64 s[8:9], vcc, s[8:9]
	v_cmp_le_u32_e32 vcc, v28, v31
	s_or_b64 s[8:9], s[10:11], s[8:9]
	s_waitcnt lgkmcnt(0)
	v_lshl_add_u64 v[32:33], v[70:71], 0, v[16:17]
	v_cndmask_b32_e64 v12, v12, v32, s[10:11]
	v_cndmask_b32_e64 v17, v17, v33, s[10:11]
	ds_bpermute_b32 v70, v25, v12
	ds_bpermute_b32 v71, v25, v17
	v_cndmask_b32_e64 v16, v16, v32, s[10:11]
	s_or_b64 s[8:9], s[12:13], s[8:9]
	s_or_b64 s[8:9], vcc, s[8:9]
	s_waitcnt lgkmcnt(0)
	v_lshl_add_u64 v[32:33], v[70:71], 0, v[16:17]
	v_cndmask_b32_e64 v12, v12, v32, s[12:13]
	v_cndmask_b32_e64 v17, v17, v33, s[12:13]
	ds_bpermute_b32 v70, v27, v12
	ds_bpermute_b32 v71, v27, v17
	v_cndmask_b32_e64 v16, v16, v32, s[12:13]
	s_waitcnt lgkmcnt(0)
	v_lshl_add_u64 v[32:33], v[70:71], 0, v[16:17]
	v_cndmask_b32_e32 v12, v12, v32, vcc
	v_cndmask_b32_e32 v17, v17, v33, vcc
	ds_bpermute_b32 v33, v29, v17
	ds_bpermute_b32 v12, v29, v12
	v_cndmask_b32_e32 v16, v16, v32, vcc
	v_cmp_le_u32_e32 vcc, v30, v31
	s_waitcnt lgkmcnt(1)
	s_nop 0
	v_cndmask_b32_e32 v33, 0, v33, vcc
	s_waitcnt lgkmcnt(0)
	v_cndmask_b32_e32 v32, 0, v12, vcc
	v_lshl_add_u64 v[16:17], v[32:33], 0, v[16:17]
	s_or_b64 vcc, vcc, s[8:9]
	v_cndmask_b32_e32 v7, v7, v17, vcc
	v_cndmask_b32_e32 v6, v6, v16, vcc
	v_lshl_add_u64 v[6:7], v[6:7], 0, v[14:15]
	v_mov_b32_e32 v12, v9
.LBB128_48:                             ; =>This Loop Header: Depth=1
                                        ;     Child Loop BB128_51 Depth 2
	v_cmp_ne_u16_sdwa s[8:9], v8, v18 src0_sel:BYTE_0 src1_sel:DWORD
	v_mov_b64_e32 v[14:15], v[6:7]
	s_nop 0
	v_cndmask_b32_e64 v8, 0, 1, s[8:9]
	;;#ASMSTART
	;;#ASMEND
	s_nop 0
	v_cmp_ne_u32_e32 vcc, 0, v8
	s_cmp_lg_u64 vcc, exec
	s_cbranch_scc1 .LBB128_53
; %bb.49:                               ;   in Loop: Header=BB128_48 Depth=1
	v_lshl_add_u64 v[16:17], v[12:13], 4, s[24:25]
	;;#ASMSTART
	global_load_dwordx4 v[6:9], v[16:17] off sc1	
s_waitcnt vmcnt(0)
	;;#ASMEND
	s_nop 0
	v_cmp_eq_u16_sdwa s[10:11], v8, v13 src0_sel:BYTE_0 src1_sel:DWORD
	s_and_saveexec_b64 s[8:9], s[10:11]
	s_cbranch_execz .LBB128_47
; %bb.50:                               ;   in Loop: Header=BB128_48 Depth=1
	s_mov_b64 s[10:11], 0
.LBB128_51:                             ;   Parent Loop BB128_48 Depth=1
                                        ; =>  This Inner Loop Header: Depth=2
	;;#ASMSTART
	global_load_dwordx4 v[6:9], v[16:17] off sc1	
s_waitcnt vmcnt(0)
	;;#ASMEND
	s_nop 0
	v_cmp_ne_u16_sdwa s[12:13], v8, v13 src0_sel:BYTE_0 src1_sel:DWORD
	s_or_b64 s[10:11], s[12:13], s[10:11]
	s_andn2_b64 exec, exec, s[10:11]
	s_cbranch_execnz .LBB128_51
; %bb.52:                               ;   in Loop: Header=BB128_48 Depth=1
	s_or_b64 exec, exec, s[10:11]
	s_branch .LBB128_47
.LBB128_53:                             ;   in Loop: Header=BB128_48 Depth=1
                                        ; implicit-def: $vgpr6_vgpr7
                                        ; implicit-def: $vgpr8
	s_cbranch_execz .LBB128_48
; %bb.54:
	s_and_saveexec_b64 s[8:9], s[4:5]
	s_cbranch_execz .LBB128_56
; %bb.55:
	s_add_i32 s2, s2, 64
	s_mov_b32 s3, 0
	s_lshl_b64 s[2:3], s[2:3], 4
	s_add_u32 s2, s24, s2
	s_addc_u32 s3, s25, s3
	v_lshl_add_u64 v[2:3], v[14:15], 0, v[2:3]
	v_mov_b32_e32 v4, 2
	v_mov_b32_e32 v5, 0
	v_mov_b64_e32 v[6:7], s[2:3]
	;;#ASMSTART
	global_store_dwordx4 v[6:7], v[2:5] off sc1	
s_waitcnt vmcnt(0)
	;;#ASMEND
.LBB128_56:
	s_or_b64 exec, exec, s[8:9]
	s_and_b64 exec, exec, s[6:7]
	s_cbranch_execz .LBB128_58
; %bb.57:
	v_mov_b32_e32 v2, 0
	ds_write_b64 v2, v[14:15]
.LBB128_58:
	s_or_b64 exec, exec, s[26:27]
	v_mov_b32_e32 v2, 0
	s_waitcnt lgkmcnt(0)
	s_barrier
	ds_read_b64 v[2:3], v2
	s_waitcnt lgkmcnt(0)
	v_lshl_add_u64 v[2:3], v[2:3], 0, v[10:11]
	v_lshl_add_u64 v[4:5], v[2:3], 0, v[34:35]
	;; [unrolled: 1-line block ×15, first 2 shown]
	s_load_dwordx4 s[4:7], s[0:1], 0x40
	s_branch .LBB128_69
.LBB128_59:
                                        ; implicit-def: $vgpr2_vgpr3_vgpr4_vgpr5_vgpr6_vgpr7_vgpr8_vgpr9_vgpr10_vgpr11_vgpr12_vgpr13_vgpr14_vgpr15_vgpr16_vgpr17_vgpr18_vgpr19_vgpr20_vgpr21_vgpr22_vgpr23_vgpr24_vgpr25_vgpr26_vgpr27_vgpr28_vgpr29_vgpr30_vgpr31_vgpr32_vgpr33
	s_load_dwordx4 s[4:7], s[0:1], 0x40
	s_cbranch_execz .LBB128_69
; %bb.60:
	s_load_dword s2, s[0:1], 0x50
	v_mov_b64_e32 v[32:33], s[22:23]
	s_waitcnt lgkmcnt(0)
	s_bitcmp0_b32 s2, 0
	s_cbranch_scc1 .LBB128_62
; %bb.61:
	v_mov_b32_e32 v2, 0
	global_load_dword v2, v2, s[20:21] offset:-4
	s_load_dwordx2 s[2:3], s[4:5], 0x0
	s_waitcnt vmcnt(0)
	v_ashrrev_i32_e32 v3, 31, v2
	s_waitcnt lgkmcnt(0)
	v_lshl_add_u64 v[32:33], s[2:3], 0, v[2:3]
.LBB128_62:
	v_lshl_add_u64 v[2:3], v[66:67], 0, v[40:41]
	v_lshl_add_u64 v[2:3], v[2:3], 0, v[42:43]
	;; [unrolled: 1-line block ×12, first 2 shown]
	v_add_lshl_u32 v1, v1, v0, 3
	v_cmp_gt_u32_e32 vcc, 64, v0
	ds_write_b64 v1, v[2:3]
	s_waitcnt lgkmcnt(0)
	s_barrier
	s_and_saveexec_b64 s[2:3], vcc
	s_cbranch_execz .LBB128_64
; %bb.63:
	v_lshlrev_b32_e32 v1, 2, v0
	v_lshrrev_b32_e32 v4, 3, v0
	v_add_lshl_u32 v1, v4, v1, 3
	ds_read2_b64 v[4:7], v1 offset1:1
	ds_read2_b64 v[8:11], v1 offset0:2 offset1:3
	v_mbcnt_lo_u32_b32 v13, -1, 0
	v_mov_b32_e32 v12, 0
	v_mbcnt_hi_u32_b32 v20, -1, v13
	s_waitcnt lgkmcnt(1)
	v_lshl_add_u64 v[14:15], v[6:7], 0, v[4:5]
	s_waitcnt lgkmcnt(0)
	v_lshl_add_u64 v[14:15], v[14:15], 0, v[8:9]
	v_lshl_add_u64 v[14:15], v[14:15], 0, v[10:11]
	v_and_b32_e32 v21, 15, v20
	v_mov_b32_e32 v17, v12
	v_mov_b32_dpp v16, v14 row_shr:1 row_mask:0xf bank_mask:0xf
	v_mov_b32_dpp v13, v15 row_shr:1 row_mask:0xf bank_mask:0xf
	v_lshl_add_u64 v[16:17], v[14:15], 0, v[16:17]
	v_cmp_eq_u32_e32 vcc, 0, v21
	v_lshl_add_u64 v[18:19], v[12:13], 0, v[16:17]
	v_mov_b32_e32 v17, v12
	v_cndmask_b32_e32 v22, v16, v14, vcc
	v_cndmask_b32_e32 v15, v19, v15, vcc
	v_cndmask_b32_e32 v14, v18, v14, vcc
	v_mov_b32_dpp v16, v22 row_shr:2 row_mask:0xf bank_mask:0xf
	v_mov_b32_dpp v13, v15 row_shr:2 row_mask:0xf bank_mask:0xf
	v_lshl_add_u64 v[16:17], v[14:15], 0, v[16:17]
	v_cmp_lt_u32_e32 vcc, 1, v21
	v_lshl_add_u64 v[18:19], v[16:17], 0, v[12:13]
	v_mov_b32_e32 v17, v12
	v_cndmask_b32_e32 v22, v22, v16, vcc
	v_cndmask_b32_e32 v15, v15, v19, vcc
	v_cndmask_b32_e32 v14, v14, v18, vcc
	v_mov_b32_dpp v16, v22 row_shr:4 row_mask:0xf bank_mask:0xf
	v_mov_b32_dpp v13, v15 row_shr:4 row_mask:0xf bank_mask:0xf
	v_lshl_add_u64 v[16:17], v[14:15], 0, v[16:17]
	v_cmp_lt_u32_e32 vcc, 3, v21
	;; [unrolled: 9-line block ×3, first 2 shown]
	v_lshl_add_u64 v[18:19], v[16:17], 0, v[12:13]
	v_mov_b32_e32 v17, v12
	v_cndmask_b32_e32 v21, v22, v16, vcc
	v_cndmask_b32_e32 v15, v15, v19, vcc
	;; [unrolled: 1-line block ×3, first 2 shown]
	v_mov_b32_dpp v16, v21 row_bcast:15 row_mask:0xf bank_mask:0xf
	v_and_b32_e32 v22, 16, v20
	v_mov_b32_dpp v13, v15 row_bcast:15 row_mask:0xf bank_mask:0xf
	v_lshl_add_u64 v[16:17], v[14:15], 0, v[16:17]
	v_cmp_eq_u32_e32 vcc, 0, v22
	v_lshl_add_u64 v[18:19], v[16:17], 0, v[12:13]
	v_mov_b32_e32 v17, v12
	v_cndmask_b32_e32 v13, v16, v21, vcc
	v_cndmask_b32_e32 v15, v19, v15, vcc
	;; [unrolled: 1-line block ×3, first 2 shown]
	v_mov_b32_dpp v16, v13 row_bcast:31 row_mask:0xf bank_mask:0xf
	v_mov_b32_dpp v18, v15 row_bcast:31 row_mask:0xf bank_mask:0xf
	v_lshl_add_u64 v[16:17], v[14:15], 0, v[16:17]
	v_add_u32_e32 v14, v18, v17
	v_cmp_lt_u32_e32 vcc, 31, v20
	s_nop 1
	v_cndmask_b32_e32 v13, v13, v16, vcc
	v_cndmask_b32_e32 v15, v15, v14, vcc
	v_add_u32_e32 v14, -1, v20
	v_and_b32_e32 v16, 64, v20
	v_cmp_lt_i32_e32 vcc, v14, v16
	s_nop 1
	v_cndmask_b32_e32 v14, v14, v20, vcc
	v_lshlrev_b32_e32 v16, 2, v14
	ds_bpermute_b32 v14, v16, v13
	ds_bpermute_b32 v13, v16, v15
	v_mov_b32_e32 v15, v12
	v_cmp_eq_u32_e32 vcc, 0, v0
	s_waitcnt lgkmcnt(1)
	v_lshl_add_u64 v[4:5], v[4:5], 0, v[14:15]
	s_waitcnt lgkmcnt(0)
	v_lshl_add_u64 v[4:5], v[4:5], 0, v[12:13]
	v_cndmask_b32_e32 v3, v5, v3, vcc
	v_cndmask_b32_e32 v2, v4, v2, vcc
	v_lshl_add_u64 v[4:5], v[2:3], 0, v[6:7]
	ds_write2_b64 v1, v[2:3], v[4:5] offset1:1
	v_lshl_add_u64 v[2:3], v[4:5], 0, v[8:9]
	v_lshl_add_u64 v[4:5], v[2:3], 0, v[10:11]
	ds_write2_b64 v1, v[2:3], v[4:5] offset0:2 offset1:3
.LBB128_64:
	s_or_b64 exec, exec, s[2:3]
	v_cmp_eq_u32_e32 vcc, 0, v0
	v_cmp_ne_u32_e64 s[2:3], 0, v0
	v_mov_b64_e32 v[2:3], v[32:33]
	s_waitcnt lgkmcnt(0)
	s_barrier
	s_and_saveexec_b64 s[4:5], s[2:3]
	s_cbranch_execz .LBB128_66
; %bb.65:
	v_add_u32_e32 v1, -1, v0
	v_lshrrev_b32_e32 v2, 5, v1
	v_add_lshl_u32 v1, v2, v1, 3
	ds_read_b64 v[2:3], v1
	s_waitcnt lgkmcnt(0)
	v_lshl_add_u64 v[2:3], v[2:3], 0, v[32:33]
.LBB128_66:
	s_or_b64 exec, exec, s[4:5]
	v_lshl_add_u64 v[4:5], v[2:3], 0, v[34:35]
	v_lshl_add_u64 v[6:7], v[4:5], 0, v[36:37]
	;; [unrolled: 1-line block ×14, first 2 shown]
	s_and_saveexec_b64 s[2:3], vcc
	s_cbranch_execz .LBB128_68
; %bb.67:
	v_mov_b32_e32 v35, 0
	ds_read_b64 v[36:37], v35 offset:2096
	s_add_u32 s4, s24, 0x400
	s_addc_u32 s5, s25, 0
	v_mov_b32_e32 v34, 2
	s_waitcnt lgkmcnt(0)
	v_lshl_add_u64 v[32:33], v[36:37], 0, v[32:33]
	v_mov_b64_e32 v[36:37], s[4:5]
	;;#ASMSTART
	global_store_dwordx4 v[36:37], v[32:35] off sc1	
s_waitcnt vmcnt(0)
	;;#ASMEND
.LBB128_68:
	s_or_b64 exec, exec, s[2:3]
.LBB128_69:
	s_lshl_b64 s[2:3], s[14:15], 3
	s_add_u32 s2, s16, s2
	s_addc_u32 s3, s17, s3
	s_waitcnt lgkmcnt(0)
	s_mov_b64 s[4:5], -1
	s_and_b64 vcc, exec, s[18:19]
	s_barrier
	s_cbranch_vccz .LBB128_71
; %bb.70:
	v_mul_u32_u24_e32 v1, 0x78, v0
	s_movk_i32 s4, 0x78
	ds_write2_b64 v1, v[2:3], v[4:5] offset1:1
	ds_write2_b64 v1, v[6:7], v[8:9] offset0:2 offset1:3
	ds_write2_b64 v1, v[10:11], v[12:13] offset0:4 offset1:5
	;; [unrolled: 1-line block ×6, first 2 shown]
	ds_write_b64 v1, v[30:31] offset:112
	v_mul_i32_i24_e32 v1, 0xffffff90, v0
	v_mad_u32_u24 v1, v0, s4, v1
	v_mov_b32_e32 v63, 0
	s_waitcnt lgkmcnt(0)
	s_barrier
	ds_read2st64_b64 v[32:35], v1 offset1:4
	ds_read2st64_b64 v[36:39], v1 offset0:8 offset1:12
	ds_read2st64_b64 v[40:43], v1 offset0:16 offset1:20
	;; [unrolled: 1-line block ×6, first 2 shown]
	ds_read_b64 v[60:61], v1 offset:28672
	v_lshl_add_u64 v[64:65], s[2:3], 0, v[62:63]
	s_movk_i32 s4, 0x1000
	s_waitcnt lgkmcnt(7)
	global_store_dwordx2 v62, v[32:33], s[2:3]
	global_store_dwordx2 v62, v[34:35], s[2:3] offset:2048
	v_add_co_u32_e32 v32, vcc, s4, v64
	s_movk_i32 s4, 0x2000
	s_nop 0
	v_addc_co_u32_e32 v33, vcc, 0, v65, vcc
	v_add_co_u32_e32 v34, vcc, s4, v64
	s_movk_i32 s4, 0x3000
	s_nop 0
	v_addc_co_u32_e32 v35, vcc, 0, v65, vcc
	s_waitcnt lgkmcnt(6)
	global_store_dwordx2 v[34:35], v[36:37], off offset:-4096
	global_store_dwordx2 v[32:33], v[38:39], off offset:2048
	s_waitcnt lgkmcnt(5)
	global_store_dwordx2 v[34:35], v[40:41], off
	global_store_dwordx2 v[34:35], v[42:43], off offset:2048
	v_add_co_u32_e32 v32, vcc, s4, v64
	s_movk_i32 s4, 0x4000
	s_nop 0
	v_addc_co_u32_e32 v33, vcc, 0, v65, vcc
	v_add_co_u32_e32 v34, vcc, s4, v64
	s_movk_i32 s4, 0x5000
	s_nop 0
	v_addc_co_u32_e32 v35, vcc, 0, v65, vcc
	s_waitcnt lgkmcnt(4)
	global_store_dwordx2 v[34:35], v[44:45], off offset:-4096
	global_store_dwordx2 v[32:33], v[46:47], off offset:2048
	s_waitcnt lgkmcnt(3)
	global_store_dwordx2 v[34:35], v[48:49], off
	global_store_dwordx2 v[34:35], v[50:51], off offset:2048
	v_add_co_u32_e32 v32, vcc, s4, v64
	s_mov_b64 s[4:5], 0
	s_nop 0
	v_addc_co_u32_e32 v33, vcc, 0, v65, vcc
	s_waitcnt lgkmcnt(2)
	global_store_dwordx2 v[32:33], v[52:53], off
	global_store_dwordx2 v[32:33], v[54:55], off offset:2048
	v_add_co_u32_e32 v32, vcc, 0x6000, v64
	s_nop 1
	v_addc_co_u32_e32 v33, vcc, 0, v65, vcc
	s_waitcnt lgkmcnt(1)
	global_store_dwordx2 v[32:33], v[56:57], off
	global_store_dwordx2 v[32:33], v[58:59], off offset:2048
	v_add_co_u32_e32 v32, vcc, 0x7000, v64
	s_nop 1
	v_addc_co_u32_e32 v33, vcc, 0, v65, vcc
	s_waitcnt lgkmcnt(0)
	global_store_dwordx2 v[32:33], v[60:61], off
.LBB128_71:
	s_andn2_b64 vcc, exec, s[4:5]
	s_cbranch_vccnz .LBB128_157
; %bb.72:
	v_mul_u32_u24_e32 v1, 0x78, v0
	s_movk_i32 s4, 0x78
	ds_write2_b64 v1, v[2:3], v[4:5] offset1:1
	ds_write2_b64 v1, v[6:7], v[8:9] offset0:2 offset1:3
	ds_write2_b64 v1, v[10:11], v[12:13] offset0:4 offset1:5
	;; [unrolled: 1-line block ×6, first 2 shown]
	ds_write_b64 v1, v[30:31] offset:112
	v_mul_i32_i24_e32 v1, 0xffffff90, v0
	v_mad_u32_u24 v1, v0, s4, v1
	s_waitcnt lgkmcnt(0)
	s_barrier
	ds_read2st64_b64 v[6:9], v1 offset1:4
	ds_read2st64_b64 v[14:17], v1 offset0:8 offset1:12
	ds_read2st64_b64 v[10:13], v1 offset0:16 offset1:20
	;; [unrolled: 1-line block ×6, first 2 shown]
	ds_read_b64 v[30:31], v1 offset:28672
	v_mov_b32_e32 v63, 0
	v_lshl_add_u64 v[32:33], s[2:3], 0, v[62:63]
	v_cmp_gt_u32_e32 vcc, s28, v0
	s_and_saveexec_b64 s[2:3], vcc
	s_cbranch_execz .LBB128_74
; %bb.73:
	s_waitcnt lgkmcnt(7)
	global_store_dwordx2 v[32:33], v[6:7], off
.LBB128_74:
	s_or_b64 exec, exec, s[2:3]
	v_or_b32_e32 v1, 0x100, v0
	v_cmp_gt_u32_e32 vcc, s28, v1
	s_and_saveexec_b64 s[2:3], vcc
	s_cbranch_execz .LBB128_76
; %bb.75:
	s_waitcnt lgkmcnt(7)
	global_store_dwordx2 v[32:33], v[8:9], off offset:2048
.LBB128_76:
	s_or_b64 exec, exec, s[2:3]
	v_or_b32_e32 v1, 0x200, v0
	v_cmp_gt_u32_e32 vcc, s28, v1
	s_and_saveexec_b64 s[2:3], vcc
	s_cbranch_execz .LBB128_78
; %bb.77:
	v_add_co_u32_e32 v34, vcc, 0x1000, v32
	s_nop 1
	v_addc_co_u32_e32 v35, vcc, 0, v33, vcc
	s_waitcnt lgkmcnt(6)
	global_store_dwordx2 v[34:35], v[14:15], off
.LBB128_78:
	s_or_b64 exec, exec, s[2:3]
	v_or_b32_e32 v1, 0x300, v0
	v_cmp_gt_u32_e32 vcc, s28, v1
	s_and_saveexec_b64 s[2:3], vcc
	s_cbranch_execz .LBB128_80
; %bb.79:
	v_add_co_u32_e32 v34, vcc, 0x1000, v32
	s_nop 1
	v_addc_co_u32_e32 v35, vcc, 0, v33, vcc
	s_waitcnt lgkmcnt(6)
	global_store_dwordx2 v[34:35], v[16:17], off offset:2048
.LBB128_80:
	s_or_b64 exec, exec, s[2:3]
	v_or_b32_e32 v1, 0x400, v0
	v_cmp_gt_u32_e32 vcc, s28, v1
	s_and_saveexec_b64 s[2:3], vcc
	s_cbranch_execz .LBB128_82
; %bb.81:
	v_add_co_u32_e32 v34, vcc, 0x2000, v32
	s_nop 1
	v_addc_co_u32_e32 v35, vcc, 0, v33, vcc
	s_waitcnt lgkmcnt(5)
	global_store_dwordx2 v[34:35], v[10:11], off
.LBB128_82:
	s_or_b64 exec, exec, s[2:3]
	v_or_b32_e32 v1, 0x500, v0
	v_cmp_gt_u32_e32 vcc, s28, v1
	s_and_saveexec_b64 s[2:3], vcc
	s_cbranch_execz .LBB128_84
; %bb.83:
	v_add_co_u32_e32 v34, vcc, 0x2000, v32
	s_nop 1
	v_addc_co_u32_e32 v35, vcc, 0, v33, vcc
	s_waitcnt lgkmcnt(5)
	global_store_dwordx2 v[34:35], v[12:13], off offset:2048
.LBB128_84:
	;; [unrolled: 24-line block ×6, first 2 shown]
	s_or_b64 exec, exec, s[2:3]
	v_or_b32_e32 v1, 0xe00, v0
	v_cmp_gt_u32_e32 vcc, s28, v1
	s_and_saveexec_b64 s[2:3], vcc
	s_cbranch_execz .LBB128_102
; %bb.101:
	v_add_co_u32_e32 v32, vcc, 0x7000, v32
	s_nop 1
	v_addc_co_u32_e32 v33, vcc, 0, v33, vcc
	s_waitcnt lgkmcnt(0)
	global_store_dwordx2 v[32:33], v[30:31], off
.LBB128_102:
	s_or_b64 exec, exec, s[2:3]
	s_load_dword s0, s[0:1], 0x50
	s_waitcnt lgkmcnt(0)
	s_bfe_u32 s0, s0, 0x10008
	s_cmp_eq_u32 s0, 0
	s_cbranch_scc1 .LBB128_157
; %bb.103:
	s_add_u32 s0, s28, -1
	s_addc_u32 s1, s29, -1
	s_add_u32 s2, 0, 0x11108400
	s_addc_u32 s3, 0, 49
	s_add_i32 s3, s3, 0x111110e0
	s_mul_hi_u32 s9, s2, -15
	s_sub_i32 s9, s9, s2
	s_mul_i32 s10, s3, -15
	s_mul_i32 s4, s2, -15
	s_add_i32 s9, s9, s10
	s_mul_hi_u32 s5, s3, s4
	s_mul_i32 s8, s3, s4
	s_mul_i32 s11, s2, s9
	s_mul_hi_u32 s4, s2, s4
	s_mul_hi_u32 s10, s2, s9
	s_add_u32 s4, s4, s11
	s_addc_u32 s10, 0, s10
	s_add_u32 s4, s4, s8
	s_mul_hi_u32 s11, s3, s9
	s_addc_u32 s4, s10, s5
	s_addc_u32 s5, s11, 0
	s_mul_i32 s8, s3, s9
	s_add_u32 s4, s4, s8
	v_mov_b32_e32 v32, s4
	s_addc_u32 s5, 0, s5
	v_add_co_u32_e32 v32, vcc, s2, v32
	s_cmp_lg_u64 vcc, 0
	s_addc_u32 s2, s3, s5
	v_readfirstlane_b32 s5, v32
	s_mul_i32 s4, s0, s2
	s_mul_hi_u32 s8, s0, s5
	s_mul_hi_u32 s3, s0, s2
	s_add_u32 s4, s8, s4
	s_addc_u32 s3, 0, s3
	s_mul_hi_u32 s9, s1, s5
	s_mul_i32 s5, s1, s5
	s_add_u32 s4, s4, s5
	s_mul_hi_u32 s8, s1, s2
	s_addc_u32 s3, s3, s9
	s_addc_u32 s4, s8, 0
	s_mul_i32 s2, s1, s2
	s_add_u32 s2, s3, s2
	s_addc_u32 s3, 0, s4
	s_add_u32 s4, s2, 1
	s_addc_u32 s5, s3, 0
	s_add_u32 s8, s2, 2
	s_mul_i32 s10, s3, 15
	s_mul_hi_u32 s11, s2, 15
	s_addc_u32 s9, s3, 0
	s_add_i32 s11, s11, s10
	s_mul_i32 s10, s2, 15
	v_mov_b32_e32 v32, s10
	v_sub_co_u32_e32 v32, vcc, s0, v32
	s_cmp_lg_u64 vcc, 0
	s_subb_u32 s10, s1, s11
	v_subrev_co_u32_e32 v33, vcc, 15, v32
	s_cmp_lg_u64 vcc, 0
	s_subb_u32 s11, s10, 0
	v_readfirstlane_b32 s12, v33
	s_cmp_gt_u32 s12, 14
	s_cselect_b32 s12, -1, 0
	s_cmp_eq_u32 s11, 0
	s_cselect_b32 s11, s12, -1
	s_cmp_lg_u32 s11, 0
	s_cselect_b32 s4, s8, s4
	v_readfirstlane_b32 s8, v32
	s_cselect_b32 s5, s9, s5
	s_cmp_gt_u32 s8, 14
	s_cselect_b32 s8, -1, 0
	s_cmp_eq_u32 s10, 0
	s_cselect_b32 s8, s8, -1
	s_cmp_lg_u32 s8, 0
	v_mov_b32_e32 v1, v63
	s_cselect_b32 s3, s5, s3
	s_cselect_b32 s2, s4, s2
	v_cmp_eq_u64_e32 vcc, s[2:3], v[0:1]
	s_and_saveexec_b64 s[2:3], vcc
	s_cbranch_execz .LBB128_157
; %bb.104:
	v_mul_hi_u32_u24_e32 v1, 15, v0
	v_mov_b32_e32 v32, s1
	v_sub_co_u32_e32 v0, vcc, s0, v68
	s_nop 1
	v_subb_co_u32_e32 v1, vcc, v32, v1, vcc
	v_cmp_lt_i64_e32 vcc, 7, v[0:1]
	s_and_saveexec_b64 s[0:1], vcc
	s_xor_b64 s[0:1], exec, s[0:1]
	s_cbranch_execz .LBB128_130
; %bb.105:
	v_cmp_lt_i64_e32 vcc, 10, v[0:1]
	s_and_saveexec_b64 s[2:3], vcc
	s_xor_b64 s[2:3], exec, s[2:3]
	s_cbranch_execz .LBB128_119
; %bb.106:
	;; [unrolled: 5-line block ×4, first 2 shown]
	v_mov_b32_e32 v0, 0
	global_store_dwordx2 v0, v[30:31], s[6:7]
                                        ; implicit-def: $vgpr22_vgpr23_vgpr24_vgpr25
.LBB128_109:
	s_andn2_saveexec_b64 s[8:9], s[8:9]
	s_cbranch_execz .LBB128_111
; %bb.110:
	v_mov_b32_e32 v0, 0
	global_store_dwordx2 v0, v[24:25], s[6:7]
.LBB128_111:
	s_or_b64 exec, exec, s[8:9]
                                        ; implicit-def: $vgpr2_vgpr3_vgpr4_vgpr5
                                        ; implicit-def: $vgpr0_vgpr1
                                        ; implicit-def: $vgpr22_vgpr23_vgpr24_vgpr25
.LBB128_112:
	s_andn2_saveexec_b64 s[4:5], s[4:5]
	s_cbranch_execz .LBB128_118
; %bb.113:
	v_cmp_lt_i64_e32 vcc, 11, v[0:1]
	s_and_saveexec_b64 s[8:9], vcc
	s_xor_b64 s[8:9], exec, s[8:9]
	s_cbranch_execz .LBB128_115
; %bb.114:
	v_mov_b32_e32 v0, 0
	global_store_dwordx2 v0, v[22:23], s[6:7]
                                        ; implicit-def: $vgpr2_vgpr3_vgpr4_vgpr5
.LBB128_115:
	s_andn2_saveexec_b64 s[8:9], s[8:9]
	s_cbranch_execz .LBB128_117
; %bb.116:
	v_mov_b32_e32 v0, 0
	global_store_dwordx2 v0, v[4:5], s[6:7]
.LBB128_117:
	s_or_b64 exec, exec, s[8:9]
.LBB128_118:
	s_or_b64 exec, exec, s[4:5]
                                        ; implicit-def: $vgpr18_vgpr19_vgpr20_vgpr21
                                        ; implicit-def: $vgpr0_vgpr1
                                        ; implicit-def: $vgpr2_vgpr3_vgpr4_vgpr5
.LBB128_119:
	s_andn2_saveexec_b64 s[2:3], s[2:3]
	s_cbranch_execz .LBB128_129
; %bb.120:
	v_cmp_lt_i64_e32 vcc, 8, v[0:1]
	s_and_saveexec_b64 s[4:5], vcc
	s_xor_b64 s[4:5], exec, s[4:5]
	s_cbranch_execz .LBB128_126
; %bb.121:
	v_cmp_lt_i64_e32 vcc, 9, v[0:1]
	s_and_saveexec_b64 s[8:9], vcc
	s_xor_b64 s[8:9], exec, s[8:9]
	s_cbranch_execz .LBB128_123
; %bb.122:
	v_mov_b32_e32 v0, 0
	global_store_dwordx2 v0, v[2:3], s[6:7]
                                        ; implicit-def: $vgpr18_vgpr19_vgpr20_vgpr21
.LBB128_123:
	s_andn2_saveexec_b64 s[8:9], s[8:9]
	s_cbranch_execz .LBB128_125
; %bb.124:
	v_mov_b32_e32 v0, 0
	global_store_dwordx2 v0, v[20:21], s[6:7]
.LBB128_125:
	s_or_b64 exec, exec, s[8:9]
                                        ; implicit-def: $vgpr18_vgpr19_vgpr20_vgpr21
.LBB128_126:
	s_andn2_saveexec_b64 s[4:5], s[4:5]
	s_cbranch_execz .LBB128_128
; %bb.127:
	v_mov_b32_e32 v0, 0
	global_store_dwordx2 v0, v[18:19], s[6:7]
.LBB128_128:
	s_or_b64 exec, exec, s[4:5]
.LBB128_129:
	s_or_b64 exec, exec, s[2:3]
                                        ; implicit-def: $vgpr0_vgpr1
                                        ; implicit-def: $vgpr6_vgpr7_vgpr8_vgpr9
                                        ; implicit-def: $vgpr10_vgpr11_vgpr12_vgpr13
                                        ; implicit-def: $vgpr14_vgpr15_vgpr16_vgpr17
                                        ; implicit-def: $vgpr26_vgpr27_vgpr28_vgpr29
.LBB128_130:
	s_andn2_saveexec_b64 s[0:1], s[0:1]
	s_cbranch_execz .LBB128_157
; %bb.131:
	v_cmp_lt_i64_e32 vcc, 3, v[0:1]
	s_and_saveexec_b64 s[0:1], vcc
	s_xor_b64 s[0:1], exec, s[0:1]
	s_cbranch_execz .LBB128_145
; %bb.132:
	v_cmp_lt_i64_e32 vcc, 5, v[0:1]
	s_and_saveexec_b64 s[2:3], vcc
	s_xor_b64 s[2:3], exec, s[2:3]
	;; [unrolled: 5-line block ×3, first 2 shown]
	s_cbranch_execz .LBB128_135
; %bb.134:
	v_mov_b32_e32 v0, 0
	global_store_dwordx2 v0, v[28:29], s[6:7]
                                        ; implicit-def: $vgpr26_vgpr27_vgpr28_vgpr29
.LBB128_135:
	s_andn2_saveexec_b64 s[4:5], s[4:5]
	s_cbranch_execz .LBB128_137
; %bb.136:
	v_mov_b32_e32 v0, 0
	global_store_dwordx2 v0, v[26:27], s[6:7]
.LBB128_137:
	s_or_b64 exec, exec, s[4:5]
                                        ; implicit-def: $vgpr10_vgpr11_vgpr12_vgpr13
                                        ; implicit-def: $vgpr0_vgpr1
.LBB128_138:
	s_andn2_saveexec_b64 s[2:3], s[2:3]
	s_cbranch_execz .LBB128_144
; %bb.139:
	v_cmp_lt_i64_e32 vcc, 4, v[0:1]
	s_and_saveexec_b64 s[4:5], vcc
	s_xor_b64 s[4:5], exec, s[4:5]
	s_cbranch_execz .LBB128_141
; %bb.140:
	v_mov_b32_e32 v0, 0
	global_store_dwordx2 v0, v[12:13], s[6:7]
                                        ; implicit-def: $vgpr10_vgpr11_vgpr12_vgpr13
.LBB128_141:
	s_andn2_saveexec_b64 s[4:5], s[4:5]
	s_cbranch_execz .LBB128_143
; %bb.142:
	v_mov_b32_e32 v0, 0
	global_store_dwordx2 v0, v[10:11], s[6:7]
.LBB128_143:
	s_or_b64 exec, exec, s[4:5]
.LBB128_144:
	s_or_b64 exec, exec, s[2:3]
                                        ; implicit-def: $vgpr0_vgpr1
                                        ; implicit-def: $vgpr6_vgpr7_vgpr8_vgpr9
                                        ; implicit-def: $vgpr14_vgpr15_vgpr16_vgpr17
.LBB128_145:
	s_andn2_saveexec_b64 s[0:1], s[0:1]
	s_cbranch_execz .LBB128_157
; %bb.146:
	v_cmp_lt_i64_e32 vcc, 1, v[0:1]
	s_and_saveexec_b64 s[0:1], vcc
	s_xor_b64 s[0:1], exec, s[0:1]
	s_cbranch_execz .LBB128_152
; %bb.147:
	v_cmp_lt_i64_e32 vcc, 2, v[0:1]
	s_and_saveexec_b64 s[2:3], vcc
	s_xor_b64 s[2:3], exec, s[2:3]
	s_cbranch_execz .LBB128_149
; %bb.148:
	v_mov_b32_e32 v0, 0
	global_store_dwordx2 v0, v[16:17], s[6:7]
                                        ; implicit-def: $vgpr14_vgpr15_vgpr16_vgpr17
.LBB128_149:
	s_andn2_saveexec_b64 s[2:3], s[2:3]
	s_cbranch_execz .LBB128_151
; %bb.150:
	v_mov_b32_e32 v0, 0
	global_store_dwordx2 v0, v[14:15], s[6:7]
.LBB128_151:
	s_or_b64 exec, exec, s[2:3]
                                        ; implicit-def: $vgpr6_vgpr7_vgpr8_vgpr9
                                        ; implicit-def: $vgpr0_vgpr1
.LBB128_152:
	s_andn2_saveexec_b64 s[0:1], s[0:1]
	s_cbranch_execz .LBB128_157
; %bb.153:
	v_cmp_ne_u64_e32 vcc, 1, v[0:1]
	s_and_saveexec_b64 s[0:1], vcc
	s_xor_b64 s[0:1], exec, s[0:1]
	s_cbranch_execz .LBB128_155
; %bb.154:
	v_mov_b32_e32 v0, 0
	global_store_dwordx2 v0, v[6:7], s[6:7]
                                        ; implicit-def: $vgpr6_vgpr7_vgpr8_vgpr9
.LBB128_155:
	s_andn2_saveexec_b64 s[0:1], s[0:1]
	s_cbranch_execz .LBB128_157
; %bb.156:
	v_mov_b32_e32 v0, 0
	global_store_dwordx2 v0, v[8:9], s[6:7]
.LBB128_157:
	s_endpgm
	.section	.rodata,"a",@progbits
	.p2align	6, 0x0
	.amdhsa_kernel _ZN7rocprim6detail20lookback_scan_kernelILNS0_25lookback_scan_determinismE0ELb1ENS0_19wrapped_scan_configINS_14default_configElEEN6hipcub22TransformInputIteratorIiNS6_6CastOpIiEEPilEEPlNS6_3SumENS_12future_valueIlSC_EElNS0_19lookback_scan_stateIlLb0ELb1EEEEEvT2_T3_mT5_T4_T7_jPT6_SO_bb
		.amdhsa_group_segment_fixed_size 30720
		.amdhsa_private_segment_fixed_size 0
		.amdhsa_kernarg_size 84
		.amdhsa_user_sgpr_count 2
		.amdhsa_user_sgpr_dispatch_ptr 0
		.amdhsa_user_sgpr_queue_ptr 0
		.amdhsa_user_sgpr_kernarg_segment_ptr 1
		.amdhsa_user_sgpr_dispatch_id 0
		.amdhsa_user_sgpr_kernarg_preload_length 0
		.amdhsa_user_sgpr_kernarg_preload_offset 0
		.amdhsa_user_sgpr_private_segment_size 0
		.amdhsa_uses_dynamic_stack 0
		.amdhsa_enable_private_segment 0
		.amdhsa_system_sgpr_workgroup_id_x 1
		.amdhsa_system_sgpr_workgroup_id_y 0
		.amdhsa_system_sgpr_workgroup_id_z 0
		.amdhsa_system_sgpr_workgroup_info 0
		.amdhsa_system_vgpr_workitem_id 0
		.amdhsa_next_free_vgpr 72
		.amdhsa_next_free_sgpr 68
		.amdhsa_accum_offset 72
		.amdhsa_reserve_vcc 1
		.amdhsa_float_round_mode_32 0
		.amdhsa_float_round_mode_16_64 0
		.amdhsa_float_denorm_mode_32 3
		.amdhsa_float_denorm_mode_16_64 3
		.amdhsa_dx10_clamp 1
		.amdhsa_ieee_mode 1
		.amdhsa_fp16_overflow 0
		.amdhsa_tg_split 0
		.amdhsa_exception_fp_ieee_invalid_op 0
		.amdhsa_exception_fp_denorm_src 0
		.amdhsa_exception_fp_ieee_div_zero 0
		.amdhsa_exception_fp_ieee_overflow 0
		.amdhsa_exception_fp_ieee_underflow 0
		.amdhsa_exception_fp_ieee_inexact 0
		.amdhsa_exception_int_div_zero 0
	.end_amdhsa_kernel
	.section	.text._ZN7rocprim6detail20lookback_scan_kernelILNS0_25lookback_scan_determinismE0ELb1ENS0_19wrapped_scan_configINS_14default_configElEEN6hipcub22TransformInputIteratorIiNS6_6CastOpIiEEPilEEPlNS6_3SumENS_12future_valueIlSC_EElNS0_19lookback_scan_stateIlLb0ELb1EEEEEvT2_T3_mT5_T4_T7_jPT6_SO_bb,"axG",@progbits,_ZN7rocprim6detail20lookback_scan_kernelILNS0_25lookback_scan_determinismE0ELb1ENS0_19wrapped_scan_configINS_14default_configElEEN6hipcub22TransformInputIteratorIiNS6_6CastOpIiEEPilEEPlNS6_3SumENS_12future_valueIlSC_EElNS0_19lookback_scan_stateIlLb0ELb1EEEEEvT2_T3_mT5_T4_T7_jPT6_SO_bb,comdat
.Lfunc_end128:
	.size	_ZN7rocprim6detail20lookback_scan_kernelILNS0_25lookback_scan_determinismE0ELb1ENS0_19wrapped_scan_configINS_14default_configElEEN6hipcub22TransformInputIteratorIiNS6_6CastOpIiEEPilEEPlNS6_3SumENS_12future_valueIlSC_EElNS0_19lookback_scan_stateIlLb0ELb1EEEEEvT2_T3_mT5_T4_T7_jPT6_SO_bb, .Lfunc_end128-_ZN7rocprim6detail20lookback_scan_kernelILNS0_25lookback_scan_determinismE0ELb1ENS0_19wrapped_scan_configINS_14default_configElEEN6hipcub22TransformInputIteratorIiNS6_6CastOpIiEEPilEEPlNS6_3SumENS_12future_valueIlSC_EElNS0_19lookback_scan_stateIlLb0ELb1EEEEEvT2_T3_mT5_T4_T7_jPT6_SO_bb
                                        ; -- End function
	.section	.AMDGPU.csdata,"",@progbits
; Kernel info:
; codeLenInByte = 7540
; NumSgprs: 74
; NumVgprs: 72
; NumAgprs: 0
; TotalNumVgprs: 72
; ScratchSize: 0
; MemoryBound: 0
; FloatMode: 240
; IeeeMode: 1
; LDSByteSize: 30720 bytes/workgroup (compile time only)
; SGPRBlocks: 9
; VGPRBlocks: 8
; NumSGPRsForWavesPerEU: 74
; NumVGPRsForWavesPerEU: 72
; AccumOffset: 72
; Occupancy: 2
; WaveLimiterHint : 1
; COMPUTE_PGM_RSRC2:SCRATCH_EN: 0
; COMPUTE_PGM_RSRC2:USER_SGPR: 2
; COMPUTE_PGM_RSRC2:TRAP_HANDLER: 0
; COMPUTE_PGM_RSRC2:TGID_X_EN: 1
; COMPUTE_PGM_RSRC2:TGID_Y_EN: 0
; COMPUTE_PGM_RSRC2:TGID_Z_EN: 0
; COMPUTE_PGM_RSRC2:TIDIG_COMP_CNT: 0
; COMPUTE_PGM_RSRC3_GFX90A:ACCUM_OFFSET: 17
; COMPUTE_PGM_RSRC3_GFX90A:TG_SPLIT: 0
	.section	.text._ZN7rocprim6detail16transform_kernelINS0_24wrapped_transform_configINS_14default_configElEElPlS5_NS_8identityIlEEEEvT1_mT2_T3_,"axG",@progbits,_ZN7rocprim6detail16transform_kernelINS0_24wrapped_transform_configINS_14default_configElEElPlS5_NS_8identityIlEEEEvT1_mT2_T3_,comdat
	.protected	_ZN7rocprim6detail16transform_kernelINS0_24wrapped_transform_configINS_14default_configElEElPlS5_NS_8identityIlEEEEvT1_mT2_T3_ ; -- Begin function _ZN7rocprim6detail16transform_kernelINS0_24wrapped_transform_configINS_14default_configElEElPlS5_NS_8identityIlEEEEvT1_mT2_T3_
	.globl	_ZN7rocprim6detail16transform_kernelINS0_24wrapped_transform_configINS_14default_configElEElPlS5_NS_8identityIlEEEEvT1_mT2_T3_
	.p2align	8
	.type	_ZN7rocprim6detail16transform_kernelINS0_24wrapped_transform_configINS_14default_configElEElPlS5_NS_8identityIlEEEEvT1_mT2_T3_,@function
_ZN7rocprim6detail16transform_kernelINS0_24wrapped_transform_configINS_14default_configElEElPlS5_NS_8identityIlEEEEvT1_mT2_T3_: ; @_ZN7rocprim6detail16transform_kernelINS0_24wrapped_transform_configINS_14default_configElEElPlS5_NS_8identityIlEEEEvT1_mT2_T3_
; %bb.0:
	s_load_dword s3, s[0:1], 0x20
	s_load_dwordx4 s[4:7], s[0:1], 0x0
	s_load_dwordx2 s[8:9], s[0:1], 0x10
	s_lshl_b32 s0, s2, 9
	s_mov_b32 s1, 0
	s_waitcnt lgkmcnt(0)
	s_add_i32 s3, s3, -1
	s_lshl_b64 s[10:11], s[0:1], 3
	s_add_u32 s4, s4, s10
	s_addc_u32 s5, s5, s11
	v_mov_b32_e32 v7, 0
	v_lshlrev_b32_e32 v6, 3, v0
	s_cmp_lg_u32 s2, s3
	v_lshl_add_u64 v[8:9], s[4:5], 0, v[6:7]
	s_cbranch_scc0 .LBB129_2
; %bb.1:
	global_load_dwordx2 v[2:3], v[8:9], off
	global_load_dwordx2 v[4:5], v[8:9], off offset:2048
	s_add_u32 s2, s8, s10
	s_addc_u32 s3, s9, s11
	s_waitcnt vmcnt(1)
	global_store_dwordx2 v6, v[2:3], s[2:3]
	s_mov_b64 s[2:3], -1
	s_cbranch_execz .LBB129_3
	s_branch .LBB129_10
.LBB129_2:
	s_mov_b64 s[2:3], 0
                                        ; implicit-def: $vgpr4_vgpr5
.LBB129_3:
	s_sub_i32 s4, s6, s0
	v_cmp_gt_u32_e32 vcc, s4, v0
                                        ; implicit-def: $vgpr2_vgpr3_vgpr4_vgpr5
	s_and_saveexec_b64 s[0:1], vcc
	s_cbranch_execz .LBB129_5
; %bb.4:
	global_load_dwordx2 v[2:3], v[8:9], off
.LBB129_5:
	s_or_b64 exec, exec, s[0:1]
	v_or_b32_e32 v0, 0x100, v0
	v_cmp_gt_u32_e64 s[0:1], s4, v0
	s_and_saveexec_b64 s[4:5], s[0:1]
	s_cbranch_execnz .LBB129_13
; %bb.6:
	s_or_b64 exec, exec, s[4:5]
	s_and_saveexec_b64 s[4:5], vcc
	s_cbranch_execnz .LBB129_14
.LBB129_7:
	s_or_b64 exec, exec, s[4:5]
	s_and_saveexec_b64 s[4:5], s[0:1]
.LBB129_8:
	s_or_b64 s[2:3], s[2:3], exec
.LBB129_9:
	s_or_b64 exec, exec, s[4:5]
.LBB129_10:
	s_and_saveexec_b64 s[0:1], s[2:3]
	s_cbranch_execnz .LBB129_12
; %bb.11:
	s_endpgm
.LBB129_12:
	s_add_u32 s0, s8, s10
	s_addc_u32 s1, s9, s11
	s_waitcnt vmcnt(0)
	global_store_dwordx2 v6, v[4:5], s[0:1] offset:2048
	s_endpgm
.LBB129_13:
	global_load_dwordx2 v[4:5], v[8:9], off offset:2048
	s_or_b64 exec, exec, s[4:5]
	s_and_saveexec_b64 s[4:5], vcc
	s_cbranch_execz .LBB129_7
.LBB129_14:
	s_add_u32 s6, s8, s10
	s_addc_u32 s7, s9, s11
	s_waitcnt vmcnt(0)
	global_store_dwordx2 v6, v[2:3], s[6:7]
	s_or_b64 exec, exec, s[4:5]
	s_and_saveexec_b64 s[4:5], s[0:1]
	s_cbranch_execnz .LBB129_8
	s_branch .LBB129_9
	.section	.rodata,"a",@progbits
	.p2align	6, 0x0
	.amdhsa_kernel _ZN7rocprim6detail16transform_kernelINS0_24wrapped_transform_configINS_14default_configElEElPlS5_NS_8identityIlEEEEvT1_mT2_T3_
		.amdhsa_group_segment_fixed_size 0
		.amdhsa_private_segment_fixed_size 0
		.amdhsa_kernarg_size 288
		.amdhsa_user_sgpr_count 2
		.amdhsa_user_sgpr_dispatch_ptr 0
		.amdhsa_user_sgpr_queue_ptr 0
		.amdhsa_user_sgpr_kernarg_segment_ptr 1
		.amdhsa_user_sgpr_dispatch_id 0
		.amdhsa_user_sgpr_kernarg_preload_length 0
		.amdhsa_user_sgpr_kernarg_preload_offset 0
		.amdhsa_user_sgpr_private_segment_size 0
		.amdhsa_uses_dynamic_stack 0
		.amdhsa_enable_private_segment 0
		.amdhsa_system_sgpr_workgroup_id_x 1
		.amdhsa_system_sgpr_workgroup_id_y 0
		.amdhsa_system_sgpr_workgroup_id_z 0
		.amdhsa_system_sgpr_workgroup_info 0
		.amdhsa_system_vgpr_workitem_id 0
		.amdhsa_next_free_vgpr 10
		.amdhsa_next_free_sgpr 12
		.amdhsa_accum_offset 12
		.amdhsa_reserve_vcc 1
		.amdhsa_float_round_mode_32 0
		.amdhsa_float_round_mode_16_64 0
		.amdhsa_float_denorm_mode_32 3
		.amdhsa_float_denorm_mode_16_64 3
		.amdhsa_dx10_clamp 1
		.amdhsa_ieee_mode 1
		.amdhsa_fp16_overflow 0
		.amdhsa_tg_split 0
		.amdhsa_exception_fp_ieee_invalid_op 0
		.amdhsa_exception_fp_denorm_src 0
		.amdhsa_exception_fp_ieee_div_zero 0
		.amdhsa_exception_fp_ieee_overflow 0
		.amdhsa_exception_fp_ieee_underflow 0
		.amdhsa_exception_fp_ieee_inexact 0
		.amdhsa_exception_int_div_zero 0
	.end_amdhsa_kernel
	.section	.text._ZN7rocprim6detail16transform_kernelINS0_24wrapped_transform_configINS_14default_configElEElPlS5_NS_8identityIlEEEEvT1_mT2_T3_,"axG",@progbits,_ZN7rocprim6detail16transform_kernelINS0_24wrapped_transform_configINS_14default_configElEElPlS5_NS_8identityIlEEEEvT1_mT2_T3_,comdat
.Lfunc_end129:
	.size	_ZN7rocprim6detail16transform_kernelINS0_24wrapped_transform_configINS_14default_configElEElPlS5_NS_8identityIlEEEEvT1_mT2_T3_, .Lfunc_end129-_ZN7rocprim6detail16transform_kernelINS0_24wrapped_transform_configINS_14default_configElEElPlS5_NS_8identityIlEEEEvT1_mT2_T3_
                                        ; -- End function
	.section	.AMDGPU.csdata,"",@progbits
; Kernel info:
; codeLenInByte = 300
; NumSgprs: 18
; NumVgprs: 10
; NumAgprs: 0
; TotalNumVgprs: 10
; ScratchSize: 0
; MemoryBound: 1
; FloatMode: 240
; IeeeMode: 1
; LDSByteSize: 0 bytes/workgroup (compile time only)
; SGPRBlocks: 2
; VGPRBlocks: 1
; NumSGPRsForWavesPerEU: 18
; NumVGPRsForWavesPerEU: 10
; AccumOffset: 12
; Occupancy: 8
; WaveLimiterHint : 1
; COMPUTE_PGM_RSRC2:SCRATCH_EN: 0
; COMPUTE_PGM_RSRC2:USER_SGPR: 2
; COMPUTE_PGM_RSRC2:TRAP_HANDLER: 0
; COMPUTE_PGM_RSRC2:TGID_X_EN: 1
; COMPUTE_PGM_RSRC2:TGID_Y_EN: 0
; COMPUTE_PGM_RSRC2:TGID_Z_EN: 0
; COMPUTE_PGM_RSRC2:TIDIG_COMP_CNT: 0
; COMPUTE_PGM_RSRC3_GFX90A:ACCUM_OFFSET: 2
; COMPUTE_PGM_RSRC3_GFX90A:TG_SPLIT: 0
	.section	.text._ZN7rocprim6detail18single_scan_kernelILb1ENS0_19wrapped_scan_configINS_14default_configElEEN6hipcub22TransformInputIteratorIiNS5_6CastOpIiEEPilEEPlNS5_3SumENS_12future_valueIlSB_EElEEvT1_mT4_T2_T3_,"axG",@progbits,_ZN7rocprim6detail18single_scan_kernelILb1ENS0_19wrapped_scan_configINS_14default_configElEEN6hipcub22TransformInputIteratorIiNS5_6CastOpIiEEPilEEPlNS5_3SumENS_12future_valueIlSB_EElEEvT1_mT4_T2_T3_,comdat
	.protected	_ZN7rocprim6detail18single_scan_kernelILb1ENS0_19wrapped_scan_configINS_14default_configElEEN6hipcub22TransformInputIteratorIiNS5_6CastOpIiEEPilEEPlNS5_3SumENS_12future_valueIlSB_EElEEvT1_mT4_T2_T3_ ; -- Begin function _ZN7rocprim6detail18single_scan_kernelILb1ENS0_19wrapped_scan_configINS_14default_configElEEN6hipcub22TransformInputIteratorIiNS5_6CastOpIiEEPilEEPlNS5_3SumENS_12future_valueIlSB_EElEEvT1_mT4_T2_T3_
	.globl	_ZN7rocprim6detail18single_scan_kernelILb1ENS0_19wrapped_scan_configINS_14default_configElEEN6hipcub22TransformInputIteratorIiNS5_6CastOpIiEEPilEEPlNS5_3SumENS_12future_valueIlSB_EElEEvT1_mT4_T2_T3_
	.p2align	8
	.type	_ZN7rocprim6detail18single_scan_kernelILb1ENS0_19wrapped_scan_configINS_14default_configElEEN6hipcub22TransformInputIteratorIiNS5_6CastOpIiEEPilEEPlNS5_3SumENS_12future_valueIlSB_EElEEvT1_mT4_T2_T3_,@function
_ZN7rocprim6detail18single_scan_kernelILb1ENS0_19wrapped_scan_configINS_14default_configElEEN6hipcub22TransformInputIteratorIiNS5_6CastOpIiEEPilEEPlNS5_3SumENS_12future_valueIlSB_EElEEvT1_mT4_T2_T3_: ; @_ZN7rocprim6detail18single_scan_kernelILb1ENS0_19wrapped_scan_configINS_14default_configElEEN6hipcub22TransformInputIteratorIiNS5_6CastOpIiEEPilEEPlNS5_3SumENS_12future_valueIlSB_EElEEvT1_mT4_T2_T3_
; %bb.0:
	s_load_dwordx2 s[2:3], s[0:1], 0x0
	s_load_dwordx4 s[68:71], s[0:1], 0x10
	v_mov_b32_e32 v35, 0
	v_lshlrev_b32_e32 v34, 2, v0
	s_waitcnt lgkmcnt(0)
	s_load_dword s36, s[2:3], 0x0
	v_lshl_add_u64 v[36:37], s[2:3], 0, v[34:35]
	v_cmp_gt_u32_e64 s[26:27], s68, v0
	s_waitcnt lgkmcnt(0)
	s_ashr_i32 s37, s36, 31
	s_mov_b32 s38, s36
	s_mov_b32 s40, s36
	;; [unrolled: 1-line block ×28, first 2 shown]
	v_mov_b64_e32 v[2:3], s[36:37]
	v_mov_b64_e32 v[4:5], s[38:39]
	;; [unrolled: 1-line block ×16, first 2 shown]
	s_and_saveexec_b64 s[2:3], s[26:27]
	s_cbranch_execz .LBB130_2
; %bb.1:
	global_load_dword v2, v[36:37], off
	v_mov_b32_e32 v4, s36
	v_mov_b32_e32 v5, s37
	;; [unrolled: 1-line block ×28, first 2 shown]
	s_waitcnt vmcnt(0)
	v_ashrrev_i32_e32 v3, 31, v2
.LBB130_2:
	s_or_b64 exec, exec, s[2:3]
	v_or_b32_e32 v1, 0x100, v0
	v_cmp_gt_u32_e64 s[2:3], s68, v1
	s_and_saveexec_b64 s[4:5], s[2:3]
	s_cbranch_execz .LBB130_4
; %bb.3:
	global_load_dword v4, v[36:37], off offset:1024
	s_waitcnt vmcnt(0)
	v_ashrrev_i32_e32 v5, 31, v4
.LBB130_4:
	s_or_b64 exec, exec, s[4:5]
	v_or_b32_e32 v1, 0x200, v0
	v_cmp_gt_u32_e64 s[4:5], s68, v1
	s_and_saveexec_b64 s[6:7], s[4:5]
	s_cbranch_execz .LBB130_6
; %bb.5:
	global_load_dword v6, v[36:37], off offset:2048
	s_waitcnt vmcnt(0)
	v_ashrrev_i32_e32 v7, 31, v6
.LBB130_6:
	;; [unrolled: 10-line block ×3, first 2 shown]
	s_or_b64 exec, exec, s[8:9]
	v_or_b32_e32 v1, 0x400, v0
	v_cmp_gt_u32_e64 s[8:9], s68, v1
	s_and_saveexec_b64 s[10:11], s[8:9]
	s_cbranch_execz .LBB130_10
; %bb.9:
	v_add_co_u32_e32 v10, vcc, 0x1000, v36
	s_nop 1
	v_addc_co_u32_e32 v11, vcc, 0, v37, vcc
	global_load_dword v10, v[10:11], off
	s_waitcnt vmcnt(0)
	v_ashrrev_i32_e32 v11, 31, v10
.LBB130_10:
	s_or_b64 exec, exec, s[10:11]
	v_or_b32_e32 v1, 0x500, v0
	v_cmp_gt_u32_e64 s[10:11], s68, v1
	s_and_saveexec_b64 s[12:13], s[10:11]
	s_cbranch_execz .LBB130_12
; %bb.11:
	v_add_co_u32_e32 v12, vcc, 0x1000, v36
	s_nop 1
	v_addc_co_u32_e32 v13, vcc, 0, v37, vcc
	global_load_dword v12, v[12:13], off offset:1024
	s_waitcnt vmcnt(0)
	v_ashrrev_i32_e32 v13, 31, v12
.LBB130_12:
	s_or_b64 exec, exec, s[12:13]
	v_or_b32_e32 v1, 0x600, v0
	v_cmp_gt_u32_e64 s[12:13], s68, v1
	s_and_saveexec_b64 s[14:15], s[12:13]
	s_cbranch_execz .LBB130_14
; %bb.13:
	v_add_co_u32_e32 v14, vcc, 0x1000, v36
	s_nop 1
	v_addc_co_u32_e32 v15, vcc, 0, v37, vcc
	global_load_dword v14, v[14:15], off offset:2048
	s_waitcnt vmcnt(0)
	v_ashrrev_i32_e32 v15, 31, v14
.LBB130_14:
	;; [unrolled: 13-line block ×3, first 2 shown]
	s_or_b64 exec, exec, s[16:17]
	v_or_b32_e32 v1, 0x800, v0
	v_cmp_gt_u32_e64 s[16:17], s68, v1
	s_and_saveexec_b64 s[18:19], s[16:17]
	s_cbranch_execz .LBB130_18
; %bb.17:
	v_add_co_u32_e32 v18, vcc, 0x2000, v36
	s_nop 1
	v_addc_co_u32_e32 v19, vcc, 0, v37, vcc
	global_load_dword v18, v[18:19], off
	s_waitcnt vmcnt(0)
	v_ashrrev_i32_e32 v19, 31, v18
.LBB130_18:
	s_or_b64 exec, exec, s[18:19]
	v_or_b32_e32 v1, 0x900, v0
	v_cmp_gt_u32_e64 s[18:19], s68, v1
	s_and_saveexec_b64 s[20:21], s[18:19]
	s_cbranch_execz .LBB130_20
; %bb.19:
	v_add_co_u32_e32 v20, vcc, 0x2000, v36
	s_nop 1
	v_addc_co_u32_e32 v21, vcc, 0, v37, vcc
	global_load_dword v20, v[20:21], off offset:1024
	s_waitcnt vmcnt(0)
	v_ashrrev_i32_e32 v21, 31, v20
.LBB130_20:
	s_or_b64 exec, exec, s[20:21]
	v_or_b32_e32 v1, 0xa00, v0
	v_cmp_gt_u32_e64 s[20:21], s68, v1
	s_and_saveexec_b64 s[22:23], s[20:21]
	s_cbranch_execz .LBB130_22
; %bb.21:
	v_add_co_u32_e32 v22, vcc, 0x2000, v36
	s_nop 1
	v_addc_co_u32_e32 v23, vcc, 0, v37, vcc
	global_load_dword v22, v[22:23], off offset:2048
	s_waitcnt vmcnt(0)
	v_ashrrev_i32_e32 v23, 31, v22
.LBB130_22:
	;; [unrolled: 13-line block ×3, first 2 shown]
	s_or_b64 exec, exec, s[24:25]
	v_or_b32_e32 v1, 0xc00, v0
	v_cmp_gt_u32_e64 s[24:25], s68, v1
	s_and_saveexec_b64 s[28:29], s[24:25]
	s_cbranch_execz .LBB130_26
; %bb.25:
	v_add_co_u32_e32 v26, vcc, 0x3000, v36
	s_nop 1
	v_addc_co_u32_e32 v27, vcc, 0, v37, vcc
	global_load_dword v26, v[26:27], off
	s_waitcnt vmcnt(0)
	v_ashrrev_i32_e32 v27, 31, v26
.LBB130_26:
	s_or_b64 exec, exec, s[28:29]
	v_or_b32_e32 v1, 0xd00, v0
	v_cmp_gt_u32_e64 s[28:29], s68, v1
	s_and_saveexec_b64 s[30:31], s[28:29]
	s_cbranch_execz .LBB130_28
; %bb.27:
	v_add_co_u32_e32 v28, vcc, 0x3000, v36
	s_nop 1
	v_addc_co_u32_e32 v29, vcc, 0, v37, vcc
	global_load_dword v28, v[28:29], off offset:1024
	s_waitcnt vmcnt(0)
	v_ashrrev_i32_e32 v29, 31, v28
.LBB130_28:
	s_or_b64 exec, exec, s[30:31]
	s_load_dwordx2 s[30:31], s[0:1], 0x20
	s_load_dwordx2 s[34:35], s[70:71], 0x0
	v_or_b32_e32 v1, 0xe00, v0
	v_cmp_gt_u32_e64 s[0:1], s68, v1
	s_and_saveexec_b64 s[36:37], s[0:1]
	s_cbranch_execz .LBB130_30
; %bb.29:
	v_add_co_u32_e32 v30, vcc, 0x3000, v36
	s_nop 1
	v_addc_co_u32_e32 v31, vcc, 0, v37, vcc
	global_load_dword v30, v[30:31], off offset:2048
	s_waitcnt vmcnt(0)
	v_ashrrev_i32_e32 v31, 31, v30
.LBB130_30:
	s_or_b64 exec, exec, s[36:37]
	v_lshlrev_b32_e32 v32, 3, v0
	s_movk_i32 s33, 0x70
	v_mad_u32_u24 v1, v0, s33, v32
	ds_write2st64_b64 v32, v[2:3], v[4:5] offset1:4
	ds_write2st64_b64 v32, v[6:7], v[8:9] offset0:8 offset1:12
	ds_write2st64_b64 v32, v[10:11], v[12:13] offset0:16 offset1:20
	ds_write2st64_b64 v32, v[14:15], v[16:17] offset0:24 offset1:28
	ds_write2st64_b64 v32, v[18:19], v[20:21] offset0:32 offset1:36
	ds_write2st64_b64 v32, v[22:23], v[24:25] offset0:40 offset1:44
	ds_write2st64_b64 v32, v[26:27], v[28:29] offset0:48 offset1:52
	ds_write_b64 v32, v[30:31] offset:28672
	s_waitcnt lgkmcnt(0)
	s_barrier
	ds_read2_b64 v[2:5], v1 offset1:1
	ds_read2_b64 v[6:9], v1 offset0:2 offset1:3
	ds_read2_b64 v[10:13], v1 offset0:4 offset1:5
	ds_read2_b64 v[14:17], v1 offset0:6 offset1:7
	ds_read2_b64 v[18:21], v1 offset0:8 offset1:9
	ds_read2_b64 v[22:25], v1 offset0:10 offset1:11
	ds_read2_b64 v[26:29], v1 offset0:12 offset1:13
	ds_read_b64 v[30:31], v1 offset:112
	s_waitcnt lgkmcnt(7)
	v_lshl_add_u64 v[36:37], v[4:5], 0, v[2:3]
	s_waitcnt lgkmcnt(6)
	v_lshl_add_u64 v[36:37], v[36:37], 0, v[6:7]
	v_lshl_add_u64 v[36:37], v[36:37], 0, v[8:9]
	s_waitcnt lgkmcnt(5)
	v_lshl_add_u64 v[36:37], v[36:37], 0, v[10:11]
	;; [unrolled: 3-line block ×6, first 2 shown]
	v_lshrrev_b32_e32 v1, 2, v0
	v_lshl_add_u64 v[36:37], v[36:37], 0, v[28:29]
	v_and_b32_e32 v1, 56, v1
	s_waitcnt lgkmcnt(0)
	v_lshl_add_u64 v[30:31], v[36:37], 0, v[30:31]
	v_add_u32_e32 v1, v32, v1
	v_cmp_gt_u32_e32 vcc, 64, v0
	s_barrier
	ds_write_b64 v1, v[30:31]
	s_waitcnt lgkmcnt(0)
	s_barrier
	s_and_saveexec_b64 s[36:37], vcc
	s_cbranch_execz .LBB130_32
; %bb.31:
	v_lshrrev_b32_e32 v1, 3, v0
	v_add_lshl_u32 v1, v1, v34, 3
	ds_read2_b64 v[34:37], v1 offset1:1
	ds_read2_b64 v[38:41], v1 offset0:2 offset1:3
	v_mbcnt_lo_u32_b32 v33, -1, 0
	v_mov_b32_e32 v42, 0
	v_mbcnt_hi_u32_b32 v33, -1, v33
	s_waitcnt lgkmcnt(1)
	v_lshl_add_u64 v[44:45], v[36:37], 0, v[34:35]
	s_waitcnt lgkmcnt(0)
	v_lshl_add_u64 v[44:45], v[44:45], 0, v[38:39]
	v_lshl_add_u64 v[44:45], v[44:45], 0, v[40:41]
	v_and_b32_e32 v50, 15, v33
	v_mov_b32_e32 v47, v42
	v_mov_b32_dpp v46, v44 row_shr:1 row_mask:0xf bank_mask:0xf
	v_mov_b32_dpp v43, v45 row_shr:1 row_mask:0xf bank_mask:0xf
	v_lshl_add_u64 v[46:47], v[44:45], 0, v[46:47]
	v_cmp_eq_u32_e32 vcc, 0, v50
	v_lshl_add_u64 v[48:49], v[42:43], 0, v[46:47]
	v_mov_b32_e32 v47, v42
	v_cndmask_b32_e32 v51, v46, v44, vcc
	v_cndmask_b32_e32 v45, v49, v45, vcc
	v_cndmask_b32_e32 v44, v48, v44, vcc
	v_mov_b32_dpp v46, v51 row_shr:2 row_mask:0xf bank_mask:0xf
	v_mov_b32_dpp v43, v45 row_shr:2 row_mask:0xf bank_mask:0xf
	v_lshl_add_u64 v[46:47], v[44:45], 0, v[46:47]
	v_cmp_lt_u32_e32 vcc, 1, v50
	v_lshl_add_u64 v[48:49], v[46:47], 0, v[42:43]
	v_mov_b32_e32 v47, v42
	v_cndmask_b32_e32 v51, v51, v46, vcc
	v_cndmask_b32_e32 v45, v45, v49, vcc
	v_cndmask_b32_e32 v44, v44, v48, vcc
	v_mov_b32_dpp v46, v51 row_shr:4 row_mask:0xf bank_mask:0xf
	v_mov_b32_dpp v43, v45 row_shr:4 row_mask:0xf bank_mask:0xf
	v_lshl_add_u64 v[46:47], v[44:45], 0, v[46:47]
	v_cmp_lt_u32_e32 vcc, 3, v50
	;; [unrolled: 9-line block ×3, first 2 shown]
	v_lshl_add_u64 v[48:49], v[46:47], 0, v[42:43]
	v_mov_b32_e32 v47, v42
	v_cndmask_b32_e32 v50, v51, v46, vcc
	v_cndmask_b32_e32 v45, v45, v49, vcc
	;; [unrolled: 1-line block ×3, first 2 shown]
	v_mov_b32_dpp v46, v50 row_bcast:15 row_mask:0xf bank_mask:0xf
	v_and_b32_e32 v51, 16, v33
	v_mov_b32_dpp v43, v45 row_bcast:15 row_mask:0xf bank_mask:0xf
	v_lshl_add_u64 v[46:47], v[44:45], 0, v[46:47]
	v_cmp_eq_u32_e32 vcc, 0, v51
	v_lshl_add_u64 v[48:49], v[46:47], 0, v[42:43]
	v_mov_b32_e32 v47, v42
	v_cndmask_b32_e32 v43, v46, v50, vcc
	v_cndmask_b32_e32 v45, v49, v45, vcc
	;; [unrolled: 1-line block ×3, first 2 shown]
	v_mov_b32_dpp v46, v43 row_bcast:31 row_mask:0xf bank_mask:0xf
	v_mov_b32_dpp v48, v45 row_bcast:31 row_mask:0xf bank_mask:0xf
	v_lshl_add_u64 v[46:47], v[44:45], 0, v[46:47]
	v_add_u32_e32 v44, v48, v47
	v_cmp_lt_u32_e32 vcc, 31, v33
	s_nop 1
	v_cndmask_b32_e32 v43, v43, v46, vcc
	v_cndmask_b32_e32 v45, v45, v44, vcc
	v_add_u32_e32 v44, -1, v33
	v_and_b32_e32 v46, 64, v33
	v_cmp_lt_i32_e32 vcc, v44, v46
	s_nop 1
	v_cndmask_b32_e32 v33, v44, v33, vcc
	v_lshlrev_b32_e32 v33, 2, v33
	ds_bpermute_b32 v44, v33, v43
	ds_bpermute_b32 v43, v33, v45
	v_mov_b32_e32 v45, v42
	v_cmp_eq_u32_e32 vcc, 0, v0
	s_waitcnt lgkmcnt(1)
	v_lshl_add_u64 v[34:35], v[34:35], 0, v[44:45]
	s_waitcnt lgkmcnt(0)
	v_lshl_add_u64 v[34:35], v[34:35], 0, v[42:43]
	v_cndmask_b32_e32 v31, v35, v31, vcc
	v_cndmask_b32_e32 v30, v34, v30, vcc
	v_lshl_add_u64 v[34:35], v[30:31], 0, v[36:37]
	ds_write2_b64 v1, v[30:31], v[34:35] offset1:1
	v_lshl_add_u64 v[30:31], v[34:35], 0, v[38:39]
	v_lshl_add_u64 v[34:35], v[30:31], 0, v[40:41]
	ds_write2_b64 v1, v[30:31], v[34:35] offset0:2 offset1:3
.LBB130_32:
	s_or_b64 exec, exec, s[36:37]
	v_mul_u32_u24_e32 v1, 0x70, v0
	v_cmp_ne_u32_e32 vcc, 0, v0
	v_mov_b64_e32 v[30:31], s[34:35]
	s_waitcnt lgkmcnt(0)
	s_barrier
	s_and_saveexec_b64 s[36:37], vcc
	s_cbranch_execz .LBB130_34
; %bb.33:
	v_add_u32_e32 v0, -1, v0
	v_lshrrev_b32_e32 v30, 5, v0
	v_add_lshl_u32 v0, v30, v0, 3
	ds_read_b64 v[30:31], v0
	s_waitcnt lgkmcnt(0)
	v_lshl_add_u64 v[30:31], v[30:31], 0, s[34:35]
.LBB130_34:
	s_or_b64 exec, exec, s[36:37]
	v_lshl_add_u64 v[2:3], v[30:31], 0, v[2:3]
	v_lshl_add_u64 v[4:5], v[2:3], 0, v[4:5]
	;; [unrolled: 1-line block ×13, first 2 shown]
	v_add_u32_e32 v0, v32, v1
	v_lshl_add_u64 v[28:29], v[26:27], 0, v[28:29]
	s_barrier
	ds_write2_b64 v0, v[30:31], v[2:3] offset1:1
	ds_write2_b64 v0, v[4:5], v[6:7] offset0:2 offset1:3
	ds_write2_b64 v0, v[8:9], v[10:11] offset0:4 offset1:5
	;; [unrolled: 1-line block ×6, first 2 shown]
	ds_write_b64 v0, v[28:29] offset:112
	s_waitcnt lgkmcnt(0)
	s_barrier
	ds_read2st64_b64 v[24:27], v32 offset0:4 offset1:8
	ds_read2st64_b64 v[20:23], v32 offset0:12 offset1:16
	;; [unrolled: 1-line block ×7, first 2 shown]
	v_mov_b32_e32 v33, 0
	v_lshl_add_u64 v[28:29], s[30:31], 0, v[32:33]
	s_and_saveexec_b64 s[30:31], s[26:27]
	s_cbranch_execnz .LBB130_50
; %bb.35:
	s_or_b64 exec, exec, s[30:31]
	s_and_saveexec_b64 s[26:27], s[2:3]
	s_cbranch_execnz .LBB130_51
.LBB130_36:
	s_or_b64 exec, exec, s[26:27]
	s_and_saveexec_b64 s[2:3], s[4:5]
	s_cbranch_execnz .LBB130_52
.LBB130_37:
	s_or_b64 exec, exec, s[2:3]
	s_and_saveexec_b64 s[2:3], s[6:7]
	s_cbranch_execnz .LBB130_53
.LBB130_38:
	s_or_b64 exec, exec, s[2:3]
	s_and_saveexec_b64 s[2:3], s[8:9]
	s_cbranch_execnz .LBB130_54
.LBB130_39:
	s_or_b64 exec, exec, s[2:3]
	s_and_saveexec_b64 s[2:3], s[10:11]
	s_cbranch_execnz .LBB130_55
.LBB130_40:
	s_or_b64 exec, exec, s[2:3]
	s_and_saveexec_b64 s[2:3], s[12:13]
	s_cbranch_execnz .LBB130_56
.LBB130_41:
	s_or_b64 exec, exec, s[2:3]
	s_and_saveexec_b64 s[2:3], s[14:15]
	s_cbranch_execnz .LBB130_57
.LBB130_42:
	s_or_b64 exec, exec, s[2:3]
	s_and_saveexec_b64 s[2:3], s[16:17]
	s_cbranch_execnz .LBB130_58
.LBB130_43:
	s_or_b64 exec, exec, s[2:3]
	s_and_saveexec_b64 s[2:3], s[18:19]
	s_cbranch_execnz .LBB130_59
.LBB130_44:
	s_or_b64 exec, exec, s[2:3]
	s_and_saveexec_b64 s[2:3], s[20:21]
	s_cbranch_execnz .LBB130_60
.LBB130_45:
	s_or_b64 exec, exec, s[2:3]
	s_and_saveexec_b64 s[2:3], s[22:23]
	s_cbranch_execnz .LBB130_61
.LBB130_46:
	s_or_b64 exec, exec, s[2:3]
	s_and_saveexec_b64 s[2:3], s[24:25]
	s_cbranch_execnz .LBB130_62
.LBB130_47:
	s_or_b64 exec, exec, s[2:3]
	s_and_saveexec_b64 s[2:3], s[28:29]
	s_cbranch_execnz .LBB130_63
.LBB130_48:
	s_or_b64 exec, exec, s[2:3]
	s_and_saveexec_b64 s[2:3], s[0:1]
	s_cbranch_execnz .LBB130_64
.LBB130_49:
	s_endpgm
.LBB130_50:
	ds_read_b64 v[30:31], v32
	s_waitcnt lgkmcnt(0)
	global_store_dwordx2 v[28:29], v[30:31], off
	s_or_b64 exec, exec, s[30:31]
	s_and_saveexec_b64 s[26:27], s[2:3]
	s_cbranch_execz .LBB130_36
.LBB130_51:
	s_waitcnt lgkmcnt(6)
	global_store_dwordx2 v[28:29], v[24:25], off offset:2048
	s_or_b64 exec, exec, s[26:27]
	s_and_saveexec_b64 s[2:3], s[4:5]
	s_cbranch_execz .LBB130_37
.LBB130_52:
	s_waitcnt lgkmcnt(6)
	v_add_co_u32_e32 v24, vcc, 0x1000, v28
	s_nop 1
	v_addc_co_u32_e32 v25, vcc, 0, v29, vcc
	global_store_dwordx2 v[24:25], v[26:27], off
	s_or_b64 exec, exec, s[2:3]
	s_and_saveexec_b64 s[2:3], s[6:7]
	s_cbranch_execz .LBB130_38
.LBB130_53:
	s_waitcnt lgkmcnt(6)
	v_add_co_u32_e32 v24, vcc, 0x1000, v28
	s_nop 1
	v_addc_co_u32_e32 v25, vcc, 0, v29, vcc
	s_waitcnt lgkmcnt(5)
	global_store_dwordx2 v[24:25], v[20:21], off offset:2048
	s_or_b64 exec, exec, s[2:3]
	s_and_saveexec_b64 s[2:3], s[8:9]
	s_cbranch_execz .LBB130_39
.LBB130_54:
	s_waitcnt lgkmcnt(5)
	v_add_co_u32_e32 v20, vcc, 0x2000, v28
	s_nop 1
	v_addc_co_u32_e32 v21, vcc, 0, v29, vcc
	global_store_dwordx2 v[20:21], v[22:23], off
	s_or_b64 exec, exec, s[2:3]
	s_and_saveexec_b64 s[2:3], s[10:11]
	s_cbranch_execz .LBB130_40
.LBB130_55:
	s_waitcnt lgkmcnt(5)
	v_add_co_u32_e32 v20, vcc, 0x2000, v28
	s_nop 1
	v_addc_co_u32_e32 v21, vcc, 0, v29, vcc
	s_waitcnt lgkmcnt(4)
	global_store_dwordx2 v[20:21], v[16:17], off offset:2048
	s_or_b64 exec, exec, s[2:3]
	s_and_saveexec_b64 s[2:3], s[12:13]
	s_cbranch_execz .LBB130_41
.LBB130_56:
	s_waitcnt lgkmcnt(4)
	v_add_co_u32_e32 v16, vcc, 0x3000, v28
	s_nop 1
	v_addc_co_u32_e32 v17, vcc, 0, v29, vcc
	global_store_dwordx2 v[16:17], v[18:19], off
	s_or_b64 exec, exec, s[2:3]
	s_and_saveexec_b64 s[2:3], s[14:15]
	s_cbranch_execz .LBB130_42
.LBB130_57:
	s_waitcnt lgkmcnt(4)
	v_add_co_u32_e32 v16, vcc, 0x3000, v28
	s_nop 1
	v_addc_co_u32_e32 v17, vcc, 0, v29, vcc
	s_waitcnt lgkmcnt(3)
	global_store_dwordx2 v[16:17], v[12:13], off offset:2048
	s_or_b64 exec, exec, s[2:3]
	s_and_saveexec_b64 s[2:3], s[16:17]
	s_cbranch_execz .LBB130_43
.LBB130_58:
	s_waitcnt lgkmcnt(3)
	v_add_co_u32_e32 v12, vcc, 0x4000, v28
	s_nop 1
	v_addc_co_u32_e32 v13, vcc, 0, v29, vcc
	global_store_dwordx2 v[12:13], v[14:15], off
	s_or_b64 exec, exec, s[2:3]
	s_and_saveexec_b64 s[2:3], s[18:19]
	s_cbranch_execz .LBB130_44
.LBB130_59:
	s_waitcnt lgkmcnt(3)
	v_add_co_u32_e32 v12, vcc, 0x4000, v28
	s_nop 1
	v_addc_co_u32_e32 v13, vcc, 0, v29, vcc
	s_waitcnt lgkmcnt(2)
	global_store_dwordx2 v[12:13], v[8:9], off offset:2048
	s_or_b64 exec, exec, s[2:3]
	s_and_saveexec_b64 s[2:3], s[20:21]
	s_cbranch_execz .LBB130_45
.LBB130_60:
	s_waitcnt lgkmcnt(2)
	v_add_co_u32_e32 v8, vcc, 0x5000, v28
	s_nop 1
	v_addc_co_u32_e32 v9, vcc, 0, v29, vcc
	global_store_dwordx2 v[8:9], v[10:11], off
	s_or_b64 exec, exec, s[2:3]
	s_and_saveexec_b64 s[2:3], s[22:23]
	s_cbranch_execz .LBB130_46
.LBB130_61:
	s_waitcnt lgkmcnt(2)
	v_add_co_u32_e32 v8, vcc, 0x5000, v28
	s_nop 1
	v_addc_co_u32_e32 v9, vcc, 0, v29, vcc
	s_waitcnt lgkmcnt(1)
	global_store_dwordx2 v[8:9], v[4:5], off offset:2048
	s_or_b64 exec, exec, s[2:3]
	s_and_saveexec_b64 s[2:3], s[24:25]
	s_cbranch_execz .LBB130_47
.LBB130_62:
	s_waitcnt lgkmcnt(1)
	v_add_co_u32_e32 v4, vcc, 0x6000, v28
	s_nop 1
	v_addc_co_u32_e32 v5, vcc, 0, v29, vcc
	global_store_dwordx2 v[4:5], v[6:7], off
	s_or_b64 exec, exec, s[2:3]
	s_and_saveexec_b64 s[2:3], s[28:29]
	s_cbranch_execz .LBB130_48
.LBB130_63:
	s_waitcnt lgkmcnt(1)
	v_add_co_u32_e32 v4, vcc, 0x6000, v28
	s_nop 1
	v_addc_co_u32_e32 v5, vcc, 0, v29, vcc
	s_waitcnt lgkmcnt(0)
	global_store_dwordx2 v[4:5], v[0:1], off offset:2048
	s_or_b64 exec, exec, s[2:3]
	s_and_saveexec_b64 s[2:3], s[0:1]
	s_cbranch_execz .LBB130_49
.LBB130_64:
	s_waitcnt lgkmcnt(0)
	v_add_co_u32_e32 v0, vcc, 0x7000, v28
	s_nop 1
	v_addc_co_u32_e32 v1, vcc, 0, v29, vcc
	global_store_dwordx2 v[0:1], v[2:3], off
	s_endpgm
	.section	.rodata,"a",@progbits
	.p2align	6, 0x0
	.amdhsa_kernel _ZN7rocprim6detail18single_scan_kernelILb1ENS0_19wrapped_scan_configINS_14default_configElEEN6hipcub22TransformInputIteratorIiNS5_6CastOpIiEEPilEEPlNS5_3SumENS_12future_valueIlSB_EElEEvT1_mT4_T2_T3_
		.amdhsa_group_segment_fixed_size 30720
		.amdhsa_private_segment_fixed_size 0
		.amdhsa_kernarg_size 44
		.amdhsa_user_sgpr_count 2
		.amdhsa_user_sgpr_dispatch_ptr 0
		.amdhsa_user_sgpr_queue_ptr 0
		.amdhsa_user_sgpr_kernarg_segment_ptr 1
		.amdhsa_user_sgpr_dispatch_id 0
		.amdhsa_user_sgpr_kernarg_preload_length 0
		.amdhsa_user_sgpr_kernarg_preload_offset 0
		.amdhsa_user_sgpr_private_segment_size 0
		.amdhsa_uses_dynamic_stack 0
		.amdhsa_enable_private_segment 0
		.amdhsa_system_sgpr_workgroup_id_x 1
		.amdhsa_system_sgpr_workgroup_id_y 0
		.amdhsa_system_sgpr_workgroup_id_z 0
		.amdhsa_system_sgpr_workgroup_info 0
		.amdhsa_system_vgpr_workitem_id 0
		.amdhsa_next_free_vgpr 52
		.amdhsa_next_free_sgpr 72
		.amdhsa_accum_offset 52
		.amdhsa_reserve_vcc 1
		.amdhsa_float_round_mode_32 0
		.amdhsa_float_round_mode_16_64 0
		.amdhsa_float_denorm_mode_32 3
		.amdhsa_float_denorm_mode_16_64 3
		.amdhsa_dx10_clamp 1
		.amdhsa_ieee_mode 1
		.amdhsa_fp16_overflow 0
		.amdhsa_tg_split 0
		.amdhsa_exception_fp_ieee_invalid_op 0
		.amdhsa_exception_fp_denorm_src 0
		.amdhsa_exception_fp_ieee_div_zero 0
		.amdhsa_exception_fp_ieee_overflow 0
		.amdhsa_exception_fp_ieee_underflow 0
		.amdhsa_exception_fp_ieee_inexact 0
		.amdhsa_exception_int_div_zero 0
	.end_amdhsa_kernel
	.section	.text._ZN7rocprim6detail18single_scan_kernelILb1ENS0_19wrapped_scan_configINS_14default_configElEEN6hipcub22TransformInputIteratorIiNS5_6CastOpIiEEPilEEPlNS5_3SumENS_12future_valueIlSB_EElEEvT1_mT4_T2_T3_,"axG",@progbits,_ZN7rocprim6detail18single_scan_kernelILb1ENS0_19wrapped_scan_configINS_14default_configElEEN6hipcub22TransformInputIteratorIiNS5_6CastOpIiEEPilEEPlNS5_3SumENS_12future_valueIlSB_EElEEvT1_mT4_T2_T3_,comdat
.Lfunc_end130:
	.size	_ZN7rocprim6detail18single_scan_kernelILb1ENS0_19wrapped_scan_configINS_14default_configElEEN6hipcub22TransformInputIteratorIiNS5_6CastOpIiEEPilEEPlNS5_3SumENS_12future_valueIlSB_EElEEvT1_mT4_T2_T3_, .Lfunc_end130-_ZN7rocprim6detail18single_scan_kernelILb1ENS0_19wrapped_scan_configINS_14default_configElEEN6hipcub22TransformInputIteratorIiNS5_6CastOpIiEEPilEEPlNS5_3SumENS_12future_valueIlSB_EElEEvT1_mT4_T2_T3_
                                        ; -- End function
	.section	.AMDGPU.csdata,"",@progbits
; Kernel info:
; codeLenInByte = 3148
; NumSgprs: 78
; NumVgprs: 52
; NumAgprs: 0
; TotalNumVgprs: 52
; ScratchSize: 0
; MemoryBound: 0
; FloatMode: 240
; IeeeMode: 1
; LDSByteSize: 30720 bytes/workgroup (compile time only)
; SGPRBlocks: 9
; VGPRBlocks: 6
; NumSGPRsForWavesPerEU: 78
; NumVGPRsForWavesPerEU: 52
; AccumOffset: 52
; Occupancy: 2
; WaveLimiterHint : 0
; COMPUTE_PGM_RSRC2:SCRATCH_EN: 0
; COMPUTE_PGM_RSRC2:USER_SGPR: 2
; COMPUTE_PGM_RSRC2:TRAP_HANDLER: 0
; COMPUTE_PGM_RSRC2:TGID_X_EN: 1
; COMPUTE_PGM_RSRC2:TGID_Y_EN: 0
; COMPUTE_PGM_RSRC2:TGID_Z_EN: 0
; COMPUTE_PGM_RSRC2:TIDIG_COMP_CNT: 0
; COMPUTE_PGM_RSRC3_GFX90A:ACCUM_OFFSET: 12
; COMPUTE_PGM_RSRC3_GFX90A:TG_SPLIT: 0
	.section	.text._ZL18fill_initial_valueIlEvPT_S0_,"axG",@progbits,_ZL18fill_initial_valueIlEvPT_S0_,comdat
	.globl	_ZL18fill_initial_valueIlEvPT_S0_ ; -- Begin function _ZL18fill_initial_valueIlEvPT_S0_
	.p2align	8
	.type	_ZL18fill_initial_valueIlEvPT_S0_,@function
_ZL18fill_initial_valueIlEvPT_S0_:      ; @_ZL18fill_initial_valueIlEvPT_S0_
; %bb.0:
	s_load_dwordx4 s[0:3], s[0:1], 0x0
	v_mov_b32_e32 v2, 0
	s_waitcnt lgkmcnt(0)
	v_mov_b32_e32 v0, s2
	v_mov_b32_e32 v1, s3
	global_store_dwordx2 v2, v[0:1], s[0:1]
	s_endpgm
	.section	.rodata,"a",@progbits
	.p2align	6, 0x0
	.amdhsa_kernel _ZL18fill_initial_valueIlEvPT_S0_
		.amdhsa_group_segment_fixed_size 0
		.amdhsa_private_segment_fixed_size 0
		.amdhsa_kernarg_size 16
		.amdhsa_user_sgpr_count 2
		.amdhsa_user_sgpr_dispatch_ptr 0
		.amdhsa_user_sgpr_queue_ptr 0
		.amdhsa_user_sgpr_kernarg_segment_ptr 1
		.amdhsa_user_sgpr_dispatch_id 0
		.amdhsa_user_sgpr_kernarg_preload_length 0
		.amdhsa_user_sgpr_kernarg_preload_offset 0
		.amdhsa_user_sgpr_private_segment_size 0
		.amdhsa_uses_dynamic_stack 0
		.amdhsa_enable_private_segment 0
		.amdhsa_system_sgpr_workgroup_id_x 1
		.amdhsa_system_sgpr_workgroup_id_y 0
		.amdhsa_system_sgpr_workgroup_id_z 0
		.amdhsa_system_sgpr_workgroup_info 0
		.amdhsa_system_vgpr_workitem_id 0
		.amdhsa_next_free_vgpr 3
		.amdhsa_next_free_sgpr 4
		.amdhsa_accum_offset 4
		.amdhsa_reserve_vcc 0
		.amdhsa_float_round_mode_32 0
		.amdhsa_float_round_mode_16_64 0
		.amdhsa_float_denorm_mode_32 3
		.amdhsa_float_denorm_mode_16_64 3
		.amdhsa_dx10_clamp 1
		.amdhsa_ieee_mode 1
		.amdhsa_fp16_overflow 0
		.amdhsa_tg_split 0
		.amdhsa_exception_fp_ieee_invalid_op 0
		.amdhsa_exception_fp_denorm_src 0
		.amdhsa_exception_fp_ieee_div_zero 0
		.amdhsa_exception_fp_ieee_overflow 0
		.amdhsa_exception_fp_ieee_underflow 0
		.amdhsa_exception_fp_ieee_inexact 0
		.amdhsa_exception_int_div_zero 0
	.end_amdhsa_kernel
	.section	.text._ZL18fill_initial_valueIlEvPT_S0_,"axG",@progbits,_ZL18fill_initial_valueIlEvPT_S0_,comdat
.Lfunc_end131:
	.size	_ZL18fill_initial_valueIlEvPT_S0_, .Lfunc_end131-_ZL18fill_initial_valueIlEvPT_S0_
                                        ; -- End function
	.section	.AMDGPU.csdata,"",@progbits
; Kernel info:
; codeLenInByte = 36
; NumSgprs: 10
; NumVgprs: 3
; NumAgprs: 0
; TotalNumVgprs: 3
; ScratchSize: 0
; MemoryBound: 0
; FloatMode: 240
; IeeeMode: 1
; LDSByteSize: 0 bytes/workgroup (compile time only)
; SGPRBlocks: 1
; VGPRBlocks: 0
; NumSGPRsForWavesPerEU: 10
; NumVGPRsForWavesPerEU: 3
; AccumOffset: 4
; Occupancy: 8
; WaveLimiterHint : 0
; COMPUTE_PGM_RSRC2:SCRATCH_EN: 0
; COMPUTE_PGM_RSRC2:USER_SGPR: 2
; COMPUTE_PGM_RSRC2:TRAP_HANDLER: 0
; COMPUTE_PGM_RSRC2:TGID_X_EN: 1
; COMPUTE_PGM_RSRC2:TGID_Y_EN: 0
; COMPUTE_PGM_RSRC2:TGID_Z_EN: 0
; COMPUTE_PGM_RSRC2:TIDIG_COMP_CNT: 0
; COMPUTE_PGM_RSRC3_GFX90A:ACCUM_OFFSET: 0
; COMPUTE_PGM_RSRC3_GFX90A:TG_SPLIT: 0
	.section	.text._ZN7rocprim6detail20lookback_scan_kernelILNS0_25lookback_scan_determinismE0ELb1ENS0_19wrapped_scan_configINS_14default_configE6__halfEEN6hipcub22TransformInputIteratorIS5_NS7_6CastOpIS5_EEPS5_lEESB_NS7_3MaxENS_12future_valueIS5_SB_EES5_NS0_19lookback_scan_stateIS5_Lb1ELb1EEEEEvT2_T3_mT5_T4_T7_jPT6_SO_bb,"axG",@progbits,_ZN7rocprim6detail20lookback_scan_kernelILNS0_25lookback_scan_determinismE0ELb1ENS0_19wrapped_scan_configINS_14default_configE6__halfEEN6hipcub22TransformInputIteratorIS5_NS7_6CastOpIS5_EEPS5_lEESB_NS7_3MaxENS_12future_valueIS5_SB_EES5_NS0_19lookback_scan_stateIS5_Lb1ELb1EEEEEvT2_T3_mT5_T4_T7_jPT6_SO_bb,comdat
	.protected	_ZN7rocprim6detail20lookback_scan_kernelILNS0_25lookback_scan_determinismE0ELb1ENS0_19wrapped_scan_configINS_14default_configE6__halfEEN6hipcub22TransformInputIteratorIS5_NS7_6CastOpIS5_EEPS5_lEESB_NS7_3MaxENS_12future_valueIS5_SB_EES5_NS0_19lookback_scan_stateIS5_Lb1ELb1EEEEEvT2_T3_mT5_T4_T7_jPT6_SO_bb ; -- Begin function _ZN7rocprim6detail20lookback_scan_kernelILNS0_25lookback_scan_determinismE0ELb1ENS0_19wrapped_scan_configINS_14default_configE6__halfEEN6hipcub22TransformInputIteratorIS5_NS7_6CastOpIS5_EEPS5_lEESB_NS7_3MaxENS_12future_valueIS5_SB_EES5_NS0_19lookback_scan_stateIS5_Lb1ELb1EEEEEvT2_T3_mT5_T4_T7_jPT6_SO_bb
	.globl	_ZN7rocprim6detail20lookback_scan_kernelILNS0_25lookback_scan_determinismE0ELb1ENS0_19wrapped_scan_configINS_14default_configE6__halfEEN6hipcub22TransformInputIteratorIS5_NS7_6CastOpIS5_EEPS5_lEESB_NS7_3MaxENS_12future_valueIS5_SB_EES5_NS0_19lookback_scan_stateIS5_Lb1ELb1EEEEEvT2_T3_mT5_T4_T7_jPT6_SO_bb
	.p2align	8
	.type	_ZN7rocprim6detail20lookback_scan_kernelILNS0_25lookback_scan_determinismE0ELb1ENS0_19wrapped_scan_configINS_14default_configE6__halfEEN6hipcub22TransformInputIteratorIS5_NS7_6CastOpIS5_EEPS5_lEESB_NS7_3MaxENS_12future_valueIS5_SB_EES5_NS0_19lookback_scan_stateIS5_Lb1ELb1EEEEEvT2_T3_mT5_T4_T7_jPT6_SO_bb,@function
_ZN7rocprim6detail20lookback_scan_kernelILNS0_25lookback_scan_determinismE0ELb1ENS0_19wrapped_scan_configINS_14default_configE6__halfEEN6hipcub22TransformInputIteratorIS5_NS7_6CastOpIS5_EEPS5_lEESB_NS7_3MaxENS_12future_valueIS5_SB_EES5_NS0_19lookback_scan_stateIS5_Lb1ELb1EEEEEvT2_T3_mT5_T4_T7_jPT6_SO_bb: ; @_ZN7rocprim6detail20lookback_scan_kernelILNS0_25lookback_scan_determinismE0ELb1ENS0_19wrapped_scan_configINS_14default_configE6__halfEEN6hipcub22TransformInputIteratorIS5_NS7_6CastOpIS5_EEPS5_lEESB_NS7_3MaxENS_12future_valueIS5_SB_EES5_NS0_19lookback_scan_stateIS5_Lb1ELb1EEEEEvT2_T3_mT5_T4_T7_jPT6_SO_bb
; %bb.0:
	s_endpgm
	.section	.rodata,"a",@progbits
	.p2align	6, 0x0
	.amdhsa_kernel _ZN7rocprim6detail20lookback_scan_kernelILNS0_25lookback_scan_determinismE0ELb1ENS0_19wrapped_scan_configINS_14default_configE6__halfEEN6hipcub22TransformInputIteratorIS5_NS7_6CastOpIS5_EEPS5_lEESB_NS7_3MaxENS_12future_valueIS5_SB_EES5_NS0_19lookback_scan_stateIS5_Lb1ELb1EEEEEvT2_T3_mT5_T4_T7_jPT6_SO_bb
		.amdhsa_group_segment_fixed_size 0
		.amdhsa_private_segment_fixed_size 0
		.amdhsa_kernarg_size 84
		.amdhsa_user_sgpr_count 2
		.amdhsa_user_sgpr_dispatch_ptr 0
		.amdhsa_user_sgpr_queue_ptr 0
		.amdhsa_user_sgpr_kernarg_segment_ptr 1
		.amdhsa_user_sgpr_dispatch_id 0
		.amdhsa_user_sgpr_kernarg_preload_length 0
		.amdhsa_user_sgpr_kernarg_preload_offset 0
		.amdhsa_user_sgpr_private_segment_size 0
		.amdhsa_uses_dynamic_stack 0
		.amdhsa_enable_private_segment 0
		.amdhsa_system_sgpr_workgroup_id_x 1
		.amdhsa_system_sgpr_workgroup_id_y 0
		.amdhsa_system_sgpr_workgroup_id_z 0
		.amdhsa_system_sgpr_workgroup_info 0
		.amdhsa_system_vgpr_workitem_id 0
		.amdhsa_next_free_vgpr 1
		.amdhsa_next_free_sgpr 0
		.amdhsa_accum_offset 4
		.amdhsa_reserve_vcc 0
		.amdhsa_float_round_mode_32 0
		.amdhsa_float_round_mode_16_64 0
		.amdhsa_float_denorm_mode_32 3
		.amdhsa_float_denorm_mode_16_64 3
		.amdhsa_dx10_clamp 1
		.amdhsa_ieee_mode 1
		.amdhsa_fp16_overflow 0
		.amdhsa_tg_split 0
		.amdhsa_exception_fp_ieee_invalid_op 0
		.amdhsa_exception_fp_denorm_src 0
		.amdhsa_exception_fp_ieee_div_zero 0
		.amdhsa_exception_fp_ieee_overflow 0
		.amdhsa_exception_fp_ieee_underflow 0
		.amdhsa_exception_fp_ieee_inexact 0
		.amdhsa_exception_int_div_zero 0
	.end_amdhsa_kernel
	.section	.text._ZN7rocprim6detail20lookback_scan_kernelILNS0_25lookback_scan_determinismE0ELb1ENS0_19wrapped_scan_configINS_14default_configE6__halfEEN6hipcub22TransformInputIteratorIS5_NS7_6CastOpIS5_EEPS5_lEESB_NS7_3MaxENS_12future_valueIS5_SB_EES5_NS0_19lookback_scan_stateIS5_Lb1ELb1EEEEEvT2_T3_mT5_T4_T7_jPT6_SO_bb,"axG",@progbits,_ZN7rocprim6detail20lookback_scan_kernelILNS0_25lookback_scan_determinismE0ELb1ENS0_19wrapped_scan_configINS_14default_configE6__halfEEN6hipcub22TransformInputIteratorIS5_NS7_6CastOpIS5_EEPS5_lEESB_NS7_3MaxENS_12future_valueIS5_SB_EES5_NS0_19lookback_scan_stateIS5_Lb1ELb1EEEEEvT2_T3_mT5_T4_T7_jPT6_SO_bb,comdat
.Lfunc_end132:
	.size	_ZN7rocprim6detail20lookback_scan_kernelILNS0_25lookback_scan_determinismE0ELb1ENS0_19wrapped_scan_configINS_14default_configE6__halfEEN6hipcub22TransformInputIteratorIS5_NS7_6CastOpIS5_EEPS5_lEESB_NS7_3MaxENS_12future_valueIS5_SB_EES5_NS0_19lookback_scan_stateIS5_Lb1ELb1EEEEEvT2_T3_mT5_T4_T7_jPT6_SO_bb, .Lfunc_end132-_ZN7rocprim6detail20lookback_scan_kernelILNS0_25lookback_scan_determinismE0ELb1ENS0_19wrapped_scan_configINS_14default_configE6__halfEEN6hipcub22TransformInputIteratorIS5_NS7_6CastOpIS5_EEPS5_lEESB_NS7_3MaxENS_12future_valueIS5_SB_EES5_NS0_19lookback_scan_stateIS5_Lb1ELb1EEEEEvT2_T3_mT5_T4_T7_jPT6_SO_bb
                                        ; -- End function
	.section	.AMDGPU.csdata,"",@progbits
; Kernel info:
; codeLenInByte = 4
; NumSgprs: 6
; NumVgprs: 0
; NumAgprs: 0
; TotalNumVgprs: 0
; ScratchSize: 0
; MemoryBound: 0
; FloatMode: 240
; IeeeMode: 1
; LDSByteSize: 0 bytes/workgroup (compile time only)
; SGPRBlocks: 0
; VGPRBlocks: 0
; NumSGPRsForWavesPerEU: 6
; NumVGPRsForWavesPerEU: 1
; AccumOffset: 4
; Occupancy: 8
; WaveLimiterHint : 0
; COMPUTE_PGM_RSRC2:SCRATCH_EN: 0
; COMPUTE_PGM_RSRC2:USER_SGPR: 2
; COMPUTE_PGM_RSRC2:TRAP_HANDLER: 0
; COMPUTE_PGM_RSRC2:TGID_X_EN: 1
; COMPUTE_PGM_RSRC2:TGID_Y_EN: 0
; COMPUTE_PGM_RSRC2:TGID_Z_EN: 0
; COMPUTE_PGM_RSRC2:TIDIG_COMP_CNT: 0
; COMPUTE_PGM_RSRC3_GFX90A:ACCUM_OFFSET: 0
; COMPUTE_PGM_RSRC3_GFX90A:TG_SPLIT: 0
	.section	.text._ZN7rocprim6detail20lookback_scan_kernelILNS0_25lookback_scan_determinismE0ELb1ENS0_19wrapped_scan_configINS_14default_configE6__halfEEN6hipcub22TransformInputIteratorIS5_NS7_6CastOpIS5_EEPS5_lEESB_NS7_3MaxENS_12future_valueIS5_SB_EES5_NS0_19lookback_scan_stateIS5_Lb0ELb1EEEEEvT2_T3_mT5_T4_T7_jPT6_SO_bb,"axG",@progbits,_ZN7rocprim6detail20lookback_scan_kernelILNS0_25lookback_scan_determinismE0ELb1ENS0_19wrapped_scan_configINS_14default_configE6__halfEEN6hipcub22TransformInputIteratorIS5_NS7_6CastOpIS5_EEPS5_lEESB_NS7_3MaxENS_12future_valueIS5_SB_EES5_NS0_19lookback_scan_stateIS5_Lb0ELb1EEEEEvT2_T3_mT5_T4_T7_jPT6_SO_bb,comdat
	.protected	_ZN7rocprim6detail20lookback_scan_kernelILNS0_25lookback_scan_determinismE0ELb1ENS0_19wrapped_scan_configINS_14default_configE6__halfEEN6hipcub22TransformInputIteratorIS5_NS7_6CastOpIS5_EEPS5_lEESB_NS7_3MaxENS_12future_valueIS5_SB_EES5_NS0_19lookback_scan_stateIS5_Lb0ELb1EEEEEvT2_T3_mT5_T4_T7_jPT6_SO_bb ; -- Begin function _ZN7rocprim6detail20lookback_scan_kernelILNS0_25lookback_scan_determinismE0ELb1ENS0_19wrapped_scan_configINS_14default_configE6__halfEEN6hipcub22TransformInputIteratorIS5_NS7_6CastOpIS5_EEPS5_lEESB_NS7_3MaxENS_12future_valueIS5_SB_EES5_NS0_19lookback_scan_stateIS5_Lb0ELb1EEEEEvT2_T3_mT5_T4_T7_jPT6_SO_bb
	.globl	_ZN7rocprim6detail20lookback_scan_kernelILNS0_25lookback_scan_determinismE0ELb1ENS0_19wrapped_scan_configINS_14default_configE6__halfEEN6hipcub22TransformInputIteratorIS5_NS7_6CastOpIS5_EEPS5_lEESB_NS7_3MaxENS_12future_valueIS5_SB_EES5_NS0_19lookback_scan_stateIS5_Lb0ELb1EEEEEvT2_T3_mT5_T4_T7_jPT6_SO_bb
	.p2align	8
	.type	_ZN7rocprim6detail20lookback_scan_kernelILNS0_25lookback_scan_determinismE0ELb1ENS0_19wrapped_scan_configINS_14default_configE6__halfEEN6hipcub22TransformInputIteratorIS5_NS7_6CastOpIS5_EEPS5_lEESB_NS7_3MaxENS_12future_valueIS5_SB_EES5_NS0_19lookback_scan_stateIS5_Lb0ELb1EEEEEvT2_T3_mT5_T4_T7_jPT6_SO_bb,@function
_ZN7rocprim6detail20lookback_scan_kernelILNS0_25lookback_scan_determinismE0ELb1ENS0_19wrapped_scan_configINS_14default_configE6__halfEEN6hipcub22TransformInputIteratorIS5_NS7_6CastOpIS5_EEPS5_lEESB_NS7_3MaxENS_12future_valueIS5_SB_EES5_NS0_19lookback_scan_stateIS5_Lb0ELb1EEEEEvT2_T3_mT5_T4_T7_jPT6_SO_bb: ; @_ZN7rocprim6detail20lookback_scan_kernelILNS0_25lookback_scan_determinismE0ELb1ENS0_19wrapped_scan_configINS_14default_configE6__halfEEN6hipcub22TransformInputIteratorIS5_NS7_6CastOpIS5_EEPS5_lEESB_NS7_3MaxENS_12future_valueIS5_SB_EES5_NS0_19lookback_scan_stateIS5_Lb0ELb1EEEEEvT2_T3_mT5_T4_T7_jPT6_SO_bb
; %bb.0:
	s_load_dwordx2 s[4:5], s[0:1], 0x20
	s_load_dword s3, s[0:1], 0x38
	v_mov_b32_e32 v15, 0
	v_lshlrev_b32_e32 v14, 1, v0
	s_waitcnt lgkmcnt(0)
	global_load_ushort v1, v15, s[4:5]
	s_load_dwordx2 s[24:25], s[0:1], 0x0
	s_load_dwordx4 s[20:23], s[0:1], 0x10
	s_add_i32 s3, s3, -1
	s_mul_i32 s6, s3, 0x1800
	s_mul_i32 s4, s2, 0x1800
	s_mov_b32 s5, 0
	s_waitcnt lgkmcnt(0)
	s_sub_u32 s30, s22, s6
	s_subb_u32 s31, s23, 0
	s_cmp_lg_u32 s2, s3
	s_cselect_b64 s[18:19], -1, 0
	s_lshl_b64 s[22:23], s[4:5], 1
	s_add_u32 s6, s24, s22
	s_addc_u32 s7, s25, s23
	s_mov_b64 s[4:5], -1
	s_and_b64 vcc, exec, s[18:19]
	s_cbranch_vccz .LBB133_2
; %bb.1:
	v_lshl_add_u64 v[2:3], s[6:7], 0, v[14:15]
	v_add_co_u32_e32 v4, vcc, 0x1000, v2
	global_load_ushort v6, v14, s[6:7]
	global_load_ushort v7, v14, s[6:7] offset:512
	global_load_ushort v8, v14, s[6:7] offset:1024
	;; [unrolled: 1-line block ×7, first 2 shown]
	v_addc_co_u32_e32 v5, vcc, 0, v3, vcc
	v_add_co_u32_e32 v2, vcc, 0x2000, v2
	global_load_ushort v15, v[4:5], off
	global_load_ushort v16, v[4:5], off offset:512
	global_load_ushort v17, v[4:5], off offset:1024
	;; [unrolled: 1-line block ×7, first 2 shown]
	v_addc_co_u32_e32 v3, vcc, 0, v3, vcc
	global_load_ushort v4, v[2:3], off
	global_load_ushort v5, v[2:3], off offset:512
	global_load_ushort v23, v[2:3], off offset:1024
	;; [unrolled: 1-line block ×7, first 2 shown]
	s_mov_b64 s[4:5], 0
	s_waitcnt vmcnt(23)
	ds_write_b16 v14, v6
	s_waitcnt vmcnt(22)
	ds_write_b16 v14, v7 offset:512
	s_waitcnt vmcnt(21)
	ds_write_b16 v14, v8 offset:1024
	;; [unrolled: 2-line block ×23, first 2 shown]
	s_waitcnt lgkmcnt(0)
	s_barrier
.LBB133_2:
	s_andn2_b64 vcc, exec, s[4:5]
	v_cmp_gt_u32_e64 s[4:5], s30, v0
	s_cbranch_vccnz .LBB133_52
; %bb.3:
	v_mov_b32_e32 v15, 0
	global_load_ushort v4, v15, s[6:7]
	v_lshl_add_u64 v[2:3], s[6:7], 0, v[14:15]
	s_waitcnt vmcnt(0)
	v_mov_b32_e32 v5, v4
	s_and_saveexec_b64 s[6:7], s[4:5]
	s_cbranch_execz .LBB133_5
; %bb.4:
	global_load_ushort v5, v[2:3], off
.LBB133_5:
	s_or_b64 exec, exec, s[6:7]
	v_or_b32_e32 v6, 0x100, v0
	v_cmp_gt_u32_e32 vcc, s30, v6
	v_mov_b32_e32 v6, v4
	s_and_saveexec_b64 s[4:5], vcc
	s_cbranch_execz .LBB133_7
; %bb.6:
	global_load_ushort v6, v[2:3], off offset:512
.LBB133_7:
	s_or_b64 exec, exec, s[4:5]
	v_or_b32_e32 v7, 0x200, v0
	v_cmp_gt_u32_e32 vcc, s30, v7
	v_mov_b32_e32 v7, v4
	s_and_saveexec_b64 s[4:5], vcc
	s_cbranch_execz .LBB133_9
; %bb.8:
	global_load_ushort v7, v[2:3], off offset:1024
.LBB133_9:
	;; [unrolled: 9-line block ×7, first 2 shown]
	s_or_b64 exec, exec, s[4:5]
	v_or_b32_e32 v13, 0x800, v0
	v_cmp_gt_u32_e32 vcc, s30, v13
	v_mov_b32_e32 v13, v4
	s_and_saveexec_b64 s[4:5], vcc
	s_cbranch_execz .LBB133_21
; %bb.20:
	v_add_co_u32_e32 v16, vcc, 0x1000, v2
	s_nop 1
	v_addc_co_u32_e32 v17, vcc, 0, v3, vcc
	global_load_ushort v13, v[16:17], off
.LBB133_21:
	s_or_b64 exec, exec, s[4:5]
	v_or_b32_e32 v15, 0x900, v0
	v_cmp_gt_u32_e32 vcc, s30, v15
	v_mov_b32_e32 v15, v4
	s_and_saveexec_b64 s[4:5], vcc
	s_cbranch_execz .LBB133_23
; %bb.22:
	v_add_co_u32_e32 v16, vcc, 0x1000, v2
	s_nop 1
	v_addc_co_u32_e32 v17, vcc, 0, v3, vcc
	global_load_ushort v15, v[16:17], off offset:512
.LBB133_23:
	s_or_b64 exec, exec, s[4:5]
	v_or_b32_e32 v16, 0xa00, v0
	v_cmp_gt_u32_e32 vcc, s30, v16
	v_mov_b32_e32 v16, v4
	s_and_saveexec_b64 s[4:5], vcc
	s_cbranch_execz .LBB133_25
; %bb.24:
	v_add_co_u32_e32 v16, vcc, 0x1000, v2
	s_nop 1
	v_addc_co_u32_e32 v17, vcc, 0, v3, vcc
	global_load_ushort v16, v[16:17], off offset:1024
.LBB133_25:
	;; [unrolled: 12-line block ×7, first 2 shown]
	s_or_b64 exec, exec, s[4:5]
	v_or_b32_e32 v22, 0x1000, v0
	v_cmp_gt_u32_e32 vcc, s30, v22
	v_mov_b32_e32 v22, v4
	s_and_saveexec_b64 s[4:5], vcc
	s_cbranch_execz .LBB133_37
; %bb.36:
	v_add_co_u32_e32 v22, vcc, 0x2000, v2
	s_nop 1
	v_addc_co_u32_e32 v23, vcc, 0, v3, vcc
	global_load_ushort v22, v[22:23], off
.LBB133_37:
	s_or_b64 exec, exec, s[4:5]
	v_or_b32_e32 v23, 0x1100, v0
	v_cmp_gt_u32_e32 vcc, s30, v23
	v_mov_b32_e32 v23, v4
	s_and_saveexec_b64 s[4:5], vcc
	s_cbranch_execz .LBB133_39
; %bb.38:
	v_add_co_u32_e32 v24, vcc, 0x2000, v2
	s_nop 1
	v_addc_co_u32_e32 v25, vcc, 0, v3, vcc
	global_load_ushort v23, v[24:25], off offset:512
.LBB133_39:
	s_or_b64 exec, exec, s[4:5]
	v_or_b32_e32 v24, 0x1200, v0
	v_cmp_gt_u32_e32 vcc, s30, v24
	v_mov_b32_e32 v24, v4
	s_and_saveexec_b64 s[4:5], vcc
	s_cbranch_execz .LBB133_41
; %bb.40:
	v_add_co_u32_e32 v24, vcc, 0x2000, v2
	s_nop 1
	v_addc_co_u32_e32 v25, vcc, 0, v3, vcc
	global_load_ushort v24, v[24:25], off offset:1024
.LBB133_41:
	s_or_b64 exec, exec, s[4:5]
	v_or_b32_e32 v25, 0x1300, v0
	v_cmp_gt_u32_e32 vcc, s30, v25
	v_mov_b32_e32 v25, v4
	s_and_saveexec_b64 s[4:5], vcc
	s_cbranch_execz .LBB133_43
; %bb.42:
	v_add_co_u32_e32 v26, vcc, 0x2000, v2
	s_nop 1
	v_addc_co_u32_e32 v27, vcc, 0, v3, vcc
	global_load_ushort v25, v[26:27], off offset:1536
.LBB133_43:
	s_or_b64 exec, exec, s[4:5]
	v_or_b32_e32 v26, 0x1400, v0
	v_cmp_gt_u32_e32 vcc, s30, v26
	v_mov_b32_e32 v26, v4
	s_and_saveexec_b64 s[4:5], vcc
	s_cbranch_execz .LBB133_45
; %bb.44:
	v_add_co_u32_e32 v26, vcc, 0x2000, v2
	s_nop 1
	v_addc_co_u32_e32 v27, vcc, 0, v3, vcc
	global_load_ushort v26, v[26:27], off offset:2048
.LBB133_45:
	s_or_b64 exec, exec, s[4:5]
	v_or_b32_e32 v27, 0x1500, v0
	v_cmp_gt_u32_e32 vcc, s30, v27
	v_mov_b32_e32 v27, v4
	s_and_saveexec_b64 s[4:5], vcc
	s_cbranch_execz .LBB133_47
; %bb.46:
	v_add_co_u32_e32 v28, vcc, 0x2000, v2
	s_nop 1
	v_addc_co_u32_e32 v29, vcc, 0, v3, vcc
	global_load_ushort v27, v[28:29], off offset:2560
.LBB133_47:
	s_or_b64 exec, exec, s[4:5]
	v_or_b32_e32 v28, 0x1600, v0
	v_cmp_gt_u32_e32 vcc, s30, v28
	v_mov_b32_e32 v28, v4
	s_and_saveexec_b64 s[4:5], vcc
	s_cbranch_execz .LBB133_49
; %bb.48:
	v_add_co_u32_e32 v28, vcc, 0x2000, v2
	s_nop 1
	v_addc_co_u32_e32 v29, vcc, 0, v3, vcc
	global_load_ushort v28, v[28:29], off offset:3072
.LBB133_49:
	s_or_b64 exec, exec, s[4:5]
	v_or_b32_e32 v29, 0x1700, v0
	v_cmp_gt_u32_e32 vcc, s30, v29
	s_and_saveexec_b64 s[4:5], vcc
	s_cbranch_execz .LBB133_51
; %bb.50:
	v_add_co_u32_e32 v2, vcc, 0x2000, v2
	s_nop 1
	v_addc_co_u32_e32 v3, vcc, 0, v3, vcc
	global_load_ushort v4, v[2:3], off offset:3584
.LBB133_51:
	s_or_b64 exec, exec, s[4:5]
	s_waitcnt vmcnt(0)
	ds_write_b16 v14, v5
	ds_write_b16 v14, v6 offset:512
	ds_write_b16 v14, v7 offset:1024
	;; [unrolled: 1-line block ×23, first 2 shown]
	s_waitcnt lgkmcnt(0)
	s_barrier
.LBB133_52:
	v_mul_u32_u24_e32 v22, 24, v0
	v_lshlrev_b32_e32 v23, 1, v22
	ds_read_b128 v[10:13], v23
	ds_read_b128 v[6:9], v23 offset:16
	ds_read_b128 v[2:5], v23 offset:32
	s_load_dwordx2 s[26:27], s[0:1], 0x30
	s_cmp_lg_u32 s2, 0
	v_mbcnt_lo_u32_b32 v37, -1, 0
	s_waitcnt lgkmcnt(0)
	v_lshrrev_b32_e32 v33, 16, v10
	v_lshrrev_b32_e32 v32, 16, v11
	;; [unrolled: 1-line block ×12, first 2 shown]
	v_cmp_lt_f16_e32 vcc, v10, v33
	v_lshrrev_b32_e32 v34, 6, v0
	v_or_b32_e32 v35, 63, v0
	s_barrier
	s_cbranch_scc0 .LBB133_79
; %bb.53:
	v_cndmask_b32_e32 v16, v10, v33, vcc
	v_cmp_lt_f16_e32 vcc, v16, v11
	v_mbcnt_hi_u32_b32 v17, -1, v37
	v_and_b32_e32 v18, 15, v17
	v_cndmask_b32_e32 v16, v16, v11, vcc
	v_cmp_lt_f16_e32 vcc, v16, v32
	s_nop 1
	v_cndmask_b32_e32 v16, v16, v32, vcc
	v_cmp_lt_f16_e32 vcc, v16, v12
	s_nop 1
	;; [unrolled: 3-line block ×21, first 2 shown]
	v_cndmask_b32_e32 v16, v16, v36, vcc
	v_and_b32_e32 v19, 0xffff, v16
	v_cmp_eq_u32_e32 vcc, 0, v18
	s_nop 0
	v_mov_b32_dpp v19, v19 row_shr:1 row_mask:0xf bank_mask:0xf
	v_cmp_gt_f16_e64 s[4:5], v16, v19
	s_or_b64 vcc, vcc, s[4:5]
	v_cndmask_b32_e32 v16, v19, v16, vcc
	v_and_b32_e32 v19, 0xffff, v16
	s_nop 1
	v_mov_b32_dpp v19, v19 row_shr:2 row_mask:0xf bank_mask:0xf
	v_cmp_gt_f16_e32 vcc, v16, v19
	s_nop 1
	v_cndmask_b32_e32 v19, v19, v16, vcc
	v_cmp_lt_u32_e32 vcc, 1, v18
	s_nop 1
	v_cndmask_b32_e32 v16, v16, v19, vcc
	v_and_b32_e32 v19, 0xffff, v16
	s_nop 1
	v_mov_b32_dpp v19, v19 row_shr:4 row_mask:0xf bank_mask:0xf
	v_cmp_gt_f16_e32 vcc, v16, v19
	s_nop 1
	v_cndmask_b32_e32 v19, v19, v16, vcc
	v_cmp_lt_u32_e32 vcc, 3, v18
	s_nop 1
	;; [unrolled: 9-line block ×3, first 2 shown]
	v_cndmask_b32_e32 v16, v16, v19, vcc
	v_and_b32_e32 v18, 0xffff, v16
	v_and_b32_e32 v19, 16, v17
	v_cmp_eq_u32_e32 vcc, 0, v19
	v_mov_b32_dpp v18, v18 row_bcast:15 row_mask:0xf bank_mask:0xf
	v_cmp_gt_f16_e64 s[4:5], v16, v18
	s_or_b64 vcc, vcc, s[4:5]
	v_cndmask_b32_e32 v16, v18, v16, vcc
	v_and_b32_e32 v18, 0xffff, v16
	s_nop 1
	v_mov_b32_dpp v18, v18 row_bcast:31 row_mask:0xf bank_mask:0xf
	v_cmp_gt_f16_e32 vcc, v16, v18
	s_nop 1
	v_cndmask_b32_e32 v18, v18, v16, vcc
	v_cmp_lt_u32_e32 vcc, 31, v17
	s_nop 1
	v_cndmask_b32_e32 v16, v16, v18, vcc
	v_cmp_eq_u32_e32 vcc, v35, v0
	s_and_saveexec_b64 s[4:5], vcc
	s_cbranch_execz .LBB133_55
; %bb.54:
	v_lshlrev_b32_e32 v18, 1, v34
	ds_write_b16 v18, v16
.LBB133_55:
	s_or_b64 exec, exec, s[4:5]
	v_cmp_gt_u32_e32 vcc, 4, v0
	s_waitcnt lgkmcnt(0)
	s_barrier
	s_and_saveexec_b64 s[6:7], vcc
	s_cbranch_execz .LBB133_57
; %bb.56:
	ds_read_u16 v18, v14
	v_and_b32_e32 v19, 3, v17
	v_cmp_eq_u32_e32 vcc, 0, v19
	s_waitcnt lgkmcnt(0)
	v_and_b32_e32 v20, 0xffff, v18
	s_nop 1
	v_mov_b32_dpp v20, v20 row_shr:1 row_mask:0xf bank_mask:0xf
	v_cmp_lt_f16_e64 s[4:5], v20, v18
	s_or_b64 vcc, vcc, s[4:5]
	v_cndmask_b32_e32 v18, v20, v18, vcc
	v_and_b32_e32 v20, 0xffff, v18
	s_nop 1
	v_mov_b32_dpp v20, v20 row_shr:2 row_mask:0xf bank_mask:0xf
	v_cmp_gt_f16_e32 vcc, v18, v20
	s_nop 1
	v_cndmask_b32_e32 v20, v20, v18, vcc
	v_cmp_lt_u32_e32 vcc, 1, v19
	s_nop 1
	v_cndmask_b32_e32 v18, v18, v20, vcc
	ds_write_b16 v14, v18
.LBB133_57:
	s_or_b64 exec, exec, s[6:7]
	v_cmp_gt_u32_e32 vcc, 64, v0
	v_cmp_lt_u32_e64 s[4:5], 63, v0
	s_waitcnt lgkmcnt(0)
	s_barrier
	s_waitcnt lgkmcnt(0)
                                        ; implicit-def: $vgpr38
	s_and_saveexec_b64 s[6:7], s[4:5]
	s_cbranch_execz .LBB133_59
; %bb.58:
	v_lshl_add_u32 v18, v34, 1, -2
	ds_read_u16 v38, v18
	s_waitcnt lgkmcnt(0)
	v_cmp_lt_f16_e64 s[4:5], v38, v16
	s_nop 1
	v_cndmask_b32_e64 v16, v38, v16, s[4:5]
.LBB133_59:
	s_or_b64 exec, exec, s[6:7]
	v_add_u32_e32 v18, -1, v17
	v_and_b32_e32 v19, 64, v17
	v_cmp_lt_i32_e64 s[4:5], v18, v19
	v_and_b32_e32 v16, 0xffff, v16
	s_nop 0
	v_cndmask_b32_e64 v18, v18, v17, s[4:5]
	v_lshlrev_b32_e32 v18, 2, v18
	ds_bpermute_b32 v39, v18, v16
	v_cmp_eq_u32_e64 s[4:5], 0, v17
	s_and_saveexec_b64 s[28:29], vcc
	s_cbranch_execz .LBB133_78
; %bb.60:
	v_mov_b32_e32 v19, 0
	ds_read_u16 v40, v19 offset:6
	s_and_saveexec_b64 s[6:7], s[4:5]
	s_cbranch_execz .LBB133_62
; %bb.61:
	s_add_i32 s8, s2, 64
	s_mov_b32 s9, 0
	s_lshl_b64 s[8:9], s[8:9], 2
	s_add_u32 s8, s26, s8
	s_mov_b32 s3, 0x10000
	s_addc_u32 s9, s27, s9
	s_waitcnt lgkmcnt(0)
	v_or_b32_sdwa v16, v40, s3 dst_sel:DWORD dst_unused:UNUSED_PAD src0_sel:WORD_0 src1_sel:DWORD
	global_store_dword v19, v16, s[8:9] sc1
.LBB133_62:
	s_or_b64 exec, exec, s[6:7]
	v_xad_u32 v16, v17, -1, s2
	v_add_u32_e32 v18, 64, v16
	v_lshl_add_u64 v[20:21], v[18:19], 2, s[26:27]
	global_load_dword v53, v[20:21], off sc1
	s_waitcnt vmcnt(0)
	v_lshrrev_b32_e32 v41, 16, v53
	v_cmp_eq_u16_sdwa s[8:9], v41, v19 src0_sel:BYTE_0 src1_sel:DWORD
	s_and_saveexec_b64 s[6:7], s[8:9]
	s_cbranch_execz .LBB133_66
; %bb.63:
	s_mov_b64 s[8:9], 0
	v_mov_b32_e32 v18, 0
.LBB133_64:                             ; =>This Inner Loop Header: Depth=1
	global_load_dword v53, v[20:21], off sc1
	s_waitcnt vmcnt(0)
	v_lshrrev_b32_e32 v41, 16, v53
	v_cmp_ne_u16_sdwa s[10:11], v41, v18 src0_sel:BYTE_0 src1_sel:DWORD
	s_or_b64 s[8:9], s[10:11], s[8:9]
	s_andn2_b64 exec, exec, s[8:9]
	s_cbranch_execnz .LBB133_64
; %bb.65:
	s_or_b64 exec, exec, s[8:9]
.LBB133_66:
	s_or_b64 exec, exec, s[6:7]
	v_and_b32_e32 v54, 63, v17
	v_cmp_ne_u32_e32 vcc, 63, v54
	v_and_b32_e32 v45, 0xffff, v53
	v_mov_b32_e32 v42, 2
	v_addc_co_u32_e32 v43, vcc, 0, v17, vcc
	v_lshlrev_b32_e32 v43, 2, v43
	ds_bpermute_b32 v46, v43, v45
	v_cmp_eq_u16_sdwa s[6:7], v41, v42 src0_sel:BYTE_0 src1_sel:DWORD
	v_lshlrev_b64 v[18:19], v17, -1
	v_add_u32_e32 v44, 1, v17
	v_and_b32_e32 v20, s7, v19
	v_or_b32_e32 v20, 0x80000000, v20
	v_and_b32_e32 v21, s6, v18
	v_ffbl_b32_e32 v20, v20
	v_add_u32_e32 v20, 32, v20
	v_ffbl_b32_e32 v21, v21
	s_waitcnt lgkmcnt(0)
	v_cmp_gt_f16_e32 vcc, v53, v46
	v_min_u32_e32 v20, v21, v20
	v_cmp_gt_u32_e64 s[6:7], 62, v54
	v_cndmask_b32_e32 v21, v46, v53, vcc
	v_and_b32_e32 v46, 0xffff, v21
	v_cmp_le_u32_e32 vcc, v44, v20
	v_cmp_gt_u32_e64 s[8:9], 60, v54
	v_cmp_gt_u32_e64 s[10:11], 56, v54
	v_cndmask_b32_e32 v47, v45, v46, vcc
	v_cndmask_b32_e64 v45, 0, 1, s[6:7]
	v_lshlrev_b32_e32 v45, 1, v45
	v_add_lshl_u32 v45, v45, v17, 2
	ds_bpermute_b32 v48, v45, v47
	v_cndmask_b32_e32 v21, v53, v21, vcc
	v_add_u32_e32 v46, 2, v17
	v_cmp_gt_u32_e64 s[12:13], 48, v54
	v_cmp_gt_u32_e64 s[14:15], 32, v54
	s_waitcnt lgkmcnt(0)
	v_cmp_gt_f16_e64 s[6:7], v21, v48
	v_cndmask_b32_e64 v54, 0, 1, s[14:15]
	s_nop 0
	v_cndmask_b32_e64 v48, v48, v21, s[6:7]
	v_and_b32_e32 v49, 0xffff, v48
	v_cmp_le_u32_e64 s[6:7], v46, v20
	v_lshlrev_b32_e32 v54, 5, v54
	v_add_lshl_u32 v54, v54, v17, 2
	v_cndmask_b32_e64 v49, v47, v49, s[6:7]
	v_cndmask_b32_e64 v47, 0, 1, s[8:9]
	v_lshlrev_b32_e32 v47, 2, v47
	v_add_lshl_u32 v47, v47, v17, 2
	ds_bpermute_b32 v50, v47, v49
	v_cndmask_b32_e64 v21, v21, v48, s[6:7]
	v_add_u32_e32 v48, 4, v17
	s_waitcnt lgkmcnt(0)
	v_cmp_gt_f16_e64 s[8:9], v21, v50
	s_nop 1
	v_cndmask_b32_e64 v50, v50, v21, s[8:9]
	v_and_b32_e32 v51, 0xffff, v50
	v_cmp_le_u32_e64 s[8:9], v48, v20
	s_nop 1
	v_cndmask_b32_e64 v51, v49, v51, s[8:9]
	v_cndmask_b32_e64 v49, 0, 1, s[10:11]
	v_lshlrev_b32_e32 v49, 3, v49
	v_add_lshl_u32 v49, v49, v17, 2
	ds_bpermute_b32 v52, v49, v51
	v_cndmask_b32_e64 v21, v21, v50, s[8:9]
	v_add_u32_e32 v50, 8, v17
	s_waitcnt lgkmcnt(0)
	v_cmp_gt_f16_e64 s[10:11], v21, v52
	s_nop 1
	v_cndmask_b32_e64 v52, v52, v21, s[10:11]
	v_and_b32_e32 v55, 0xffff, v52
	v_cmp_le_u32_e64 s[10:11], v50, v20
	s_nop 1
	;; [unrolled: 14-line block ×3, first 2 shown]
	v_cndmask_b32_e64 v55, v55, v57, s[12:13]
	ds_bpermute_b32 v57, v54, v55
	v_add_u32_e32 v55, 32, v17
	v_cmp_le_u32_e64 s[16:17], v55, v20
	s_or_b64 s[6:7], s[6:7], s[16:17]
	s_or_b64 s[6:7], vcc, s[6:7]
	v_cndmask_b32_e64 v17, v21, v56, s[12:13]
	v_cmp_gt_u32_e64 s[14:15], v55, v20
	s_or_b64 s[6:7], s[8:9], s[6:7]
	s_waitcnt lgkmcnt(0)
	v_cmp_gt_f16_e32 vcc, v17, v57
	s_or_b64 s[6:7], s[10:11], s[6:7]
	s_or_b64 vcc, s[14:15], vcc
	v_cndmask_b32_e32 v17, v57, v17, vcc
	s_or_b64 vcc, s[12:13], s[6:7]
	v_cndmask_b32_e32 v20, v53, v17, vcc
	v_mov_b32_e32 v17, 0
	s_branch .LBB133_68
.LBB133_67:                             ;   in Loop: Header=BB133_68 Depth=1
	s_or_b64 exec, exec, s[6:7]
	v_and_b32_e32 v57, 0xffff, v56
	ds_bpermute_b32 v58, v43, v57
	v_cmp_eq_u16_sdwa s[6:7], v41, v42 src0_sel:BYTE_0 src1_sel:DWORD
	v_subrev_u32_e32 v16, 64, v16
	s_waitcnt lgkmcnt(0)
	v_cmp_gt_f16_e32 vcc, v56, v58
	v_and_b32_e32 v20, s7, v19
	v_or_b32_e32 v20, 0x80000000, v20
	v_and_b32_e32 v21, s6, v18
	v_ffbl_b32_e32 v20, v20
	v_add_u32_e32 v20, 32, v20
	v_ffbl_b32_e32 v21, v21
	v_min_u32_e32 v20, v21, v20
	v_cndmask_b32_e32 v21, v58, v56, vcc
	v_and_b32_e32 v58, 0xffff, v21
	v_cmp_le_u32_e32 vcc, v44, v20
	v_cmp_le_u32_e64 s[16:17], v55, v20
	v_cmp_gt_u32_e64 s[14:15], v55, v20
	v_cndmask_b32_e32 v57, v57, v58, vcc
	ds_bpermute_b32 v58, v45, v57
	v_cndmask_b32_e32 v21, v56, v21, vcc
	s_waitcnt lgkmcnt(0)
	v_cmp_gt_f16_e64 s[6:7], v21, v58
	s_nop 1
	v_cndmask_b32_e64 v58, v58, v21, s[6:7]
	v_and_b32_e32 v59, 0xffff, v58
	v_cmp_le_u32_e64 s[6:7], v46, v20
	s_nop 1
	v_cndmask_b32_e64 v57, v57, v59, s[6:7]
	ds_bpermute_b32 v59, v47, v57
	v_cndmask_b32_e64 v21, v21, v58, s[6:7]
	s_or_b64 s[6:7], s[6:7], s[16:17]
	s_or_b64 s[6:7], vcc, s[6:7]
	s_waitcnt lgkmcnt(0)
	v_cmp_gt_f16_e64 s[8:9], v21, v59
	s_nop 1
	v_cndmask_b32_e64 v58, v59, v21, s[8:9]
	v_and_b32_e32 v59, 0xffff, v58
	v_cmp_le_u32_e64 s[8:9], v48, v20
	s_or_b64 s[6:7], s[8:9], s[6:7]
	s_nop 0
	v_cndmask_b32_e64 v57, v57, v59, s[8:9]
	ds_bpermute_b32 v59, v49, v57
	v_cndmask_b32_e64 v21, v21, v58, s[8:9]
	s_waitcnt lgkmcnt(0)
	v_cmp_gt_f16_e64 s[10:11], v21, v59
	s_nop 1
	v_cndmask_b32_e64 v58, v59, v21, s[10:11]
	v_and_b32_e32 v59, 0xffff, v58
	v_cmp_le_u32_e64 s[10:11], v50, v20
	s_or_b64 s[6:7], s[10:11], s[6:7]
	s_nop 0
	v_cndmask_b32_e64 v57, v57, v59, s[10:11]
	ds_bpermute_b32 v59, v51, v57
	v_cndmask_b32_e64 v21, v21, v58, s[10:11]
	s_waitcnt lgkmcnt(0)
	v_cmp_gt_f16_e64 s[12:13], v21, v59
	s_nop 1
	v_cndmask_b32_e64 v58, v59, v21, s[12:13]
	v_and_b32_e32 v59, 0xffff, v58
	v_cmp_le_u32_e64 s[12:13], v52, v20
	s_nop 1
	v_cndmask_b32_e64 v57, v57, v59, s[12:13]
	ds_bpermute_b32 v57, v54, v57
	v_cndmask_b32_e64 v20, v21, v58, s[12:13]
	s_waitcnt lgkmcnt(0)
	v_cmp_gt_f16_e32 vcc, v20, v57
	s_or_b64 vcc, s[14:15], vcc
	s_nop 0
	v_cndmask_b32_e32 v20, v57, v20, vcc
	s_or_b64 vcc, s[12:13], s[6:7]
	v_cndmask_b32_e32 v20, v56, v20, vcc
	v_cmp_lt_f16_e32 vcc, v20, v53
	s_nop 1
	v_cndmask_b32_e32 v20, v20, v53, vcc
.LBB133_68:                             ; =>This Loop Header: Depth=1
                                        ;     Child Loop BB133_71 Depth 2
	v_cmp_ne_u16_sdwa s[6:7], v41, v42 src0_sel:BYTE_0 src1_sel:DWORD
	v_mov_b32_e32 v53, v20
	s_nop 0
	v_cndmask_b32_e64 v21, 0, 1, s[6:7]
	;;#ASMSTART
	;;#ASMEND
	s_nop 0
	v_cmp_ne_u32_e32 vcc, 0, v21
	s_cmp_lg_u64 vcc, exec
	s_cbranch_scc1 .LBB133_73
; %bb.69:                               ;   in Loop: Header=BB133_68 Depth=1
	v_lshl_add_u64 v[20:21], v[16:17], 2, s[26:27]
	global_load_dword v56, v[20:21], off sc1
	s_waitcnt vmcnt(0)
	v_lshrrev_b32_e32 v41, 16, v56
	v_cmp_eq_u16_sdwa s[8:9], v41, v17 src0_sel:BYTE_0 src1_sel:DWORD
	s_and_saveexec_b64 s[6:7], s[8:9]
	s_cbranch_execz .LBB133_67
; %bb.70:                               ;   in Loop: Header=BB133_68 Depth=1
	s_mov_b64 s[8:9], 0
.LBB133_71:                             ;   Parent Loop BB133_68 Depth=1
                                        ; =>  This Inner Loop Header: Depth=2
	global_load_dword v56, v[20:21], off sc1
	s_waitcnt vmcnt(0)
	v_lshrrev_b32_e32 v41, 16, v56
	v_cmp_ne_u16_sdwa s[10:11], v41, v17 src0_sel:BYTE_0 src1_sel:DWORD
	s_or_b64 s[8:9], s[10:11], s[8:9]
	s_andn2_b64 exec, exec, s[8:9]
	s_cbranch_execnz .LBB133_71
; %bb.72:                               ;   in Loop: Header=BB133_68 Depth=1
	s_or_b64 exec, exec, s[8:9]
	s_branch .LBB133_67
.LBB133_73:                             ;   in Loop: Header=BB133_68 Depth=1
                                        ; implicit-def: $vgpr20
                                        ; implicit-def: $vgpr41
	s_cbranch_execz .LBB133_68
; %bb.74:
	s_and_saveexec_b64 s[6:7], s[4:5]
	s_cbranch_execz .LBB133_76
; %bb.75:
	s_add_i32 s2, s2, 64
	s_mov_b32 s3, 0
	s_lshl_b64 s[2:3], s[2:3], 2
	v_cmp_lt_f16_e32 vcc, v53, v40
	s_add_u32 s2, s26, s2
	s_mov_b32 s8, 0x20000
	v_cndmask_b32_e32 v17, v53, v40, vcc
	s_addc_u32 s3, s27, s3
	v_mov_b32_e32 v16, 0
	v_or_b32_sdwa v17, v17, s8 dst_sel:DWORD dst_unused:UNUSED_PAD src0_sel:WORD_0 src1_sel:DWORD
	global_store_dword v16, v17, s[2:3] sc1
.LBB133_76:
	s_or_b64 exec, exec, s[6:7]
	v_cmp_eq_u32_e32 vcc, 0, v0
	s_and_b64 exec, exec, vcc
	s_cbranch_execz .LBB133_78
; %bb.77:
	v_mov_b32_e32 v16, 0
	ds_write_b16 v16, v53 offset:6
.LBB133_78:
	s_or_b64 exec, exec, s[28:29]
	v_mov_b32_e32 v16, 0
	s_waitcnt lgkmcnt(0)
	s_barrier
	ds_read_u16 v16, v16 offset:6
	v_cndmask_b32_e64 v17, v39, v38, s[4:5]
	s_waitcnt lgkmcnt(0)
	v_cmp_lt_f16_e32 vcc, v16, v17
	s_nop 1
	v_cndmask_b32_e32 v17, v16, v17, vcc
	v_cmp_eq_u32_e32 vcc, 0, v0
	s_nop 1
	v_cndmask_b32_e32 v17, v17, v16, vcc
	v_cmp_lt_f16_e32 vcc, v17, v10
	s_nop 1
	v_cndmask_b32_e32 v16, v17, v10, vcc
	v_cmp_lt_f16_e32 vcc, v16, v33
	;; [unrolled: 3-line block ×23, first 2 shown]
	s_nop 1
	v_cndmask_b32_e32 v55, v54, v5, vcc
	s_load_dwordx4 s[4:7], s[0:1], 0x40
	s_branch .LBB133_91
.LBB133_79:
                                        ; implicit-def: $vgpr17
                                        ; implicit-def: $vgpr16
                                        ; implicit-def: $vgpr18
                                        ; implicit-def: $vgpr19
                                        ; implicit-def: $vgpr20
                                        ; implicit-def: $vgpr21
                                        ; implicit-def: $vgpr39
                                        ; implicit-def: $vgpr41
                                        ; implicit-def: $vgpr38
                                        ; implicit-def: $vgpr40
                                        ; implicit-def: $vgpr42
                                        ; implicit-def: $vgpr43
                                        ; implicit-def: $vgpr44
                                        ; implicit-def: $vgpr45
                                        ; implicit-def: $vgpr47
                                        ; implicit-def: $vgpr49
                                        ; implicit-def: $vgpr46
                                        ; implicit-def: $vgpr48
                                        ; implicit-def: $vgpr50
                                        ; implicit-def: $vgpr51
                                        ; implicit-def: $vgpr52
                                        ; implicit-def: $vgpr53
                                        ; implicit-def: $vgpr54
                                        ; implicit-def: $vgpr55
	s_load_dwordx4 s[4:7], s[0:1], 0x40
	s_cbranch_execz .LBB133_91
; %bb.80:
	s_load_dword s2, s[0:1], 0x50
	s_waitcnt lgkmcnt(0)
	s_bitcmp0_b32 s2, 0
	s_cbranch_scc1 .LBB133_82
; %bb.81:
	s_waitcnt vmcnt(0)
	v_mov_b32_e32 v1, 0
	global_load_ushort v16, v1, s[24:25] offset:-2
	global_load_ushort v17, v1, s[4:5]
	s_waitcnt vmcnt(0)
	v_cmp_lt_f16_e32 vcc, v17, v16
	s_nop 1
	v_cndmask_b32_e32 v1, v17, v16, vcc
.LBB133_82:
	v_cmp_lt_f16_e32 vcc, v10, v33
	s_nop 1
	v_cndmask_b32_e32 v16, v10, v33, vcc
	v_cmp_lt_f16_e32 vcc, v16, v11
	s_nop 1
	v_cndmask_b32_e32 v16, v16, v11, vcc
	;; [unrolled: 3-line block ×23, first 2 shown]
	v_mbcnt_hi_u32_b32 v16, -1, v37
	v_and_b32_e32 v19, 0xffff, v17
	v_and_b32_e32 v18, 15, v16
	v_cmp_eq_u32_e32 vcc, 0, v18
	v_mov_b32_dpp v19, v19 row_shr:1 row_mask:0xf bank_mask:0xf
	v_cmp_gt_f16_e64 s[2:3], v17, v19
	s_or_b64 vcc, vcc, s[2:3]
	v_cndmask_b32_e32 v17, v19, v17, vcc
	v_and_b32_e32 v19, 0xffff, v17
	s_nop 1
	v_mov_b32_dpp v19, v19 row_shr:2 row_mask:0xf bank_mask:0xf
	v_cmp_gt_f16_e32 vcc, v17, v19
	s_nop 1
	v_cndmask_b32_e32 v19, v19, v17, vcc
	v_cmp_lt_u32_e32 vcc, 1, v18
	s_nop 1
	v_cndmask_b32_e32 v17, v17, v19, vcc
	v_and_b32_e32 v19, 0xffff, v17
	s_nop 1
	v_mov_b32_dpp v19, v19 row_shr:4 row_mask:0xf bank_mask:0xf
	v_cmp_gt_f16_e32 vcc, v17, v19
	s_nop 1
	v_cndmask_b32_e32 v19, v19, v17, vcc
	v_cmp_lt_u32_e32 vcc, 3, v18
	s_nop 1
	;; [unrolled: 9-line block ×3, first 2 shown]
	v_cndmask_b32_e32 v17, v17, v19, vcc
	v_and_b32_e32 v18, 0xffff, v17
	v_and_b32_e32 v19, 16, v16
	v_cmp_eq_u32_e32 vcc, 0, v19
	v_mov_b32_dpp v18, v18 row_bcast:15 row_mask:0xf bank_mask:0xf
	v_cmp_gt_f16_e64 s[2:3], v17, v18
	s_or_b64 vcc, vcc, s[2:3]
	v_cndmask_b32_e32 v17, v18, v17, vcc
	v_and_b32_e32 v18, 0xffff, v17
	s_nop 1
	v_mov_b32_dpp v18, v18 row_bcast:31 row_mask:0xf bank_mask:0xf
	v_cmp_gt_f16_e32 vcc, v17, v18
	s_nop 1
	v_cndmask_b32_e32 v18, v18, v17, vcc
	v_cmp_lt_u32_e32 vcc, 31, v16
	s_nop 1
	v_cndmask_b32_e32 v17, v17, v18, vcc
	v_cmp_eq_u32_e32 vcc, v35, v0
	s_and_saveexec_b64 s[2:3], vcc
	s_cbranch_execz .LBB133_84
; %bb.83:
	v_lshlrev_b32_e32 v18, 1, v34
	ds_write_b16 v18, v17
.LBB133_84:
	s_or_b64 exec, exec, s[2:3]
	v_cmp_gt_u32_e32 vcc, 4, v0
	s_waitcnt lgkmcnt(0)
	s_barrier
	s_and_saveexec_b64 s[4:5], vcc
	s_cbranch_execz .LBB133_86
; %bb.85:
	s_movk_i32 s2, 0xffd2
	v_mad_i32_i24 v18, v0, s2, v23
	ds_read_u16 v19, v18
	v_and_b32_e32 v20, 3, v16
	v_cmp_eq_u32_e32 vcc, 0, v20
	s_waitcnt lgkmcnt(0)
	v_and_b32_e32 v21, 0xffff, v19
	s_nop 1
	v_mov_b32_dpp v21, v21 row_shr:1 row_mask:0xf bank_mask:0xf
	v_cmp_lt_f16_e64 s[2:3], v21, v19
	s_or_b64 vcc, vcc, s[2:3]
	v_cndmask_b32_e32 v19, v21, v19, vcc
	v_and_b32_e32 v21, 0xffff, v19
	s_nop 1
	v_mov_b32_dpp v21, v21 row_shr:2 row_mask:0xf bank_mask:0xf
	v_cmp_gt_f16_e32 vcc, v19, v21
	s_nop 1
	v_cndmask_b32_e32 v21, v21, v19, vcc
	v_cmp_lt_u32_e32 vcc, 1, v20
	s_nop 1
	v_cndmask_b32_e32 v19, v19, v21, vcc
	ds_write_b16 v18, v19
.LBB133_86:
	s_or_b64 exec, exec, s[4:5]
	v_cmp_lt_u32_e32 vcc, 63, v0
	s_waitcnt vmcnt(0)
	v_mov_b32_e32 v18, v1
	s_waitcnt lgkmcnt(0)
	s_barrier
	s_and_saveexec_b64 s[2:3], vcc
	s_cbranch_execz .LBB133_88
; %bb.87:
	v_lshl_add_u32 v18, v34, 1, -2
	ds_read_u16 v18, v18
	s_waitcnt lgkmcnt(0)
	v_cmp_gt_f16_e32 vcc, v18, v1
	s_nop 1
	v_cndmask_b32_e32 v18, v1, v18, vcc
.LBB133_88:
	s_or_b64 exec, exec, s[2:3]
	v_cmp_lt_f16_e32 vcc, v18, v17
	v_add_u32_e32 v19, -1, v16
	v_and_b32_e32 v20, 64, v16
	v_cndmask_b32_e32 v17, v18, v17, vcc
	v_cmp_lt_i32_e32 vcc, v19, v20
	v_and_b32_e32 v17, 0xffff, v17
	v_cmp_eq_u32_e64 s[2:3], 0, v0
	v_cndmask_b32_e32 v19, v19, v16, vcc
	v_lshlrev_b32_e32 v19, 2, v19
	ds_bpermute_b32 v17, v19, v17
	v_cmp_eq_u32_e32 vcc, 0, v16
	s_waitcnt lgkmcnt(0)
	s_nop 0
	v_cndmask_b32_e32 v17, v17, v18, vcc
	v_cndmask_b32_e64 v16, v17, v1, s[2:3]
	v_cmp_lt_f16_e32 vcc, v16, v10
	s_nop 1
	v_cndmask_b32_e32 v16, v16, v10, vcc
	v_cmp_lt_f16_e32 vcc, v16, v33
	s_nop 1
	v_cndmask_b32_e32 v18, v16, v33, vcc
	;; [unrolled: 3-line block ×22, first 2 shown]
	v_cmp_lt_f16_e32 vcc, v54, v5
	s_and_saveexec_b64 s[4:5], s[2:3]
	s_cbranch_execz .LBB133_90
; %bb.89:
	v_mov_b32_e32 v2, 0
	ds_read_u16 v3, v2 offset:6
	s_mov_b32 s8, 0x20000
	v_mov_b32_e32 v17, v1
	s_waitcnt lgkmcnt(0)
	v_cmp_gt_f16_e64 s[2:3], v3, v1
	s_nop 1
	v_cndmask_b32_e64 v3, v1, v3, s[2:3]
	v_or_b32_sdwa v3, v3, s8 dst_sel:DWORD dst_unused:UNUSED_PAD src0_sel:WORD_0 src1_sel:DWORD
	global_store_dword v2, v3, s[26:27] offset:256 sc1
.LBB133_90:
	s_or_b64 exec, exec, s[4:5]
	v_cndmask_b32_e32 v55, v54, v5, vcc
.LBB133_91:
	s_add_u32 s2, s20, s22
	s_addc_u32 s3, s21, s23
	s_waitcnt lgkmcnt(0)
	s_mov_b64 s[4:5], -1
	s_and_b64 vcc, exec, s[18:19]
	s_barrier
	s_cbranch_vccz .LBB133_93
; %bb.92:
	s_mov_b32 s4, 0x5040100
	v_perm_b32 v5, v41, v39, s4
	v_perm_b32 v4, v21, v20, s4
	;; [unrolled: 1-line block ×4, first 2 shown]
	ds_write_b128 v23, v[2:5]
	v_perm_b32 v5, v49, v47, s4
	v_perm_b32 v4, v45, v44, s4
	;; [unrolled: 1-line block ×4, first 2 shown]
	ds_write_b128 v23, v[2:5] offset:16
	v_perm_b32 v5, v55, v54, s4
	v_perm_b32 v4, v53, v52, s4
	;; [unrolled: 1-line block ×4, first 2 shown]
	v_mov_b32_e32 v15, 0
	ds_write_b128 v23, v[2:5] offset:32
	s_waitcnt lgkmcnt(0)
	s_barrier
	s_waitcnt vmcnt(0)
	ds_read_u16 v1, v14
	ds_read_u16 v4, v14 offset:512
	ds_read_u16 v5, v14 offset:1024
	;; [unrolled: 1-line block ×23, first 2 shown]
	v_lshl_add_u64 v[2:3], s[2:3], 0, v[14:15]
	s_movk_i32 s4, 0x1000
	s_waitcnt lgkmcnt(14)
	global_store_short v14, v1, s[2:3]
	global_store_short v14, v4, s[2:3] offset:512
	global_store_short v14, v5, s[2:3] offset:1024
	;; [unrolled: 1-line block ×7, first 2 shown]
	v_add_co_u32_e32 v4, vcc, s4, v2
	s_mov_b64 s[4:5], 0
	s_nop 0
	v_addc_co_u32_e32 v5, vcc, 0, v3, vcc
	v_add_co_u32_e32 v2, vcc, 0x2000, v2
	global_store_short v[4:5], v11, off
	global_store_short v[4:5], v12, off offset:512
	s_waitcnt lgkmcnt(13)
	global_store_short v[4:5], v13, off offset:1024
	s_waitcnt lgkmcnt(12)
	;; [unrolled: 2-line block ×6, first 2 shown]
	global_store_short v[4:5], v28, off offset:3584
	v_addc_co_u32_e32 v3, vcc, 0, v3, vcc
	s_waitcnt lgkmcnt(7)
	global_store_short v[2:3], v29, off
	s_waitcnt lgkmcnt(6)
	global_store_short v[2:3], v30, off offset:512
	s_waitcnt lgkmcnt(5)
	global_store_short v[2:3], v31, off offset:1024
	;; [unrolled: 2-line block ×7, first 2 shown]
.LBB133_93:
	s_andn2_b64 vcc, exec, s[4:5]
	s_cbranch_vccnz .LBB133_150
; %bb.94:
	s_mov_b32 s4, 0x5040100
	v_perm_b32 v5, v41, v39, s4
	v_perm_b32 v4, v21, v20, s4
	;; [unrolled: 1-line block ×4, first 2 shown]
	ds_write_b128 v23, v[2:5]
	v_perm_b32 v5, v49, v47, s4
	v_perm_b32 v4, v45, v44, s4
	;; [unrolled: 1-line block ×4, first 2 shown]
	ds_write_b128 v23, v[2:5] offset:16
	v_perm_b32 v5, v55, v54, s4
	v_perm_b32 v4, v53, v52, s4
	;; [unrolled: 1-line block ×4, first 2 shown]
	s_movk_i32 s4, 0xffd2
	s_waitcnt vmcnt(0)
	v_mad_i32_i24 v1, v0, s4, v23
	ds_write_b128 v23, v[2:5] offset:32
	s_waitcnt lgkmcnt(0)
	s_barrier
	ds_read_u16 v5, v1
	ds_read_u16 v4, v1 offset:512
	ds_read_u16 v7, v1 offset:1024
	;; [unrolled: 1-line block ×23, first 2 shown]
	v_mov_b32_e32 v15, 0
	v_lshl_add_u64 v[2:3], s[2:3], 0, v[14:15]
	v_cmp_gt_u32_e32 vcc, s30, v0
	s_and_saveexec_b64 s[2:3], vcc
	s_cbranch_execz .LBB133_96
; %bb.95:
	s_waitcnt lgkmcnt(14)
	global_store_short v[2:3], v5, off
.LBB133_96:
	s_or_b64 exec, exec, s[2:3]
	v_or_b32_e32 v1, 0x100, v0
	v_cmp_gt_u32_e32 vcc, s30, v1
	s_and_saveexec_b64 s[2:3], vcc
	s_cbranch_execz .LBB133_98
; %bb.97:
	s_waitcnt lgkmcnt(14)
	global_store_short v[2:3], v4, off offset:512
.LBB133_98:
	s_or_b64 exec, exec, s[2:3]
	v_or_b32_e32 v1, 0x200, v0
	v_cmp_gt_u32_e32 vcc, s30, v1
	s_and_saveexec_b64 s[2:3], vcc
	s_cbranch_execz .LBB133_100
; %bb.99:
	s_waitcnt lgkmcnt(14)
	global_store_short v[2:3], v7, off offset:1024
.LBB133_100:
	;; [unrolled: 9-line block ×7, first 2 shown]
	s_or_b64 exec, exec, s[2:3]
	v_or_b32_e32 v1, 0x800, v0
	v_cmp_gt_u32_e32 vcc, s30, v1
	s_and_saveexec_b64 s[2:3], vcc
	s_cbranch_execz .LBB133_112
; %bb.111:
	v_add_co_u32_e32 v32, vcc, 0x1000, v2
	s_nop 1
	v_addc_co_u32_e32 v33, vcc, 0, v3, vcc
	s_waitcnt lgkmcnt(14)
	global_store_short v[32:33], v18, off
.LBB133_112:
	s_or_b64 exec, exec, s[2:3]
	v_or_b32_e32 v1, 0x900, v0
	v_cmp_gt_u32_e32 vcc, s30, v1
	s_and_saveexec_b64 s[2:3], vcc
	s_cbranch_execz .LBB133_114
; %bb.113:
	v_add_co_u32_e32 v32, vcc, 0x1000, v2
	s_nop 1
	v_addc_co_u32_e32 v33, vcc, 0, v3, vcc
	s_waitcnt lgkmcnt(14)
	global_store_short v[32:33], v26, off offset:512
.LBB133_114:
	s_or_b64 exec, exec, s[2:3]
	v_or_b32_e32 v1, 0xa00, v0
	v_cmp_gt_u32_e32 vcc, s30, v1
	s_and_saveexec_b64 s[2:3], vcc
	s_cbranch_execz .LBB133_116
; %bb.115:
	v_add_co_u32_e32 v32, vcc, 0x1000, v2
	s_nop 1
	v_addc_co_u32_e32 v33, vcc, 0, v3, vcc
	s_waitcnt lgkmcnt(13)
	global_store_short v[32:33], v23, off offset:1024
.LBB133_116:
	s_or_b64 exec, exec, s[2:3]
	v_or_b32_e32 v1, 0xb00, v0
	v_cmp_gt_u32_e32 vcc, s30, v1
	s_and_saveexec_b64 s[2:3], vcc
	s_cbranch_execz .LBB133_118
; %bb.117:
	v_add_co_u32_e32 v32, vcc, 0x1000, v2
	s_nop 1
	v_addc_co_u32_e32 v33, vcc, 0, v3, vcc
	s_waitcnt lgkmcnt(12)
	global_store_short v[32:33], v21, off offset:1536
.LBB133_118:
	s_or_b64 exec, exec, s[2:3]
	v_or_b32_e32 v1, 0xc00, v0
	v_cmp_gt_u32_e32 vcc, s30, v1
	s_and_saveexec_b64 s[2:3], vcc
	s_cbranch_execz .LBB133_120
; %bb.119:
	v_add_co_u32_e32 v32, vcc, 0x1000, v2
	s_nop 1
	v_addc_co_u32_e32 v33, vcc, 0, v3, vcc
	s_waitcnt lgkmcnt(11)
	global_store_short v[32:33], v20, off offset:2048
.LBB133_120:
	s_or_b64 exec, exec, s[2:3]
	v_or_b32_e32 v1, 0xd00, v0
	v_cmp_gt_u32_e32 vcc, s30, v1
	s_and_saveexec_b64 s[2:3], vcc
	s_cbranch_execz .LBB133_122
; %bb.121:
	v_add_co_u32_e32 v32, vcc, 0x1000, v2
	s_nop 1
	v_addc_co_u32_e32 v33, vcc, 0, v3, vcc
	s_waitcnt lgkmcnt(10)
	global_store_short v[32:33], v13, off offset:2560
.LBB133_122:
	s_or_b64 exec, exec, s[2:3]
	v_or_b32_e32 v1, 0xe00, v0
	v_cmp_gt_u32_e32 vcc, s30, v1
	s_and_saveexec_b64 s[2:3], vcc
	s_cbranch_execz .LBB133_124
; %bb.123:
	v_add_co_u32_e32 v32, vcc, 0x1000, v2
	s_nop 1
	v_addc_co_u32_e32 v33, vcc, 0, v3, vcc
	s_waitcnt lgkmcnt(9)
	global_store_short v[32:33], v16, off offset:3072
.LBB133_124:
	s_or_b64 exec, exec, s[2:3]
	v_or_b32_e32 v1, 0xf00, v0
	v_cmp_gt_u32_e32 vcc, s30, v1
	s_and_saveexec_b64 s[2:3], vcc
	s_cbranch_execz .LBB133_126
; %bb.125:
	v_add_co_u32_e32 v32, vcc, 0x1000, v2
	s_nop 1
	v_addc_co_u32_e32 v33, vcc, 0, v3, vcc
	s_waitcnt lgkmcnt(8)
	global_store_short v[32:33], v10, off offset:3584
.LBB133_126:
	s_or_b64 exec, exec, s[2:3]
	v_or_b32_e32 v1, 0x1000, v0
	v_cmp_gt_u32_e32 vcc, s30, v1
	s_and_saveexec_b64 s[2:3], vcc
	s_cbranch_execz .LBB133_128
; %bb.127:
	v_add_co_u32_e32 v32, vcc, 0x2000, v2
	s_nop 1
	v_addc_co_u32_e32 v33, vcc, 0, v3, vcc
	s_waitcnt lgkmcnt(7)
	global_store_short v[32:33], v25, off
.LBB133_128:
	s_or_b64 exec, exec, s[2:3]
	v_or_b32_e32 v1, 0x1100, v0
	v_cmp_gt_u32_e32 vcc, s30, v1
	s_and_saveexec_b64 s[2:3], vcc
	s_cbranch_execz .LBB133_130
; %bb.129:
	v_add_co_u32_e32 v32, vcc, 0x2000, v2
	s_nop 1
	v_addc_co_u32_e32 v33, vcc, 0, v3, vcc
	s_waitcnt lgkmcnt(6)
	global_store_short v[32:33], v28, off offset:512
.LBB133_130:
	s_or_b64 exec, exec, s[2:3]
	v_or_b32_e32 v1, 0x1200, v0
	v_cmp_gt_u32_e32 vcc, s30, v1
	s_and_saveexec_b64 s[2:3], vcc
	s_cbranch_execz .LBB133_132
; %bb.131:
	v_add_co_u32_e32 v32, vcc, 0x2000, v2
	s_nop 1
	v_addc_co_u32_e32 v33, vcc, 0, v3, vcc
	s_waitcnt lgkmcnt(5)
	global_store_short v[32:33], v27, off offset:1024
.LBB133_132:
	;; [unrolled: 12-line block ×7, first 2 shown]
	s_or_b64 exec, exec, s[2:3]
	s_load_dword s0, s[0:1], 0x50
	s_waitcnt lgkmcnt(0)
	s_bfe_u32 s0, s0, 0x10008
	s_cmp_eq_u32 s0, 0
	s_cbranch_scc1 .LBB133_150
; %bb.143:
	s_add_u32 s0, s30, -1
	s_addc_u32 s1, s31, -1
	s_add_u32 s2, 0, 0xaaaa0000
	s_addc_u32 s3, 0, 42
	s_add_i32 s3, s3, 0xaaaaa80
	s_mul_hi_u32 s9, s2, 0xffffffe8
	s_sub_i32 s9, s9, s2
	s_mul_i32 s10, s3, 0xffffffe8
	s_mul_i32 s4, s2, 0xffffffe8
	s_add_i32 s9, s9, s10
	s_mul_hi_u32 s5, s3, s4
	s_mul_i32 s8, s3, s4
	s_mul_i32 s11, s2, s9
	s_mul_hi_u32 s4, s2, s4
	s_mul_hi_u32 s10, s2, s9
	s_add_u32 s4, s4, s11
	s_addc_u32 s10, 0, s10
	s_add_u32 s4, s4, s8
	s_mul_hi_u32 s11, s3, s9
	s_addc_u32 s4, s10, s5
	s_addc_u32 s5, s11, 0
	s_mul_i32 s8, s3, s9
	s_add_u32 s4, s4, s8
	v_mov_b32_e32 v2, s4
	s_addc_u32 s5, 0, s5
	v_add_co_u32_e32 v2, vcc, s2, v2
	s_cmp_lg_u64 vcc, 0
	s_addc_u32 s2, s3, s5
	v_readfirstlane_b32 s5, v2
	s_mul_i32 s4, s0, s2
	s_mul_hi_u32 s8, s0, s5
	s_mul_hi_u32 s3, s0, s2
	s_add_u32 s4, s8, s4
	s_addc_u32 s3, 0, s3
	s_mul_hi_u32 s9, s1, s5
	s_mul_i32 s5, s1, s5
	s_add_u32 s4, s4, s5
	s_mul_hi_u32 s8, s1, s2
	s_addc_u32 s3, s3, s9
	s_addc_u32 s4, s8, 0
	s_mul_i32 s2, s1, s2
	s_add_u32 s2, s3, s2
	s_addc_u32 s3, 0, s4
	s_add_u32 s4, s2, 1
	s_addc_u32 s5, s3, 0
	s_add_u32 s8, s2, 2
	s_mul_i32 s10, s3, 24
	s_mul_hi_u32 s11, s2, 24
	s_addc_u32 s9, s3, 0
	s_add_i32 s11, s11, s10
	s_mul_i32 s10, s2, 24
	v_mov_b32_e32 v2, s10
	v_sub_co_u32_e32 v2, vcc, s0, v2
	s_cmp_lg_u64 vcc, 0
	s_subb_u32 s10, s1, s11
	v_subrev_co_u32_e32 v3, vcc, 24, v2
	s_cmp_lg_u64 vcc, 0
	s_subb_u32 s11, s10, 0
	v_readfirstlane_b32 s12, v3
	s_cmp_gt_u32 s12, 23
	s_cselect_b32 s12, -1, 0
	s_cmp_eq_u32 s11, 0
	s_cselect_b32 s11, s12, -1
	s_cmp_lg_u32 s11, 0
	s_cselect_b32 s4, s8, s4
	v_readfirstlane_b32 s8, v2
	s_cselect_b32 s5, s9, s5
	s_cmp_gt_u32 s8, 23
	s_cselect_b32 s8, -1, 0
	s_cmp_eq_u32 s10, 0
	s_cselect_b32 s8, s8, -1
	s_cmp_lg_u32 s8, 0
	v_mov_b32_e32 v1, v15
	s_cselect_b32 s3, s5, s3
	s_cselect_b32 s2, s4, s2
	v_cmp_eq_u64_e32 vcc, s[2:3], v[0:1]
	s_and_saveexec_b64 s[2:3], vcc
	s_cbranch_execz .LBB133_150
; %bb.144:
	v_mul_hi_u32_u24_e32 v1, 24, v0
	v_mov_b32_e32 v2, s1
	v_sub_co_u32_e32 v0, vcc, s0, v22
	s_mov_b64 s[0:1], 0
	s_nop 0
	v_subb_co_u32_e32 v1, vcc, v2, v1, vcc
	v_cmp_lt_i64_e32 vcc, 11, v[0:1]
	s_mov_b64 s[10:11], 0
	s_mov_b64 s[8:9], 0
	;; [unrolled: 1-line block ×3, first 2 shown]
	s_and_saveexec_b64 s[2:3], vcc
	s_xor_b64 s[2:3], exec, s[2:3]
	s_cbranch_execnz .LBB133_151
; %bb.145:
	s_andn2_saveexec_b64 s[2:3], s[2:3]
	s_cbranch_execnz .LBB133_196
.LBB133_146:
	s_or_b64 exec, exec, s[2:3]
	s_and_saveexec_b64 s[2:3], s[10:11]
	s_cbranch_execnz .LBB133_213
.LBB133_147:
	s_or_b64 exec, exec, s[2:3]
	s_and_saveexec_b64 s[2:3], s[8:9]
	s_cbranch_execnz .LBB133_214
.LBB133_148:
	s_or_b64 exec, exec, s[2:3]
	s_and_saveexec_b64 s[2:3], s[4:5]
	s_xor_b64 s[2:3], exec, s[2:3]
	s_cbranch_execnz .LBB133_215
.LBB133_149:
	s_or_b64 exec, exec, s[2:3]
	s_and_b64 exec, exec, s[0:1]
	s_cbranch_execnz .LBB133_216
.LBB133_150:
	s_endpgm
.LBB133_151:
	v_cmp_lt_i64_e32 vcc, 17, v[0:1]
	s_and_saveexec_b64 s[12:13], vcc
	s_xor_b64 s[12:13], exec, s[12:13]
	s_cbranch_execz .LBB133_173
; %bb.152:
	v_cmp_lt_i64_e32 vcc, 20, v[0:1]
                                        ; implicit-def: $vgpr10
	s_and_saveexec_b64 s[14:15], vcc
	s_xor_b64 s[14:15], exec, s[14:15]
	s_cbranch_execz .LBB133_162
; %bb.153:
	v_cmp_lt_i64_e32 vcc, 21, v[0:1]
	s_mov_b64 s[16:17], 0
                                        ; implicit-def: $vgpr10
	s_and_saveexec_b64 s[4:5], vcc
	s_xor_b64 s[4:5], exec, s[4:5]
	s_cbranch_execz .LBB133_159
; %bb.154:
	v_cmp_lt_i64_e32 vcc, 22, v[0:1]
	s_and_saveexec_b64 s[16:17], vcc
	s_xor_b64 s[16:17], exec, s[16:17]
	s_cbranch_execz .LBB133_156
; %bb.155:
	v_mov_b32_e32 v2, 0
	global_store_short v2, v30, s[6:7]
                                        ; implicit-def: $vgpr29
.LBB133_156:
	s_or_saveexec_b64 s[16:17], s[16:17]
	s_mov_b64 s[18:19], 0
	s_xor_b64 exec, exec, s[16:17]
; %bb.157:
	s_mov_b64 s[18:19], exec
; %bb.158:
	s_or_b64 exec, exec, s[16:17]
	s_and_b64 s[16:17], s[18:19], exec
	v_mov_b32_e32 v10, v29
                                        ; implicit-def: $vgpr11
.LBB133_159:
	s_andn2_saveexec_b64 s[4:5], s[4:5]
; %bb.160:
	s_mov_b64 s[8:9], exec
                                        ; implicit-def: $vgpr10
; %bb.161:
	s_or_b64 exec, exec, s[4:5]
	s_and_b64 s[4:5], s[16:17], exec
	s_and_b64 s[8:9], s[8:9], exec
                                        ; implicit-def: $vgpr27
                                        ; implicit-def: $vgpr12
                                        ; implicit-def: $vgpr24
.LBB133_162:
	s_andn2_saveexec_b64 s[14:15], s[14:15]
	s_cbranch_execz .LBB133_172
; %bb.163:
	v_cmp_lt_i64_e32 vcc, 18, v[0:1]
	s_mov_b64 s[16:17], 0
	s_and_saveexec_b64 s[10:11], vcc
	s_xor_b64 s[10:11], exec, s[10:11]
	s_cbranch_execz .LBB133_169
; %bb.164:
	v_cmp_lt_i64_e32 vcc, 19, v[0:1]
	s_and_saveexec_b64 s[18:19], vcc
	s_xor_b64 s[18:19], exec, s[18:19]
; %bb.165:
	s_mov_b64 s[16:17], exec
                                        ; implicit-def: $vgpr24
; %bb.166:
	s_andn2_saveexec_b64 s[18:19], s[18:19]
	s_cbranch_execz .LBB133_168
; %bb.167:
	v_mov_b32_e32 v2, 0
	global_store_short v2, v24, s[6:7]
                                        ; implicit-def: $vgpr12
.LBB133_168:
	s_or_b64 exec, exec, s[18:19]
	s_and_b64 s[16:17], s[16:17], exec
                                        ; implicit-def: $vgpr27
.LBB133_169:
	s_andn2_saveexec_b64 s[10:11], s[10:11]
	s_cbranch_execz .LBB133_171
; %bb.170:
	v_mov_b32_e32 v2, 0
	global_store_short v2, v27, s[6:7]
                                        ; implicit-def: $vgpr12
.LBB133_171:
	s_or_b64 exec, exec, s[10:11]
	s_and_b64 s[10:11], s[16:17], exec
                                        ; implicit-def: $vgpr10
                                        ; implicit-def: $vgpr11
.LBB133_172:
	s_or_b64 exec, exec, s[14:15]
	s_and_b64 s[4:5], s[4:5], exec
	s_and_b64 s[8:9], s[8:9], exec
	;; [unrolled: 1-line block ×3, first 2 shown]
                                        ; implicit-def: $vgpr20
                                        ; implicit-def: $vgpr13
                                        ; implicit-def: $vgpr16
                                        ; implicit-def: $vgpr25
                                        ; implicit-def: $vgpr28
.LBB133_173:
	s_andn2_saveexec_b64 s[12:13], s[12:13]
	s_cbranch_execz .LBB133_195
; %bb.174:
	v_cmp_lt_i64_e32 vcc, 14, v[0:1]
	s_mov_b64 s[14:15], s[4:5]
	s_and_saveexec_b64 s[16:17], vcc
	s_xor_b64 s[16:17], exec, s[16:17]
	s_cbranch_execz .LBB133_184
; %bb.175:
	v_cmp_lt_i64_e32 vcc, 15, v[0:1]
	s_and_saveexec_b64 s[14:15], vcc
	s_xor_b64 s[14:15], exec, s[14:15]
	s_cbranch_execz .LBB133_181
; %bb.176:
	v_cmp_lt_i64_e32 vcc, 16, v[0:1]
	s_and_saveexec_b64 s[18:19], vcc
	s_xor_b64 s[18:19], exec, s[18:19]
	s_cbranch_execz .LBB133_178
; %bb.177:
	v_mov_b32_e32 v2, 0
	global_store_short v2, v28, s[6:7]
                                        ; implicit-def: $vgpr25
.LBB133_178:
	s_andn2_saveexec_b64 s[18:19], s[18:19]
	s_cbranch_execz .LBB133_180
; %bb.179:
	v_mov_b32_e32 v2, 0
	global_store_short v2, v25, s[6:7]
.LBB133_180:
	s_or_b64 exec, exec, s[18:19]
                                        ; implicit-def: $vgpr10
.LBB133_181:
	s_or_saveexec_b64 s[14:15], s[14:15]
	s_mov_b64 s[18:19], s[4:5]
	s_xor_b64 exec, exec, s[14:15]
; %bb.182:
	s_or_b64 s[18:19], s[4:5], exec
; %bb.183:
	s_or_b64 exec, exec, s[14:15]
	s_andn2_b64 s[14:15], s[4:5], exec
	s_and_b64 s[18:19], s[18:19], exec
	s_or_b64 s[14:15], s[14:15], s[18:19]
                                        ; implicit-def: $vgpr20
                                        ; implicit-def: $vgpr13
                                        ; implicit-def: $vgpr16
.LBB133_184:
	s_or_saveexec_b64 s[16:17], s[16:17]
	s_mov_b64 s[18:19], s[8:9]
                                        ; implicit-def: $vgpr11
	s_xor_b64 exec, exec, s[16:17]
	s_cbranch_execz .LBB133_194
; %bb.185:
	v_cmp_lt_i64_e32 vcc, 12, v[0:1]
	s_mov_b64 s[20:21], s[8:9]
	s_mov_b64 s[22:23], s[14:15]
                                        ; implicit-def: $vgpr10
                                        ; implicit-def: $vgpr11
	s_and_saveexec_b64 s[18:19], vcc
	s_xor_b64 s[18:19], exec, s[18:19]
	s_cbranch_execz .LBB133_191
; %bb.186:
	v_cmp_lt_i64_e32 vcc, 13, v[0:1]
	s_mov_b64 s[20:21], s[14:15]
	s_and_saveexec_b64 s[22:23], vcc
	s_xor_b64 s[22:23], exec, s[22:23]
; %bb.187:
	s_or_b64 s[20:21], s[14:15], exec
                                        ; implicit-def: $vgpr13
; %bb.188:
	s_or_saveexec_b64 s[22:23], s[22:23]
	s_mov_b64 s[24:25], s[8:9]
	s_xor_b64 exec, exec, s[22:23]
; %bb.189:
	s_or_b64 s[24:25], s[8:9], exec
                                        ; implicit-def: $vgpr16
; %bb.190:
	s_or_b64 exec, exec, s[22:23]
	s_andn2_b64 s[22:23], s[14:15], exec
	s_and_b64 s[20:21], s[20:21], exec
	s_or_b64 s[22:23], s[22:23], s[20:21]
	s_andn2_b64 s[20:21], s[8:9], exec
	s_and_b64 s[24:25], s[24:25], exec
	s_or_b64 s[20:21], s[20:21], s[24:25]
	v_mov_b32_e32 v10, v16
	v_mov_b32_e32 v11, v13
                                        ; implicit-def: $vgpr20
.LBB133_191:
	s_andn2_saveexec_b64 s[18:19], s[18:19]
; %bb.192:
	s_or_b64 s[20:21], s[20:21], exec
                                        ; implicit-def: $vgpr10
	v_mov_b32_e32 v11, v20
; %bb.193:
	s_or_b64 exec, exec, s[18:19]
	s_andn2_b64 s[14:15], s[14:15], exec
	s_and_b64 s[18:19], s[22:23], exec
	s_or_b64 s[14:15], s[14:15], s[18:19]
	s_andn2_b64 s[18:19], s[8:9], exec
	s_and_b64 s[20:21], s[20:21], exec
	s_or_b64 s[18:19], s[18:19], s[20:21]
.LBB133_194:
	s_or_b64 exec, exec, s[16:17]
	s_andn2_b64 s[4:5], s[4:5], exec
	s_and_b64 s[14:15], s[14:15], exec
	s_or_b64 s[4:5], s[4:5], s[14:15]
	s_andn2_b64 s[8:9], s[8:9], exec
	s_and_b64 s[14:15], s[18:19], exec
	s_or_b64 s[8:9], s[8:9], s[14:15]
                                        ; implicit-def: $vgpr12
.LBB133_195:
	s_or_b64 exec, exec, s[12:13]
	s_and_b64 s[4:5], s[4:5], exec
	s_and_b64 s[8:9], s[8:9], exec
	;; [unrolled: 1-line block ×3, first 2 shown]
                                        ; implicit-def: $vgpr19
                                        ; implicit-def: $vgpr17
                                        ; implicit-def: $vgpr18
                                        ; implicit-def: $vgpr26
                                        ; implicit-def: $vgpr23
                                        ; implicit-def: $vgpr21
	s_andn2_saveexec_b64 s[2:3], s[2:3]
	s_cbranch_execz .LBB133_146
.LBB133_196:
	v_cmp_lt_i64_e32 vcc, 5, v[0:1]
	s_mov_b64 s[14:15], -1
	s_mov_b64 s[12:13], s[10:11]
	s_mov_b64 s[16:17], s[8:9]
	;; [unrolled: 1-line block ×3, first 2 shown]
                                        ; implicit-def: $vgpr10
                                        ; implicit-def: $vgpr11
                                        ; implicit-def: $vgpr12
	s_and_saveexec_b64 s[0:1], vcc
	s_cbranch_execz .LBB133_212
; %bb.197:
	v_cmp_lt_i64_e32 vcc, 8, v[0:1]
	s_mov_b64 s[12:13], s[10:11]
                                        ; implicit-def: $vgpr12
	s_and_saveexec_b64 s[14:15], vcc
	s_xor_b64 s[14:15], exec, s[14:15]
	s_cbranch_execz .LBB133_207
; %bb.198:
	v_cmp_lt_i64_e32 vcc, 9, v[0:1]
	s_and_saveexec_b64 s[12:13], vcc
	s_xor_b64 s[12:13], exec, s[12:13]
	s_cbranch_execz .LBB133_204
; %bb.199:
	v_cmp_lt_i64_e32 vcc, 10, v[0:1]
	s_and_saveexec_b64 s[16:17], vcc
	s_xor_b64 s[16:17], exec, s[16:17]
; %bb.200:
                                        ; implicit-def: $vgpr23
; %bb.201:
	s_andn2_saveexec_b64 s[16:17], s[16:17]
; %bb.202:
	v_mov_b32_e32 v21, v23
; %bb.203:
	s_or_b64 exec, exec, s[16:17]
                                        ; implicit-def: $vgpr26
.LBB133_204:
	s_andn2_saveexec_b64 s[12:13], s[12:13]
; %bb.205:
	v_mov_b32_e32 v21, v26
; %bb.206:
	s_or_b64 exec, exec, s[12:13]
	s_or_b64 s[12:13], s[10:11], exec
	v_mov_b32_e32 v12, v21
                                        ; implicit-def: $vgpr19
                                        ; implicit-def: $vgpr17
                                        ; implicit-def: $vgpr18
.LBB133_207:
	s_or_saveexec_b64 s[14:15], s[14:15]
	s_mov_b64 s[16:17], s[8:9]
	s_mov_b64 s[20:21], s[4:5]
                                        ; implicit-def: $vgpr10
                                        ; implicit-def: $vgpr11
	s_xor_b64 exec, exec, s[14:15]
	s_cbranch_execz .LBB133_211
; %bb.208:
	v_cmp_lt_i64_e32 vcc, 6, v[0:1]
	s_mov_b64 s[20:21], -1
	s_mov_b64 s[18:19], s[12:13]
	s_mov_b64 s[16:17], s[8:9]
	s_and_saveexec_b64 s[22:23], vcc
; %bb.209:
	v_cmp_lt_i64_e32 vcc, 7, v[0:1]
	s_andn2_b64 s[18:19], s[12:13], exec
	s_and_b64 s[24:25], vcc, exec
	s_xor_b64 s[20:21], exec, -1
	s_or_b64 s[16:17], s[8:9], exec
	s_or_b64 s[18:19], s[18:19], s[24:25]
                                        ; implicit-def: $vgpr19
; %bb.210:
	s_or_b64 exec, exec, s[22:23]
	s_andn2_b64 s[22:23], s[4:5], exec
	s_and_b64 s[20:21], s[20:21], exec
	s_or_b64 s[20:21], s[22:23], s[20:21]
	s_andn2_b64 s[22:23], s[8:9], exec
	s_and_b64 s[16:17], s[16:17], exec
	s_andn2_b64 s[12:13], s[12:13], exec
	s_and_b64 s[18:19], s[18:19], exec
	s_or_b64 s[16:17], s[22:23], s[16:17]
	s_or_b64 s[12:13], s[12:13], s[18:19]
	v_mov_b32_e32 v10, v19
	v_mov_b32_e32 v11, v17
	;; [unrolled: 1-line block ×3, first 2 shown]
.LBB133_211:
	s_or_b64 exec, exec, s[14:15]
	s_andn2_b64 s[18:19], s[4:5], exec
	s_and_b64 s[20:21], s[20:21], exec
	s_or_b64 s[18:19], s[18:19], s[20:21]
	s_andn2_b64 s[20:21], s[8:9], exec
	s_and_b64 s[16:17], s[16:17], exec
	s_or_b64 s[16:17], s[20:21], s[16:17]
	s_andn2_b64 s[20:21], s[10:11], exec
	s_and_b64 s[12:13], s[12:13], exec
	s_xor_b64 s[14:15], exec, -1
	s_or_b64 s[12:13], s[20:21], s[12:13]
.LBB133_212:
	s_or_b64 exec, exec, s[0:1]
	s_and_b64 s[0:1], s[14:15], exec
	s_andn2_b64 s[4:5], s[4:5], exec
	s_and_b64 s[14:15], s[18:19], exec
	s_or_b64 s[4:5], s[4:5], s[14:15]
	s_andn2_b64 s[8:9], s[8:9], exec
	s_and_b64 s[14:15], s[16:17], exec
	s_andn2_b64 s[10:11], s[10:11], exec
	s_and_b64 s[12:13], s[12:13], exec
	s_or_b64 s[8:9], s[8:9], s[14:15]
	s_or_b64 s[10:11], s[10:11], s[12:13]
	s_or_b64 exec, exec, s[2:3]
	s_and_saveexec_b64 s[2:3], s[10:11]
	s_cbranch_execz .LBB133_147
.LBB133_213:
	v_mov_b32_e32 v2, 0
	s_andn2_b64 s[8:9], s[8:9], exec
	global_store_short v2, v12, s[6:7]
                                        ; implicit-def: $vgpr10
                                        ; implicit-def: $vgpr11
	s_or_b64 exec, exec, s[2:3]
	s_and_saveexec_b64 s[2:3], s[8:9]
	s_cbranch_execz .LBB133_148
.LBB133_214:
	v_mov_b32_e32 v2, 0
	global_store_short v2, v11, s[6:7]
                                        ; implicit-def: $vgpr10
	s_or_b64 exec, exec, s[2:3]
	s_and_saveexec_b64 s[2:3], s[4:5]
	s_xor_b64 s[2:3], exec, s[2:3]
	s_cbranch_execz .LBB133_149
.LBB133_215:
	v_mov_b32_e32 v2, 0
	global_store_short v2, v10, s[6:7]
	s_or_b64 exec, exec, s[2:3]
	s_and_b64 exec, exec, s[0:1]
	s_cbranch_execz .LBB133_150
.LBB133_216:
	v_cmp_lt_i64_e32 vcc, 2, v[0:1]
	s_and_saveexec_b64 s[0:1], vcc
	s_xor_b64 s[0:1], exec, s[0:1]
	s_cbranch_execz .LBB133_226
; %bb.217:
	v_cmp_lt_i64_e32 vcc, 3, v[0:1]
	s_and_saveexec_b64 s[2:3], vcc
	s_xor_b64 s[2:3], exec, s[2:3]
	s_cbranch_execz .LBB133_223
; %bb.218:
	;; [unrolled: 5-line block ×3, first 2 shown]
	v_mov_b32_e32 v0, 0
	global_store_short v0, v9, s[6:7]
                                        ; implicit-def: $vgpr6
.LBB133_220:
	s_andn2_saveexec_b64 s[4:5], s[4:5]
	s_cbranch_execz .LBB133_222
; %bb.221:
	v_mov_b32_e32 v0, 0
	global_store_short v0, v6, s[6:7]
.LBB133_222:
	s_or_b64 exec, exec, s[4:5]
                                        ; implicit-def: $vgpr8
.LBB133_223:
	s_andn2_saveexec_b64 s[2:3], s[2:3]
	s_cbranch_execz .LBB133_225
; %bb.224:
	v_mov_b32_e32 v0, 0
	global_store_short v0, v8, s[6:7]
.LBB133_225:
	s_or_b64 exec, exec, s[2:3]
                                        ; implicit-def: $vgpr0_vgpr1
                                        ; implicit-def: $vgpr7
                                        ; implicit-def: $vgpr4
                                        ; implicit-def: $vgpr5
.LBB133_226:
	s_andn2_saveexec_b64 s[0:1], s[0:1]
	s_cbranch_execz .LBB133_150
; %bb.227:
	v_cmp_lt_i64_e32 vcc, 1, v[0:1]
	s_and_saveexec_b64 s[0:1], vcc
	s_xor_b64 s[0:1], exec, s[0:1]
	s_cbranch_execz .LBB133_229
; %bb.228:
	v_mov_b32_e32 v0, 0
	global_store_short v0, v7, s[6:7]
                                        ; implicit-def: $vgpr4
                                        ; implicit-def: $vgpr0_vgpr1
                                        ; implicit-def: $vgpr5
.LBB133_229:
	s_andn2_saveexec_b64 s[0:1], s[0:1]
	s_cbranch_execz .LBB133_150
; %bb.230:
	v_cmp_ne_u64_e32 vcc, 1, v[0:1]
	s_and_saveexec_b64 s[0:1], vcc
	s_xor_b64 s[0:1], exec, s[0:1]
	s_cbranch_execz .LBB133_232
; %bb.231:
	v_mov_b32_e32 v0, 0
	global_store_short v0, v5, s[6:7]
                                        ; implicit-def: $vgpr4
.LBB133_232:
	s_andn2_saveexec_b64 s[0:1], s[0:1]
	s_cbranch_execz .LBB133_150
; %bb.233:
	v_mov_b32_e32 v0, 0
	global_store_short v0, v4, s[6:7]
	s_endpgm
	.section	.rodata,"a",@progbits
	.p2align	6, 0x0
	.amdhsa_kernel _ZN7rocprim6detail20lookback_scan_kernelILNS0_25lookback_scan_determinismE0ELb1ENS0_19wrapped_scan_configINS_14default_configE6__halfEEN6hipcub22TransformInputIteratorIS5_NS7_6CastOpIS5_EEPS5_lEESB_NS7_3MaxENS_12future_valueIS5_SB_EES5_NS0_19lookback_scan_stateIS5_Lb0ELb1EEEEEvT2_T3_mT5_T4_T7_jPT6_SO_bb
		.amdhsa_group_segment_fixed_size 12288
		.amdhsa_private_segment_fixed_size 0
		.amdhsa_kernarg_size 84
		.amdhsa_user_sgpr_count 2
		.amdhsa_user_sgpr_dispatch_ptr 0
		.amdhsa_user_sgpr_queue_ptr 0
		.amdhsa_user_sgpr_kernarg_segment_ptr 1
		.amdhsa_user_sgpr_dispatch_id 0
		.amdhsa_user_sgpr_kernarg_preload_length 0
		.amdhsa_user_sgpr_kernarg_preload_offset 0
		.amdhsa_user_sgpr_private_segment_size 0
		.amdhsa_uses_dynamic_stack 0
		.amdhsa_enable_private_segment 0
		.amdhsa_system_sgpr_workgroup_id_x 1
		.amdhsa_system_sgpr_workgroup_id_y 0
		.amdhsa_system_sgpr_workgroup_id_z 0
		.amdhsa_system_sgpr_workgroup_info 0
		.amdhsa_system_vgpr_workitem_id 0
		.amdhsa_next_free_vgpr 60
		.amdhsa_next_free_sgpr 32
		.amdhsa_accum_offset 60
		.amdhsa_reserve_vcc 1
		.amdhsa_float_round_mode_32 0
		.amdhsa_float_round_mode_16_64 0
		.amdhsa_float_denorm_mode_32 3
		.amdhsa_float_denorm_mode_16_64 3
		.amdhsa_dx10_clamp 1
		.amdhsa_ieee_mode 1
		.amdhsa_fp16_overflow 0
		.amdhsa_tg_split 0
		.amdhsa_exception_fp_ieee_invalid_op 0
		.amdhsa_exception_fp_denorm_src 0
		.amdhsa_exception_fp_ieee_div_zero 0
		.amdhsa_exception_fp_ieee_overflow 0
		.amdhsa_exception_fp_ieee_underflow 0
		.amdhsa_exception_fp_ieee_inexact 0
		.amdhsa_exception_int_div_zero 0
	.end_amdhsa_kernel
	.section	.text._ZN7rocprim6detail20lookback_scan_kernelILNS0_25lookback_scan_determinismE0ELb1ENS0_19wrapped_scan_configINS_14default_configE6__halfEEN6hipcub22TransformInputIteratorIS5_NS7_6CastOpIS5_EEPS5_lEESB_NS7_3MaxENS_12future_valueIS5_SB_EES5_NS0_19lookback_scan_stateIS5_Lb0ELb1EEEEEvT2_T3_mT5_T4_T7_jPT6_SO_bb,"axG",@progbits,_ZN7rocprim6detail20lookback_scan_kernelILNS0_25lookback_scan_determinismE0ELb1ENS0_19wrapped_scan_configINS_14default_configE6__halfEEN6hipcub22TransformInputIteratorIS5_NS7_6CastOpIS5_EEPS5_lEESB_NS7_3MaxENS_12future_valueIS5_SB_EES5_NS0_19lookback_scan_stateIS5_Lb0ELb1EEEEEvT2_T3_mT5_T4_T7_jPT6_SO_bb,comdat
.Lfunc_end133:
	.size	_ZN7rocprim6detail20lookback_scan_kernelILNS0_25lookback_scan_determinismE0ELb1ENS0_19wrapped_scan_configINS_14default_configE6__halfEEN6hipcub22TransformInputIteratorIS5_NS7_6CastOpIS5_EEPS5_lEESB_NS7_3MaxENS_12future_valueIS5_SB_EES5_NS0_19lookback_scan_stateIS5_Lb0ELb1EEEEEvT2_T3_mT5_T4_T7_jPT6_SO_bb, .Lfunc_end133-_ZN7rocprim6detail20lookback_scan_kernelILNS0_25lookback_scan_determinismE0ELb1ENS0_19wrapped_scan_configINS_14default_configE6__halfEEN6hipcub22TransformInputIteratorIS5_NS7_6CastOpIS5_EEPS5_lEESB_NS7_3MaxENS_12future_valueIS5_SB_EES5_NS0_19lookback_scan_stateIS5_Lb0ELb1EEEEEvT2_T3_mT5_T4_T7_jPT6_SO_bb
                                        ; -- End function
	.section	.AMDGPU.csdata,"",@progbits
; Kernel info:
; codeLenInByte = 9828
; NumSgprs: 38
; NumVgprs: 60
; NumAgprs: 0
; TotalNumVgprs: 60
; ScratchSize: 0
; MemoryBound: 0
; FloatMode: 240
; IeeeMode: 1
; LDSByteSize: 12288 bytes/workgroup (compile time only)
; SGPRBlocks: 4
; VGPRBlocks: 7
; NumSGPRsForWavesPerEU: 38
; NumVGPRsForWavesPerEU: 60
; AccumOffset: 60
; Occupancy: 5
; WaveLimiterHint : 1
; COMPUTE_PGM_RSRC2:SCRATCH_EN: 0
; COMPUTE_PGM_RSRC2:USER_SGPR: 2
; COMPUTE_PGM_RSRC2:TRAP_HANDLER: 0
; COMPUTE_PGM_RSRC2:TGID_X_EN: 1
; COMPUTE_PGM_RSRC2:TGID_Y_EN: 0
; COMPUTE_PGM_RSRC2:TGID_Z_EN: 0
; COMPUTE_PGM_RSRC2:TIDIG_COMP_CNT: 0
; COMPUTE_PGM_RSRC3_GFX90A:ACCUM_OFFSET: 14
; COMPUTE_PGM_RSRC3_GFX90A:TG_SPLIT: 0
	.section	.text._ZN7rocprim6detail18single_scan_kernelILb1ENS0_19wrapped_scan_configINS_14default_configE6__halfEEN6hipcub22TransformInputIteratorIS4_NS6_6CastOpIS4_EEPS4_lEESA_NS6_3MaxENS_12future_valueIS4_SA_EES4_EEvT1_mT4_T2_T3_,"axG",@progbits,_ZN7rocprim6detail18single_scan_kernelILb1ENS0_19wrapped_scan_configINS_14default_configE6__halfEEN6hipcub22TransformInputIteratorIS4_NS6_6CastOpIS4_EEPS4_lEESA_NS6_3MaxENS_12future_valueIS4_SA_EES4_EEvT1_mT4_T2_T3_,comdat
	.protected	_ZN7rocprim6detail18single_scan_kernelILb1ENS0_19wrapped_scan_configINS_14default_configE6__halfEEN6hipcub22TransformInputIteratorIS4_NS6_6CastOpIS4_EEPS4_lEESA_NS6_3MaxENS_12future_valueIS4_SA_EES4_EEvT1_mT4_T2_T3_ ; -- Begin function _ZN7rocprim6detail18single_scan_kernelILb1ENS0_19wrapped_scan_configINS_14default_configE6__halfEEN6hipcub22TransformInputIteratorIS4_NS6_6CastOpIS4_EEPS4_lEESA_NS6_3MaxENS_12future_valueIS4_SA_EES4_EEvT1_mT4_T2_T3_
	.globl	_ZN7rocprim6detail18single_scan_kernelILb1ENS0_19wrapped_scan_configINS_14default_configE6__halfEEN6hipcub22TransformInputIteratorIS4_NS6_6CastOpIS4_EEPS4_lEESA_NS6_3MaxENS_12future_valueIS4_SA_EES4_EEvT1_mT4_T2_T3_
	.p2align	8
	.type	_ZN7rocprim6detail18single_scan_kernelILb1ENS0_19wrapped_scan_configINS_14default_configE6__halfEEN6hipcub22TransformInputIteratorIS4_NS6_6CastOpIS4_EEPS4_lEESA_NS6_3MaxENS_12future_valueIS4_SA_EES4_EEvT1_mT4_T2_T3_,@function
_ZN7rocprim6detail18single_scan_kernelILb1ENS0_19wrapped_scan_configINS_14default_configE6__halfEEN6hipcub22TransformInputIteratorIS4_NS6_6CastOpIS4_EEPS4_lEESA_NS6_3MaxENS_12future_valueIS4_SA_EES4_EEvT1_mT4_T2_T3_: ; @_ZN7rocprim6detail18single_scan_kernelILb1ENS0_19wrapped_scan_configINS_14default_configE6__halfEEN6hipcub22TransformInputIteratorIS4_NS6_6CastOpIS4_EEPS4_lEESA_NS6_3MaxENS_12future_valueIS4_SA_EES4_EEvT1_mT4_T2_T3_
; %bb.0:
	s_load_dwordx2 s[2:3], s[0:1], 0x0
	s_load_dwordx4 s[48:51], s[0:1], 0x10
	v_mov_b32_e32 v15, 0
	v_lshlrev_b32_e32 v14, 1, v0
	s_waitcnt lgkmcnt(0)
	global_load_ushort v4, v15, s[2:3]
	global_load_ushort v1, v15, s[50:51]
	v_lshl_add_u64 v[2:3], s[2:3], 0, v[14:15]
	v_cmp_gt_u32_e64 s[50:51], s48, v0
	s_waitcnt vmcnt(1)
	v_mov_b32_e32 v5, v4
	s_and_saveexec_b64 s[2:3], s[50:51]
	s_cbranch_execz .LBB134_2
; %bb.1:
	global_load_ushort v5, v[2:3], off
.LBB134_2:
	s_or_b64 exec, exec, s[2:3]
	v_or_b32_e32 v6, 0x100, v0
	v_cmp_gt_u32_e64 s[2:3], s48, v6
	v_mov_b32_e32 v6, v4
	s_and_saveexec_b64 s[4:5], s[2:3]
	s_cbranch_execz .LBB134_4
; %bb.3:
	global_load_ushort v6, v[2:3], off offset:512
.LBB134_4:
	s_or_b64 exec, exec, s[4:5]
	v_or_b32_e32 v7, 0x200, v0
	v_cmp_gt_u32_e64 s[4:5], s48, v7
	v_mov_b32_e32 v7, v4
	s_and_saveexec_b64 s[6:7], s[4:5]
	s_cbranch_execz .LBB134_6
; %bb.5:
	global_load_ushort v7, v[2:3], off offset:1024
.LBB134_6:
	;; [unrolled: 9-line block ×7, first 2 shown]
	s_or_b64 exec, exec, s[16:17]
	v_or_b32_e32 v13, 0x800, v0
	v_cmp_gt_u32_e64 s[16:17], s48, v13
	v_mov_b32_e32 v13, v4
	s_and_saveexec_b64 s[18:19], s[16:17]
	s_cbranch_execz .LBB134_18
; %bb.17:
	v_add_co_u32_e32 v16, vcc, 0x1000, v2
	s_nop 1
	v_addc_co_u32_e32 v17, vcc, 0, v3, vcc
	global_load_ushort v13, v[16:17], off
.LBB134_18:
	s_or_b64 exec, exec, s[18:19]
	v_or_b32_e32 v15, 0x900, v0
	v_cmp_gt_u32_e64 s[18:19], s48, v15
	v_mov_b32_e32 v15, v4
	s_and_saveexec_b64 s[20:21], s[18:19]
	s_cbranch_execz .LBB134_20
; %bb.19:
	v_add_co_u32_e32 v16, vcc, 0x1000, v2
	s_nop 1
	v_addc_co_u32_e32 v17, vcc, 0, v3, vcc
	global_load_ushort v15, v[16:17], off offset:512
.LBB134_20:
	s_or_b64 exec, exec, s[20:21]
	v_or_b32_e32 v16, 0xa00, v0
	v_cmp_gt_u32_e64 s[20:21], s48, v16
	v_mov_b32_e32 v16, v4
	s_and_saveexec_b64 s[22:23], s[20:21]
	s_cbranch_execz .LBB134_22
; %bb.21:
	v_add_co_u32_e32 v16, vcc, 0x1000, v2
	s_nop 1
	v_addc_co_u32_e32 v17, vcc, 0, v3, vcc
	global_load_ushort v16, v[16:17], off offset:1024
.LBB134_22:
	s_or_b64 exec, exec, s[22:23]
	v_or_b32_e32 v17, 0xb00, v0
	v_cmp_gt_u32_e64 s[22:23], s48, v17
	v_mov_b32_e32 v17, v4
	s_and_saveexec_b64 s[24:25], s[22:23]
	s_cbranch_execz .LBB134_24
; %bb.23:
	v_add_co_u32_e32 v18, vcc, 0x1000, v2
	s_nop 1
	v_addc_co_u32_e32 v19, vcc, 0, v3, vcc
	global_load_ushort v17, v[18:19], off offset:1536
.LBB134_24:
	s_or_b64 exec, exec, s[24:25]
	v_or_b32_e32 v18, 0xc00, v0
	v_cmp_gt_u32_e64 s[24:25], s48, v18
	v_mov_b32_e32 v18, v4
	s_and_saveexec_b64 s[26:27], s[24:25]
	s_cbranch_execz .LBB134_26
; %bb.25:
	v_add_co_u32_e32 v18, vcc, 0x1000, v2
	s_nop 1
	v_addc_co_u32_e32 v19, vcc, 0, v3, vcc
	global_load_ushort v18, v[18:19], off offset:2048
.LBB134_26:
	s_or_b64 exec, exec, s[26:27]
	v_or_b32_e32 v19, 0xd00, v0
	v_cmp_gt_u32_e64 s[26:27], s48, v19
	v_mov_b32_e32 v19, v4
	s_and_saveexec_b64 s[28:29], s[26:27]
	s_cbranch_execz .LBB134_28
; %bb.27:
	v_add_co_u32_e32 v20, vcc, 0x1000, v2
	s_nop 1
	v_addc_co_u32_e32 v21, vcc, 0, v3, vcc
	global_load_ushort v19, v[20:21], off offset:2560
.LBB134_28:
	s_or_b64 exec, exec, s[28:29]
	v_or_b32_e32 v20, 0xe00, v0
	v_cmp_gt_u32_e64 s[28:29], s48, v20
	v_mov_b32_e32 v20, v4
	s_and_saveexec_b64 s[30:31], s[28:29]
	s_cbranch_execz .LBB134_30
; %bb.29:
	v_add_co_u32_e32 v20, vcc, 0x1000, v2
	s_nop 1
	v_addc_co_u32_e32 v21, vcc, 0, v3, vcc
	global_load_ushort v20, v[20:21], off offset:3072
.LBB134_30:
	s_or_b64 exec, exec, s[30:31]
	v_or_b32_e32 v21, 0xf00, v0
	v_cmp_gt_u32_e64 s[30:31], s48, v21
	v_mov_b32_e32 v21, v4
	s_and_saveexec_b64 s[34:35], s[30:31]
	s_cbranch_execz .LBB134_32
; %bb.31:
	v_add_co_u32_e32 v22, vcc, 0x1000, v2
	s_nop 1
	v_addc_co_u32_e32 v23, vcc, 0, v3, vcc
	global_load_ushort v21, v[22:23], off offset:3584
.LBB134_32:
	s_or_b64 exec, exec, s[34:35]
	v_or_b32_e32 v22, 0x1000, v0
	v_cmp_gt_u32_e64 s[34:35], s48, v22
	v_mov_b32_e32 v22, v4
	s_and_saveexec_b64 s[36:37], s[34:35]
	s_cbranch_execz .LBB134_34
; %bb.33:
	v_add_co_u32_e32 v22, vcc, 0x2000, v2
	s_nop 1
	v_addc_co_u32_e32 v23, vcc, 0, v3, vcc
	global_load_ushort v22, v[22:23], off
.LBB134_34:
	s_or_b64 exec, exec, s[36:37]
	v_or_b32_e32 v23, 0x1100, v0
	v_cmp_gt_u32_e64 s[36:37], s48, v23
	v_mov_b32_e32 v23, v4
	s_and_saveexec_b64 s[38:39], s[36:37]
	s_cbranch_execz .LBB134_36
; %bb.35:
	v_add_co_u32_e32 v24, vcc, 0x2000, v2
	s_nop 1
	v_addc_co_u32_e32 v25, vcc, 0, v3, vcc
	global_load_ushort v23, v[24:25], off offset:512
.LBB134_36:
	s_or_b64 exec, exec, s[38:39]
	v_or_b32_e32 v24, 0x1200, v0
	v_cmp_gt_u32_e64 s[38:39], s48, v24
	v_mov_b32_e32 v24, v4
	s_and_saveexec_b64 s[40:41], s[38:39]
	s_cbranch_execz .LBB134_38
; %bb.37:
	v_add_co_u32_e32 v24, vcc, 0x2000, v2
	s_nop 1
	v_addc_co_u32_e32 v25, vcc, 0, v3, vcc
	global_load_ushort v24, v[24:25], off offset:1024
.LBB134_38:
	;; [unrolled: 12-line block ×6, first 2 shown]
	s_or_b64 exec, exec, s[52:53]
	v_or_b32_e32 v29, 0x1700, v0
	v_cmp_gt_u32_e64 s[48:49], s48, v29
	s_and_saveexec_b64 s[52:53], s[48:49]
	s_cbranch_execz .LBB134_48
; %bb.47:
	v_add_co_u32_e32 v2, vcc, 0x2000, v2
	s_nop 1
	v_addc_co_u32_e32 v3, vcc, 0, v3, vcc
	global_load_ushort v4, v[2:3], off offset:3584
.LBB134_48:
	s_or_b64 exec, exec, s[52:53]
	s_waitcnt vmcnt(0)
	ds_write_b16 v14, v5
	ds_write_b16 v14, v6 offset:512
	ds_write_b16 v14, v7 offset:1024
	;; [unrolled: 1-line block ×23, first 2 shown]
	v_mad_u32_u24 v15, v0, 46, v14
	s_waitcnt lgkmcnt(0)
	s_barrier
	ds_read_b128 v[10:13], v15
	ds_read_b128 v[6:9], v15 offset:16
	ds_read_b128 v[2:5], v15 offset:32
	s_load_dwordx2 s[52:53], s[0:1], 0x20
	s_waitcnt lgkmcnt(0)
	s_barrier
	v_lshrrev_b32_e32 v26, 16, v10
	v_cmp_lt_f16_e32 vcc, v10, v26
	v_lshrrev_b32_e32 v25, 16, v11
	v_lshrrev_b32_e32 v24, 16, v12
	v_cndmask_b32_e32 v28, v10, v26, vcc
	v_cmp_lt_f16_e32 vcc, v28, v11
	v_lshrrev_b32_e32 v23, 16, v13
	v_lshrrev_b32_e32 v22, 16, v6
	v_cndmask_b32_e32 v28, v28, v11, vcc
	;; [unrolled: 4-line block ×5, first 2 shown]
	v_cmp_lt_f16_e32 vcc, v28, v13
	v_lshrrev_b32_e32 v27, 16, v5
	s_nop 0
	v_cndmask_b32_e32 v28, v28, v13, vcc
	v_cmp_lt_f16_e32 vcc, v28, v23
	s_nop 1
	v_cndmask_b32_e32 v28, v28, v23, vcc
	v_cmp_lt_f16_e32 vcc, v28, v6
	;; [unrolled: 3-line block ×17, first 2 shown]
	s_nop 1
	v_cndmask_b32_e32 v28, v28, v27, vcc
	v_mbcnt_lo_u32_b32 v27, -1, 0
	v_mbcnt_hi_u32_b32 v27, -1, v27
	v_and_b32_e32 v30, 0xffff, v28
	v_and_b32_e32 v29, 15, v27
	v_cmp_eq_u32_e32 vcc, 0, v29
	v_mov_b32_dpp v30, v30 row_shr:1 row_mask:0xf bank_mask:0xf
	v_cmp_gt_f16_e64 s[0:1], v28, v30
	s_or_b64 vcc, vcc, s[0:1]
	v_cndmask_b32_e32 v28, v30, v28, vcc
	v_and_b32_e32 v30, 0xffff, v28
	s_nop 1
	v_mov_b32_dpp v30, v30 row_shr:2 row_mask:0xf bank_mask:0xf
	v_cmp_gt_f16_e32 vcc, v28, v30
	s_nop 1
	v_cndmask_b32_e32 v30, v30, v28, vcc
	v_cmp_lt_u32_e32 vcc, 1, v29
	s_nop 1
	v_cndmask_b32_e32 v28, v28, v30, vcc
	v_and_b32_e32 v30, 0xffff, v28
	s_nop 1
	v_mov_b32_dpp v30, v30 row_shr:4 row_mask:0xf bank_mask:0xf
	v_cmp_gt_f16_e32 vcc, v28, v30
	s_nop 1
	v_cndmask_b32_e32 v30, v30, v28, vcc
	v_cmp_lt_u32_e32 vcc, 3, v29
	s_nop 1
	v_cndmask_b32_e32 v28, v28, v30, vcc
	v_and_b32_e32 v30, 0xffff, v28
	s_nop 1
	v_mov_b32_dpp v30, v30 row_shr:8 row_mask:0xf bank_mask:0xf
	v_cmp_gt_f16_e32 vcc, v28, v30
	s_nop 1
	v_cndmask_b32_e32 v30, v30, v28, vcc
	v_cmp_lt_u32_e32 vcc, 7, v29
	s_nop 1
	v_cndmask_b32_e32 v28, v28, v30, vcc
	v_and_b32_e32 v29, 0xffff, v28
	v_and_b32_e32 v30, 16, v27
	v_cmp_eq_u32_e32 vcc, 0, v30
	v_mov_b32_dpp v29, v29 row_bcast:15 row_mask:0xf bank_mask:0xf
	v_cmp_gt_f16_e64 s[0:1], v28, v29
	s_or_b64 vcc, vcc, s[0:1]
	v_cndmask_b32_e32 v28, v29, v28, vcc
	v_and_b32_e32 v29, 0xffff, v28
	v_or_b32_e32 v30, 63, v0
	s_nop 0
	v_mov_b32_dpp v29, v29 row_bcast:31 row_mask:0xf bank_mask:0xf
	v_cmp_gt_f16_e32 vcc, v28, v29
	s_nop 1
	v_cndmask_b32_e32 v29, v29, v28, vcc
	v_cmp_lt_u32_e32 vcc, 31, v27
	s_nop 1
	v_cndmask_b32_e32 v28, v28, v29, vcc
	v_lshrrev_b32_e32 v29, 6, v0
	v_cmp_eq_u32_e32 vcc, v30, v0
	s_and_saveexec_b64 s[0:1], vcc
	s_cbranch_execz .LBB134_50
; %bb.49:
	v_lshlrev_b32_e32 v30, 1, v29
	ds_write_b16 v30, v28
.LBB134_50:
	s_or_b64 exec, exec, s[0:1]
	v_cmp_gt_u32_e32 vcc, 4, v0
	s_waitcnt lgkmcnt(0)
	s_barrier
	s_and_saveexec_b64 s[54:55], vcc
	s_cbranch_execz .LBB134_52
; %bb.51:
	ds_read_u16 v30, v14
	v_and_b32_e32 v31, 3, v27
	v_cmp_eq_u32_e32 vcc, 0, v31
	s_waitcnt lgkmcnt(0)
	v_and_b32_e32 v32, 0xffff, v30
	s_nop 1
	v_mov_b32_dpp v32, v32 row_shr:1 row_mask:0xf bank_mask:0xf
	v_cmp_lt_f16_e64 s[0:1], v32, v30
	s_or_b64 vcc, vcc, s[0:1]
	v_cndmask_b32_e32 v30, v32, v30, vcc
	v_and_b32_e32 v32, 0xffff, v30
	s_nop 1
	v_mov_b32_dpp v32, v32 row_shr:2 row_mask:0xf bank_mask:0xf
	v_cmp_gt_f16_e32 vcc, v30, v32
	s_nop 1
	v_cndmask_b32_e32 v32, v32, v30, vcc
	v_cmp_lt_u32_e32 vcc, 1, v31
	s_nop 1
	v_cndmask_b32_e32 v30, v30, v32, vcc
	ds_write_b16 v14, v30
.LBB134_52:
	s_or_b64 exec, exec, s[54:55]
	v_cmp_lt_u32_e32 vcc, 63, v0
	v_mov_b32_e32 v30, v1
	s_waitcnt lgkmcnt(0)
	s_barrier
	s_and_saveexec_b64 s[0:1], vcc
	s_cbranch_execz .LBB134_54
; %bb.53:
	v_lshl_add_u32 v29, v29, 1, -2
	ds_read_u16 v29, v29
	s_waitcnt lgkmcnt(0)
	v_cmp_gt_f16_e32 vcc, v29, v1
	s_nop 1
	v_cndmask_b32_e32 v30, v1, v29, vcc
.LBB134_54:
	s_or_b64 exec, exec, s[0:1]
	v_cmp_lt_f16_e32 vcc, v30, v28
	v_add_u32_e32 v29, -1, v27
	v_and_b32_e32 v31, 64, v27
	v_cndmask_b32_e32 v28, v30, v28, vcc
	v_cmp_lt_i32_e32 vcc, v29, v31
	v_and_b32_e32 v28, 0xffff, v28
	s_mov_b32 s0, 0x5040100
	v_cndmask_b32_e32 v29, v29, v27, vcc
	v_lshlrev_b32_e32 v29, 2, v29
	ds_bpermute_b32 v28, v29, v28
	v_cmp_eq_u32_e32 vcc, 0, v27
	s_waitcnt lgkmcnt(0)
	s_barrier
	v_cndmask_b32_e32 v27, v28, v30, vcc
	v_cmp_eq_u32_e32 vcc, 0, v0
	s_nop 1
	v_cndmask_b32_e32 v1, v27, v1, vcc
	v_cmp_lt_f16_e32 vcc, v1, v10
	s_nop 1
	v_cndmask_b32_e32 v10, v1, v10, vcc
	v_cmp_lt_f16_e32 vcc, v10, v26
	;; [unrolled: 3-line block ×18, first 2 shown]
	v_perm_b32 v2, v10, v1, s0
	s_nop 0
	v_cndmask_b32_e32 v18, v27, v18, vcc
	v_cmp_lt_f16_e32 vcc, v18, v3
	s_nop 1
	v_cndmask_b32_e32 v28, v18, v3, vcc
	v_cmp_lt_f16_e32 vcc, v28, v17
	v_perm_b32 v3, v11, v26, s0
	s_nop 0
	v_cndmask_b32_e32 v17, v28, v17, vcc
	v_cmp_lt_f16_e32 vcc, v17, v4
	s_nop 1
	v_cndmask_b32_e32 v29, v17, v4, vcc
	v_cmp_lt_f16_e32 vcc, v29, v16
	v_perm_b32 v4, v12, v25, s0
	s_nop 0
	v_cndmask_b32_e32 v16, v29, v16, vcc
	v_cmp_lt_f16_e32 vcc, v16, v5
	s_nop 1
	v_cndmask_b32_e32 v30, v16, v5, vcc
	v_perm_b32 v5, v13, v24, s0
	ds_write_b128 v15, v[2:5]
	v_perm_b32 v5, v9, v20, s0
	v_perm_b32 v4, v8, v21, s0
	;; [unrolled: 1-line block ×4, first 2 shown]
	ds_write_b128 v15, v[2:5] offset:16
	v_perm_b32 v5, v30, v16, s0
	v_perm_b32 v4, v29, v17, s0
	;; [unrolled: 1-line block ×4, first 2 shown]
	s_movk_i32 s0, 0xffd2
	v_mad_i32_i24 v0, v0, s0, v15
	ds_write_b128 v15, v[2:5] offset:32
	s_waitcnt lgkmcnt(0)
	s_barrier
	ds_read_u16 v25, v0 offset:512
	ds_read_u16 v24, v0 offset:1024
	;; [unrolled: 1-line block ×23, first 2 shown]
	v_mov_b32_e32 v15, 0
	v_lshl_add_u64 v[0:1], s[52:53], 0, v[14:15]
	s_and_saveexec_b64 s[0:1], s[50:51]
	s_cbranch_execnz .LBB134_79
; %bb.55:
	s_or_b64 exec, exec, s[0:1]
	s_and_saveexec_b64 s[0:1], s[2:3]
	s_cbranch_execnz .LBB134_80
.LBB134_56:
	s_or_b64 exec, exec, s[0:1]
	s_and_saveexec_b64 s[0:1], s[4:5]
	s_cbranch_execnz .LBB134_81
.LBB134_57:
	s_or_b64 exec, exec, s[0:1]
	s_and_saveexec_b64 s[0:1], s[6:7]
	s_cbranch_execnz .LBB134_82
.LBB134_58:
	s_or_b64 exec, exec, s[0:1]
	s_and_saveexec_b64 s[0:1], s[8:9]
	s_cbranch_execnz .LBB134_83
.LBB134_59:
	s_or_b64 exec, exec, s[0:1]
	s_and_saveexec_b64 s[0:1], s[10:11]
	s_cbranch_execnz .LBB134_84
.LBB134_60:
	s_or_b64 exec, exec, s[0:1]
	s_and_saveexec_b64 s[0:1], s[12:13]
	s_cbranch_execnz .LBB134_85
.LBB134_61:
	s_or_b64 exec, exec, s[0:1]
	s_and_saveexec_b64 s[0:1], s[14:15]
	s_cbranch_execnz .LBB134_86
.LBB134_62:
	s_or_b64 exec, exec, s[0:1]
	s_and_saveexec_b64 s[0:1], s[16:17]
	s_cbranch_execnz .LBB134_87
.LBB134_63:
	s_or_b64 exec, exec, s[0:1]
	s_and_saveexec_b64 s[0:1], s[18:19]
	s_cbranch_execnz .LBB134_88
.LBB134_64:
	s_or_b64 exec, exec, s[0:1]
	s_and_saveexec_b64 s[0:1], s[20:21]
	s_cbranch_execnz .LBB134_89
.LBB134_65:
	s_or_b64 exec, exec, s[0:1]
	s_and_saveexec_b64 s[0:1], s[22:23]
	s_cbranch_execnz .LBB134_90
.LBB134_66:
	s_or_b64 exec, exec, s[0:1]
	s_and_saveexec_b64 s[0:1], s[24:25]
	s_cbranch_execnz .LBB134_91
.LBB134_67:
	s_or_b64 exec, exec, s[0:1]
	s_and_saveexec_b64 s[0:1], s[26:27]
	s_cbranch_execnz .LBB134_92
.LBB134_68:
	s_or_b64 exec, exec, s[0:1]
	s_and_saveexec_b64 s[0:1], s[28:29]
	s_cbranch_execnz .LBB134_93
.LBB134_69:
	s_or_b64 exec, exec, s[0:1]
	s_and_saveexec_b64 s[0:1], s[30:31]
	s_cbranch_execnz .LBB134_94
.LBB134_70:
	s_or_b64 exec, exec, s[0:1]
	s_and_saveexec_b64 s[0:1], s[34:35]
	s_cbranch_execnz .LBB134_95
.LBB134_71:
	s_or_b64 exec, exec, s[0:1]
	s_and_saveexec_b64 s[0:1], s[36:37]
	s_cbranch_execnz .LBB134_96
.LBB134_72:
	s_or_b64 exec, exec, s[0:1]
	s_and_saveexec_b64 s[0:1], s[38:39]
	s_cbranch_execnz .LBB134_97
.LBB134_73:
	s_or_b64 exec, exec, s[0:1]
	s_and_saveexec_b64 s[0:1], s[40:41]
	s_cbranch_execnz .LBB134_98
.LBB134_74:
	s_or_b64 exec, exec, s[0:1]
	s_and_saveexec_b64 s[0:1], s[42:43]
	s_cbranch_execnz .LBB134_99
.LBB134_75:
	s_or_b64 exec, exec, s[0:1]
	s_and_saveexec_b64 s[0:1], s[44:45]
	s_cbranch_execnz .LBB134_100
.LBB134_76:
	s_or_b64 exec, exec, s[0:1]
	s_and_saveexec_b64 s[0:1], s[46:47]
	s_cbranch_execnz .LBB134_101
.LBB134_77:
	s_or_b64 exec, exec, s[0:1]
	s_and_saveexec_b64 s[0:1], s[48:49]
	s_cbranch_execnz .LBB134_102
.LBB134_78:
	s_endpgm
.LBB134_79:
	ds_read_u16 v14, v14
	s_waitcnt lgkmcnt(0)
	global_store_short v[0:1], v14, off
	s_or_b64 exec, exec, s[0:1]
	s_and_saveexec_b64 s[0:1], s[2:3]
	s_cbranch_execz .LBB134_56
.LBB134_80:
	s_waitcnt lgkmcnt(14)
	global_store_short v[0:1], v25, off offset:512
	s_or_b64 exec, exec, s[0:1]
	s_and_saveexec_b64 s[0:1], s[4:5]
	s_cbranch_execz .LBB134_57
.LBB134_81:
	s_waitcnt lgkmcnt(14)
	global_store_short v[0:1], v24, off offset:1024
	s_or_b64 exec, exec, s[0:1]
	s_and_saveexec_b64 s[0:1], s[6:7]
	s_cbranch_execz .LBB134_58
.LBB134_82:
	s_waitcnt lgkmcnt(14)
	global_store_short v[0:1], v23, off offset:1536
	s_or_b64 exec, exec, s[0:1]
	s_and_saveexec_b64 s[0:1], s[8:9]
	s_cbranch_execz .LBB134_59
.LBB134_83:
	s_waitcnt lgkmcnt(1)
	global_store_short v[0:1], v26, off offset:2048
	s_or_b64 exec, exec, s[0:1]
	s_and_saveexec_b64 s[0:1], s[10:11]
	s_cbranch_execz .LBB134_60
.LBB134_84:
	s_waitcnt lgkmcnt(14)
	global_store_short v[0:1], v22, off offset:2560
	s_or_b64 exec, exec, s[0:1]
	s_and_saveexec_b64 s[0:1], s[12:13]
	s_cbranch_execz .LBB134_61
.LBB134_85:
	s_waitcnt lgkmcnt(14)
	global_store_short v[0:1], v21, off offset:3072
	s_or_b64 exec, exec, s[0:1]
	s_and_saveexec_b64 s[0:1], s[14:15]
	s_cbranch_execz .LBB134_62
.LBB134_86:
	s_waitcnt lgkmcnt(14)
	global_store_short v[0:1], v20, off offset:3584
	s_or_b64 exec, exec, s[0:1]
	s_and_saveexec_b64 s[0:1], s[16:17]
	s_cbranch_execz .LBB134_63
.LBB134_87:
	v_add_co_u32_e32 v14, vcc, 0x1000, v0
	s_nop 1
	v_addc_co_u32_e32 v15, vcc, 0, v1, vcc
	s_waitcnt lgkmcnt(14)
	global_store_short v[14:15], v19, off
	s_or_b64 exec, exec, s[0:1]
	s_and_saveexec_b64 s[0:1], s[18:19]
	s_cbranch_execz .LBB134_64
.LBB134_88:
	v_add_co_u32_e32 v14, vcc, 0x1000, v0
	s_nop 1
	v_addc_co_u32_e32 v15, vcc, 0, v1, vcc
	s_waitcnt lgkmcnt(14)
	global_store_short v[14:15], v18, off offset:512
	s_or_b64 exec, exec, s[0:1]
	s_and_saveexec_b64 s[0:1], s[20:21]
	s_cbranch_execz .LBB134_65
.LBB134_89:
	v_add_co_u32_e32 v14, vcc, 0x1000, v0
	s_nop 1
	v_addc_co_u32_e32 v15, vcc, 0, v1, vcc
	s_waitcnt lgkmcnt(14)
	global_store_short v[14:15], v17, off offset:1024
	s_or_b64 exec, exec, s[0:1]
	s_and_saveexec_b64 s[0:1], s[22:23]
	s_cbranch_execz .LBB134_66
.LBB134_90:
	v_add_co_u32_e32 v14, vcc, 0x1000, v0
	s_nop 1
	v_addc_co_u32_e32 v15, vcc, 0, v1, vcc
	s_waitcnt lgkmcnt(10)
	global_store_short v[14:15], v16, off offset:1536
	s_or_b64 exec, exec, s[0:1]
	s_and_saveexec_b64 s[0:1], s[24:25]
	s_cbranch_execz .LBB134_67
.LBB134_91:
	v_add_co_u32_e32 v14, vcc, 0x1000, v0
	s_nop 1
	v_addc_co_u32_e32 v15, vcc, 0, v1, vcc
	s_waitcnt lgkmcnt(13)
	global_store_short v[14:15], v13, off offset:2048
	s_or_b64 exec, exec, s[0:1]
	s_and_saveexec_b64 s[0:1], s[26:27]
	s_cbranch_execz .LBB134_68
.LBB134_92:
	v_add_co_u32_e32 v14, vcc, 0x1000, v0
	s_nop 1
	v_addc_co_u32_e32 v15, vcc, 0, v1, vcc
	s_waitcnt lgkmcnt(9)
	global_store_short v[14:15], v12, off offset:2560
	s_or_b64 exec, exec, s[0:1]
	s_and_saveexec_b64 s[0:1], s[28:29]
	s_cbranch_execz .LBB134_69
.LBB134_93:
	s_waitcnt lgkmcnt(9)
	v_add_co_u32_e32 v12, vcc, 0x1000, v0
	s_nop 1
	v_addc_co_u32_e32 v13, vcc, 0, v1, vcc
	s_waitcnt lgkmcnt(8)
	global_store_short v[12:13], v11, off offset:3072
	s_or_b64 exec, exec, s[0:1]
	s_and_saveexec_b64 s[0:1], s[30:31]
	s_cbranch_execz .LBB134_70
.LBB134_94:
	s_waitcnt lgkmcnt(9)
	v_add_co_u32_e32 v12, vcc, 0x1000, v0
	s_nop 1
	v_addc_co_u32_e32 v13, vcc, 0, v1, vcc
	s_waitcnt lgkmcnt(7)
	global_store_short v[12:13], v10, off offset:3584
	s_or_b64 exec, exec, s[0:1]
	s_and_saveexec_b64 s[0:1], s[34:35]
	s_cbranch_execz .LBB134_71
.LBB134_95:
	s_waitcnt lgkmcnt(7)
	v_add_co_u32_e32 v10, vcc, 0x2000, v0
	s_nop 1
	v_addc_co_u32_e32 v11, vcc, 0, v1, vcc
	global_store_short v[10:11], v9, off
	s_or_b64 exec, exec, s[0:1]
	s_and_saveexec_b64 s[0:1], s[36:37]
	s_cbranch_execz .LBB134_72
.LBB134_96:
	s_waitcnt lgkmcnt(7)
	v_add_co_u32_e32 v10, vcc, 0x2000, v0
	s_nop 1
	v_addc_co_u32_e32 v11, vcc, 0, v1, vcc
	s_waitcnt lgkmcnt(6)
	global_store_short v[10:11], v8, off offset:512
	s_or_b64 exec, exec, s[0:1]
	s_and_saveexec_b64 s[0:1], s[38:39]
	s_cbranch_execz .LBB134_73
.LBB134_97:
	s_waitcnt lgkmcnt(6)
	v_add_co_u32_e32 v8, vcc, 0x2000, v0
	s_nop 1
	v_addc_co_u32_e32 v9, vcc, 0, v1, vcc
	s_waitcnt lgkmcnt(5)
	global_store_short v[8:9], v7, off offset:1024
	s_or_b64 exec, exec, s[0:1]
	s_and_saveexec_b64 s[0:1], s[40:41]
	s_cbranch_execz .LBB134_74
.LBB134_98:
	s_waitcnt lgkmcnt(6)
	v_add_co_u32_e32 v8, vcc, 0x2000, v0
	s_nop 1
	v_addc_co_u32_e32 v9, vcc, 0, v1, vcc
	s_waitcnt lgkmcnt(4)
	global_store_short v[8:9], v6, off offset:1536
	s_or_b64 exec, exec, s[0:1]
	s_and_saveexec_b64 s[0:1], s[42:43]
	s_cbranch_execz .LBB134_75
.LBB134_99:
	s_waitcnt lgkmcnt(4)
	v_add_co_u32_e32 v6, vcc, 0x2000, v0
	s_nop 1
	v_addc_co_u32_e32 v7, vcc, 0, v1, vcc
	global_store_short v[6:7], v5, off offset:2048
	s_or_b64 exec, exec, s[0:1]
	s_and_saveexec_b64 s[0:1], s[44:45]
	s_cbranch_execz .LBB134_76
.LBB134_100:
	s_waitcnt lgkmcnt(4)
	v_add_co_u32_e32 v6, vcc, 0x2000, v0
	s_nop 1
	v_addc_co_u32_e32 v7, vcc, 0, v1, vcc
	s_waitcnt lgkmcnt(3)
	global_store_short v[6:7], v4, off offset:2560
	s_or_b64 exec, exec, s[0:1]
	s_and_saveexec_b64 s[0:1], s[46:47]
	s_cbranch_execz .LBB134_77
.LBB134_101:
	s_waitcnt lgkmcnt(3)
	v_add_co_u32_e32 v4, vcc, 0x2000, v0
	s_nop 1
	v_addc_co_u32_e32 v5, vcc, 0, v1, vcc
	s_waitcnt lgkmcnt(2)
	global_store_short v[4:5], v3, off offset:3072
	s_or_b64 exec, exec, s[0:1]
	s_and_saveexec_b64 s[0:1], s[48:49]
	s_cbranch_execz .LBB134_78
.LBB134_102:
	v_add_co_u32_e32 v0, vcc, 0x2000, v0
	s_nop 1
	v_addc_co_u32_e32 v1, vcc, 0, v1, vcc
	s_waitcnt lgkmcnt(0)
	global_store_short v[0:1], v2, off offset:3584
	s_endpgm
	.section	.rodata,"a",@progbits
	.p2align	6, 0x0
	.amdhsa_kernel _ZN7rocprim6detail18single_scan_kernelILb1ENS0_19wrapped_scan_configINS_14default_configE6__halfEEN6hipcub22TransformInputIteratorIS4_NS6_6CastOpIS4_EEPS4_lEESA_NS6_3MaxENS_12future_valueIS4_SA_EES4_EEvT1_mT4_T2_T3_
		.amdhsa_group_segment_fixed_size 12288
		.amdhsa_private_segment_fixed_size 0
		.amdhsa_kernarg_size 44
		.amdhsa_user_sgpr_count 2
		.amdhsa_user_sgpr_dispatch_ptr 0
		.amdhsa_user_sgpr_queue_ptr 0
		.amdhsa_user_sgpr_kernarg_segment_ptr 1
		.amdhsa_user_sgpr_dispatch_id 0
		.amdhsa_user_sgpr_kernarg_preload_length 0
		.amdhsa_user_sgpr_kernarg_preload_offset 0
		.amdhsa_user_sgpr_private_segment_size 0
		.amdhsa_uses_dynamic_stack 0
		.amdhsa_enable_private_segment 0
		.amdhsa_system_sgpr_workgroup_id_x 1
		.amdhsa_system_sgpr_workgroup_id_y 0
		.amdhsa_system_sgpr_workgroup_id_z 0
		.amdhsa_system_sgpr_workgroup_info 0
		.amdhsa_system_vgpr_workitem_id 0
		.amdhsa_next_free_vgpr 33
		.amdhsa_next_free_sgpr 56
		.amdhsa_accum_offset 36
		.amdhsa_reserve_vcc 1
		.amdhsa_float_round_mode_32 0
		.amdhsa_float_round_mode_16_64 0
		.amdhsa_float_denorm_mode_32 3
		.amdhsa_float_denorm_mode_16_64 3
		.amdhsa_dx10_clamp 1
		.amdhsa_ieee_mode 1
		.amdhsa_fp16_overflow 0
		.amdhsa_tg_split 0
		.amdhsa_exception_fp_ieee_invalid_op 0
		.amdhsa_exception_fp_denorm_src 0
		.amdhsa_exception_fp_ieee_div_zero 0
		.amdhsa_exception_fp_ieee_overflow 0
		.amdhsa_exception_fp_ieee_underflow 0
		.amdhsa_exception_fp_ieee_inexact 0
		.amdhsa_exception_int_div_zero 0
	.end_amdhsa_kernel
	.section	.text._ZN7rocprim6detail18single_scan_kernelILb1ENS0_19wrapped_scan_configINS_14default_configE6__halfEEN6hipcub22TransformInputIteratorIS4_NS6_6CastOpIS4_EEPS4_lEESA_NS6_3MaxENS_12future_valueIS4_SA_EES4_EEvT1_mT4_T2_T3_,"axG",@progbits,_ZN7rocprim6detail18single_scan_kernelILb1ENS0_19wrapped_scan_configINS_14default_configE6__halfEEN6hipcub22TransformInputIteratorIS4_NS6_6CastOpIS4_EEPS4_lEESA_NS6_3MaxENS_12future_valueIS4_SA_EES4_EEvT1_mT4_T2_T3_,comdat
.Lfunc_end134:
	.size	_ZN7rocprim6detail18single_scan_kernelILb1ENS0_19wrapped_scan_configINS_14default_configE6__halfEEN6hipcub22TransformInputIteratorIS4_NS6_6CastOpIS4_EEPS4_lEESA_NS6_3MaxENS_12future_valueIS4_SA_EES4_EEvT1_mT4_T2_T3_, .Lfunc_end134-_ZN7rocprim6detail18single_scan_kernelILb1ENS0_19wrapped_scan_configINS_14default_configE6__halfEEN6hipcub22TransformInputIteratorIS4_NS6_6CastOpIS4_EEPS4_lEESA_NS6_3MaxENS_12future_valueIS4_SA_EES4_EEvT1_mT4_T2_T3_
                                        ; -- End function
	.section	.AMDGPU.csdata,"",@progbits
; Kernel info:
; codeLenInByte = 4156
; NumSgprs: 62
; NumVgprs: 33
; NumAgprs: 0
; TotalNumVgprs: 33
; ScratchSize: 0
; MemoryBound: 0
; FloatMode: 240
; IeeeMode: 1
; LDSByteSize: 12288 bytes/workgroup (compile time only)
; SGPRBlocks: 7
; VGPRBlocks: 4
; NumSGPRsForWavesPerEU: 62
; NumVGPRsForWavesPerEU: 33
; AccumOffset: 36
; Occupancy: 5
; WaveLimiterHint : 0
; COMPUTE_PGM_RSRC2:SCRATCH_EN: 0
; COMPUTE_PGM_RSRC2:USER_SGPR: 2
; COMPUTE_PGM_RSRC2:TRAP_HANDLER: 0
; COMPUTE_PGM_RSRC2:TGID_X_EN: 1
; COMPUTE_PGM_RSRC2:TGID_Y_EN: 0
; COMPUTE_PGM_RSRC2:TGID_Z_EN: 0
; COMPUTE_PGM_RSRC2:TIDIG_COMP_CNT: 0
; COMPUTE_PGM_RSRC3_GFX90A:ACCUM_OFFSET: 8
; COMPUTE_PGM_RSRC3_GFX90A:TG_SPLIT: 0
	.section	.text._ZL18fill_initial_valueI6__halfEvPT_S1_,"axG",@progbits,_ZL18fill_initial_valueI6__halfEvPT_S1_,comdat
	.globl	_ZL18fill_initial_valueI6__halfEvPT_S1_ ; -- Begin function _ZL18fill_initial_valueI6__halfEvPT_S1_
	.p2align	8
	.type	_ZL18fill_initial_valueI6__halfEvPT_S1_,@function
_ZL18fill_initial_valueI6__halfEvPT_S1_: ; @_ZL18fill_initial_valueI6__halfEvPT_S1_
; %bb.0:
	s_load_dword s4, s[0:1], 0x8
	s_load_dwordx2 s[2:3], s[0:1], 0x0
	v_mov_b32_e32 v0, 0
	s_waitcnt lgkmcnt(0)
	v_mov_b32_e32 v1, s4
	global_store_short v0, v1, s[2:3]
	s_endpgm
	.section	.rodata,"a",@progbits
	.p2align	6, 0x0
	.amdhsa_kernel _ZL18fill_initial_valueI6__halfEvPT_S1_
		.amdhsa_group_segment_fixed_size 0
		.amdhsa_private_segment_fixed_size 0
		.amdhsa_kernarg_size 12
		.amdhsa_user_sgpr_count 2
		.amdhsa_user_sgpr_dispatch_ptr 0
		.amdhsa_user_sgpr_queue_ptr 0
		.amdhsa_user_sgpr_kernarg_segment_ptr 1
		.amdhsa_user_sgpr_dispatch_id 0
		.amdhsa_user_sgpr_kernarg_preload_length 0
		.amdhsa_user_sgpr_kernarg_preload_offset 0
		.amdhsa_user_sgpr_private_segment_size 0
		.amdhsa_uses_dynamic_stack 0
		.amdhsa_enable_private_segment 0
		.amdhsa_system_sgpr_workgroup_id_x 1
		.amdhsa_system_sgpr_workgroup_id_y 0
		.amdhsa_system_sgpr_workgroup_id_z 0
		.amdhsa_system_sgpr_workgroup_info 0
		.amdhsa_system_vgpr_workitem_id 0
		.amdhsa_next_free_vgpr 2
		.amdhsa_next_free_sgpr 5
		.amdhsa_accum_offset 4
		.amdhsa_reserve_vcc 0
		.amdhsa_float_round_mode_32 0
		.amdhsa_float_round_mode_16_64 0
		.amdhsa_float_denorm_mode_32 3
		.amdhsa_float_denorm_mode_16_64 3
		.amdhsa_dx10_clamp 1
		.amdhsa_ieee_mode 1
		.amdhsa_fp16_overflow 0
		.amdhsa_tg_split 0
		.amdhsa_exception_fp_ieee_invalid_op 0
		.amdhsa_exception_fp_denorm_src 0
		.amdhsa_exception_fp_ieee_div_zero 0
		.amdhsa_exception_fp_ieee_overflow 0
		.amdhsa_exception_fp_ieee_underflow 0
		.amdhsa_exception_fp_ieee_inexact 0
		.amdhsa_exception_int_div_zero 0
	.end_amdhsa_kernel
	.section	.text._ZL18fill_initial_valueI6__halfEvPT_S1_,"axG",@progbits,_ZL18fill_initial_valueI6__halfEvPT_S1_,comdat
.Lfunc_end135:
	.size	_ZL18fill_initial_valueI6__halfEvPT_S1_, .Lfunc_end135-_ZL18fill_initial_valueI6__halfEvPT_S1_
                                        ; -- End function
	.section	.AMDGPU.csdata,"",@progbits
; Kernel info:
; codeLenInByte = 40
; NumSgprs: 11
; NumVgprs: 2
; NumAgprs: 0
; TotalNumVgprs: 2
; ScratchSize: 0
; MemoryBound: 0
; FloatMode: 240
; IeeeMode: 1
; LDSByteSize: 0 bytes/workgroup (compile time only)
; SGPRBlocks: 1
; VGPRBlocks: 0
; NumSGPRsForWavesPerEU: 11
; NumVGPRsForWavesPerEU: 2
; AccumOffset: 4
; Occupancy: 8
; WaveLimiterHint : 0
; COMPUTE_PGM_RSRC2:SCRATCH_EN: 0
; COMPUTE_PGM_RSRC2:USER_SGPR: 2
; COMPUTE_PGM_RSRC2:TRAP_HANDLER: 0
; COMPUTE_PGM_RSRC2:TGID_X_EN: 1
; COMPUTE_PGM_RSRC2:TGID_Y_EN: 0
; COMPUTE_PGM_RSRC2:TGID_Z_EN: 0
; COMPUTE_PGM_RSRC2:TIDIG_COMP_CNT: 0
; COMPUTE_PGM_RSRC3_GFX90A:ACCUM_OFFSET: 0
; COMPUTE_PGM_RSRC3_GFX90A:TG_SPLIT: 0
	.section	.text._ZN7rocprim6detail20lookback_scan_kernelILNS0_25lookback_scan_determinismE0ELb1ENS0_19wrapped_scan_configINS_14default_configE12hip_bfloat16EEN6hipcub22TransformInputIteratorIS5_NS7_6CastOpIS5_EEPS5_lEESB_NS7_3MaxENS_12future_valueIS5_SB_EES5_NS0_19lookback_scan_stateIS5_Lb1ELb1EEEEEvT2_T3_mT5_T4_T7_jPT6_SO_bb,"axG",@progbits,_ZN7rocprim6detail20lookback_scan_kernelILNS0_25lookback_scan_determinismE0ELb1ENS0_19wrapped_scan_configINS_14default_configE12hip_bfloat16EEN6hipcub22TransformInputIteratorIS5_NS7_6CastOpIS5_EEPS5_lEESB_NS7_3MaxENS_12future_valueIS5_SB_EES5_NS0_19lookback_scan_stateIS5_Lb1ELb1EEEEEvT2_T3_mT5_T4_T7_jPT6_SO_bb,comdat
	.protected	_ZN7rocprim6detail20lookback_scan_kernelILNS0_25lookback_scan_determinismE0ELb1ENS0_19wrapped_scan_configINS_14default_configE12hip_bfloat16EEN6hipcub22TransformInputIteratorIS5_NS7_6CastOpIS5_EEPS5_lEESB_NS7_3MaxENS_12future_valueIS5_SB_EES5_NS0_19lookback_scan_stateIS5_Lb1ELb1EEEEEvT2_T3_mT5_T4_T7_jPT6_SO_bb ; -- Begin function _ZN7rocprim6detail20lookback_scan_kernelILNS0_25lookback_scan_determinismE0ELb1ENS0_19wrapped_scan_configINS_14default_configE12hip_bfloat16EEN6hipcub22TransformInputIteratorIS5_NS7_6CastOpIS5_EEPS5_lEESB_NS7_3MaxENS_12future_valueIS5_SB_EES5_NS0_19lookback_scan_stateIS5_Lb1ELb1EEEEEvT2_T3_mT5_T4_T7_jPT6_SO_bb
	.globl	_ZN7rocprim6detail20lookback_scan_kernelILNS0_25lookback_scan_determinismE0ELb1ENS0_19wrapped_scan_configINS_14default_configE12hip_bfloat16EEN6hipcub22TransformInputIteratorIS5_NS7_6CastOpIS5_EEPS5_lEESB_NS7_3MaxENS_12future_valueIS5_SB_EES5_NS0_19lookback_scan_stateIS5_Lb1ELb1EEEEEvT2_T3_mT5_T4_T7_jPT6_SO_bb
	.p2align	8
	.type	_ZN7rocprim6detail20lookback_scan_kernelILNS0_25lookback_scan_determinismE0ELb1ENS0_19wrapped_scan_configINS_14default_configE12hip_bfloat16EEN6hipcub22TransformInputIteratorIS5_NS7_6CastOpIS5_EEPS5_lEESB_NS7_3MaxENS_12future_valueIS5_SB_EES5_NS0_19lookback_scan_stateIS5_Lb1ELb1EEEEEvT2_T3_mT5_T4_T7_jPT6_SO_bb,@function
_ZN7rocprim6detail20lookback_scan_kernelILNS0_25lookback_scan_determinismE0ELb1ENS0_19wrapped_scan_configINS_14default_configE12hip_bfloat16EEN6hipcub22TransformInputIteratorIS5_NS7_6CastOpIS5_EEPS5_lEESB_NS7_3MaxENS_12future_valueIS5_SB_EES5_NS0_19lookback_scan_stateIS5_Lb1ELb1EEEEEvT2_T3_mT5_T4_T7_jPT6_SO_bb: ; @_ZN7rocprim6detail20lookback_scan_kernelILNS0_25lookback_scan_determinismE0ELb1ENS0_19wrapped_scan_configINS_14default_configE12hip_bfloat16EEN6hipcub22TransformInputIteratorIS5_NS7_6CastOpIS5_EEPS5_lEESB_NS7_3MaxENS_12future_valueIS5_SB_EES5_NS0_19lookback_scan_stateIS5_Lb1ELb1EEEEEvT2_T3_mT5_T4_T7_jPT6_SO_bb
; %bb.0:
	s_endpgm
	.section	.rodata,"a",@progbits
	.p2align	6, 0x0
	.amdhsa_kernel _ZN7rocprim6detail20lookback_scan_kernelILNS0_25lookback_scan_determinismE0ELb1ENS0_19wrapped_scan_configINS_14default_configE12hip_bfloat16EEN6hipcub22TransformInputIteratorIS5_NS7_6CastOpIS5_EEPS5_lEESB_NS7_3MaxENS_12future_valueIS5_SB_EES5_NS0_19lookback_scan_stateIS5_Lb1ELb1EEEEEvT2_T3_mT5_T4_T7_jPT6_SO_bb
		.amdhsa_group_segment_fixed_size 0
		.amdhsa_private_segment_fixed_size 0
		.amdhsa_kernarg_size 84
		.amdhsa_user_sgpr_count 2
		.amdhsa_user_sgpr_dispatch_ptr 0
		.amdhsa_user_sgpr_queue_ptr 0
		.amdhsa_user_sgpr_kernarg_segment_ptr 1
		.amdhsa_user_sgpr_dispatch_id 0
		.amdhsa_user_sgpr_kernarg_preload_length 0
		.amdhsa_user_sgpr_kernarg_preload_offset 0
		.amdhsa_user_sgpr_private_segment_size 0
		.amdhsa_uses_dynamic_stack 0
		.amdhsa_enable_private_segment 0
		.amdhsa_system_sgpr_workgroup_id_x 1
		.amdhsa_system_sgpr_workgroup_id_y 0
		.amdhsa_system_sgpr_workgroup_id_z 0
		.amdhsa_system_sgpr_workgroup_info 0
		.amdhsa_system_vgpr_workitem_id 0
		.amdhsa_next_free_vgpr 1
		.amdhsa_next_free_sgpr 0
		.amdhsa_accum_offset 4
		.amdhsa_reserve_vcc 0
		.amdhsa_float_round_mode_32 0
		.amdhsa_float_round_mode_16_64 0
		.amdhsa_float_denorm_mode_32 3
		.amdhsa_float_denorm_mode_16_64 3
		.amdhsa_dx10_clamp 1
		.amdhsa_ieee_mode 1
		.amdhsa_fp16_overflow 0
		.amdhsa_tg_split 0
		.amdhsa_exception_fp_ieee_invalid_op 0
		.amdhsa_exception_fp_denorm_src 0
		.amdhsa_exception_fp_ieee_div_zero 0
		.amdhsa_exception_fp_ieee_overflow 0
		.amdhsa_exception_fp_ieee_underflow 0
		.amdhsa_exception_fp_ieee_inexact 0
		.amdhsa_exception_int_div_zero 0
	.end_amdhsa_kernel
	.section	.text._ZN7rocprim6detail20lookback_scan_kernelILNS0_25lookback_scan_determinismE0ELb1ENS0_19wrapped_scan_configINS_14default_configE12hip_bfloat16EEN6hipcub22TransformInputIteratorIS5_NS7_6CastOpIS5_EEPS5_lEESB_NS7_3MaxENS_12future_valueIS5_SB_EES5_NS0_19lookback_scan_stateIS5_Lb1ELb1EEEEEvT2_T3_mT5_T4_T7_jPT6_SO_bb,"axG",@progbits,_ZN7rocprim6detail20lookback_scan_kernelILNS0_25lookback_scan_determinismE0ELb1ENS0_19wrapped_scan_configINS_14default_configE12hip_bfloat16EEN6hipcub22TransformInputIteratorIS5_NS7_6CastOpIS5_EEPS5_lEESB_NS7_3MaxENS_12future_valueIS5_SB_EES5_NS0_19lookback_scan_stateIS5_Lb1ELb1EEEEEvT2_T3_mT5_T4_T7_jPT6_SO_bb,comdat
.Lfunc_end136:
	.size	_ZN7rocprim6detail20lookback_scan_kernelILNS0_25lookback_scan_determinismE0ELb1ENS0_19wrapped_scan_configINS_14default_configE12hip_bfloat16EEN6hipcub22TransformInputIteratorIS5_NS7_6CastOpIS5_EEPS5_lEESB_NS7_3MaxENS_12future_valueIS5_SB_EES5_NS0_19lookback_scan_stateIS5_Lb1ELb1EEEEEvT2_T3_mT5_T4_T7_jPT6_SO_bb, .Lfunc_end136-_ZN7rocprim6detail20lookback_scan_kernelILNS0_25lookback_scan_determinismE0ELb1ENS0_19wrapped_scan_configINS_14default_configE12hip_bfloat16EEN6hipcub22TransformInputIteratorIS5_NS7_6CastOpIS5_EEPS5_lEESB_NS7_3MaxENS_12future_valueIS5_SB_EES5_NS0_19lookback_scan_stateIS5_Lb1ELb1EEEEEvT2_T3_mT5_T4_T7_jPT6_SO_bb
                                        ; -- End function
	.section	.AMDGPU.csdata,"",@progbits
; Kernel info:
; codeLenInByte = 4
; NumSgprs: 6
; NumVgprs: 0
; NumAgprs: 0
; TotalNumVgprs: 0
; ScratchSize: 0
; MemoryBound: 0
; FloatMode: 240
; IeeeMode: 1
; LDSByteSize: 0 bytes/workgroup (compile time only)
; SGPRBlocks: 0
; VGPRBlocks: 0
; NumSGPRsForWavesPerEU: 6
; NumVGPRsForWavesPerEU: 1
; AccumOffset: 4
; Occupancy: 8
; WaveLimiterHint : 0
; COMPUTE_PGM_RSRC2:SCRATCH_EN: 0
; COMPUTE_PGM_RSRC2:USER_SGPR: 2
; COMPUTE_PGM_RSRC2:TRAP_HANDLER: 0
; COMPUTE_PGM_RSRC2:TGID_X_EN: 1
; COMPUTE_PGM_RSRC2:TGID_Y_EN: 0
; COMPUTE_PGM_RSRC2:TGID_Z_EN: 0
; COMPUTE_PGM_RSRC2:TIDIG_COMP_CNT: 0
; COMPUTE_PGM_RSRC3_GFX90A:ACCUM_OFFSET: 0
; COMPUTE_PGM_RSRC3_GFX90A:TG_SPLIT: 0
	.section	.text._ZN7rocprim6detail20lookback_scan_kernelILNS0_25lookback_scan_determinismE0ELb1ENS0_19wrapped_scan_configINS_14default_configE12hip_bfloat16EEN6hipcub22TransformInputIteratorIS5_NS7_6CastOpIS5_EEPS5_lEESB_NS7_3MaxENS_12future_valueIS5_SB_EES5_NS0_19lookback_scan_stateIS5_Lb0ELb1EEEEEvT2_T3_mT5_T4_T7_jPT6_SO_bb,"axG",@progbits,_ZN7rocprim6detail20lookback_scan_kernelILNS0_25lookback_scan_determinismE0ELb1ENS0_19wrapped_scan_configINS_14default_configE12hip_bfloat16EEN6hipcub22TransformInputIteratorIS5_NS7_6CastOpIS5_EEPS5_lEESB_NS7_3MaxENS_12future_valueIS5_SB_EES5_NS0_19lookback_scan_stateIS5_Lb0ELb1EEEEEvT2_T3_mT5_T4_T7_jPT6_SO_bb,comdat
	.protected	_ZN7rocprim6detail20lookback_scan_kernelILNS0_25lookback_scan_determinismE0ELb1ENS0_19wrapped_scan_configINS_14default_configE12hip_bfloat16EEN6hipcub22TransformInputIteratorIS5_NS7_6CastOpIS5_EEPS5_lEESB_NS7_3MaxENS_12future_valueIS5_SB_EES5_NS0_19lookback_scan_stateIS5_Lb0ELb1EEEEEvT2_T3_mT5_T4_T7_jPT6_SO_bb ; -- Begin function _ZN7rocprim6detail20lookback_scan_kernelILNS0_25lookback_scan_determinismE0ELb1ENS0_19wrapped_scan_configINS_14default_configE12hip_bfloat16EEN6hipcub22TransformInputIteratorIS5_NS7_6CastOpIS5_EEPS5_lEESB_NS7_3MaxENS_12future_valueIS5_SB_EES5_NS0_19lookback_scan_stateIS5_Lb0ELb1EEEEEvT2_T3_mT5_T4_T7_jPT6_SO_bb
	.globl	_ZN7rocprim6detail20lookback_scan_kernelILNS0_25lookback_scan_determinismE0ELb1ENS0_19wrapped_scan_configINS_14default_configE12hip_bfloat16EEN6hipcub22TransformInputIteratorIS5_NS7_6CastOpIS5_EEPS5_lEESB_NS7_3MaxENS_12future_valueIS5_SB_EES5_NS0_19lookback_scan_stateIS5_Lb0ELb1EEEEEvT2_T3_mT5_T4_T7_jPT6_SO_bb
	.p2align	8
	.type	_ZN7rocprim6detail20lookback_scan_kernelILNS0_25lookback_scan_determinismE0ELb1ENS0_19wrapped_scan_configINS_14default_configE12hip_bfloat16EEN6hipcub22TransformInputIteratorIS5_NS7_6CastOpIS5_EEPS5_lEESB_NS7_3MaxENS_12future_valueIS5_SB_EES5_NS0_19lookback_scan_stateIS5_Lb0ELb1EEEEEvT2_T3_mT5_T4_T7_jPT6_SO_bb,@function
_ZN7rocprim6detail20lookback_scan_kernelILNS0_25lookback_scan_determinismE0ELb1ENS0_19wrapped_scan_configINS_14default_configE12hip_bfloat16EEN6hipcub22TransformInputIteratorIS5_NS7_6CastOpIS5_EEPS5_lEESB_NS7_3MaxENS_12future_valueIS5_SB_EES5_NS0_19lookback_scan_stateIS5_Lb0ELb1EEEEEvT2_T3_mT5_T4_T7_jPT6_SO_bb: ; @_ZN7rocprim6detail20lookback_scan_kernelILNS0_25lookback_scan_determinismE0ELb1ENS0_19wrapped_scan_configINS_14default_configE12hip_bfloat16EEN6hipcub22TransformInputIteratorIS5_NS7_6CastOpIS5_EEPS5_lEESB_NS7_3MaxENS_12future_valueIS5_SB_EES5_NS0_19lookback_scan_stateIS5_Lb0ELb1EEEEEvT2_T3_mT5_T4_T7_jPT6_SO_bb
; %bb.0:
	s_load_dwordx2 s[4:5], s[0:1], 0x20
	s_load_dword s3, s[0:1], 0x38
	v_mov_b32_e32 v15, 0
	v_lshlrev_b32_e32 v14, 1, v0
	s_waitcnt lgkmcnt(0)
	global_load_ushort v1, v15, s[4:5]
	s_load_dwordx2 s[24:25], s[0:1], 0x0
	s_load_dwordx4 s[20:23], s[0:1], 0x10
	s_add_i32 s3, s3, -1
	s_mul_i32 s6, s3, 0x1800
	s_mul_i32 s4, s2, 0x1800
	s_mov_b32 s5, 0
	s_waitcnt lgkmcnt(0)
	s_sub_u32 s30, s22, s6
	s_subb_u32 s31, s23, 0
	s_cmp_lg_u32 s2, s3
	s_cselect_b64 s[18:19], -1, 0
	s_lshl_b64 s[22:23], s[4:5], 1
	s_add_u32 s6, s24, s22
	s_addc_u32 s7, s25, s23
	s_mov_b64 s[4:5], -1
	s_and_b64 vcc, exec, s[18:19]
	s_cbranch_vccz .LBB137_2
; %bb.1:
	v_lshl_add_u64 v[2:3], s[6:7], 0, v[14:15]
	v_add_co_u32_e32 v4, vcc, 0x1000, v2
	global_load_ushort v6, v14, s[6:7]
	global_load_ushort v7, v14, s[6:7] offset:512
	global_load_ushort v8, v14, s[6:7] offset:1024
	global_load_ushort v9, v14, s[6:7] offset:1536
	global_load_ushort v10, v14, s[6:7] offset:2048
	global_load_ushort v11, v14, s[6:7] offset:2560
	global_load_ushort v12, v14, s[6:7] offset:3072
	global_load_ushort v13, v14, s[6:7] offset:3584
	v_addc_co_u32_e32 v5, vcc, 0, v3, vcc
	v_add_co_u32_e32 v2, vcc, 0x2000, v2
	global_load_ushort v15, v[4:5], off
	global_load_ushort v16, v[4:5], off offset:512
	global_load_ushort v17, v[4:5], off offset:1024
	;; [unrolled: 1-line block ×7, first 2 shown]
	v_addc_co_u32_e32 v3, vcc, 0, v3, vcc
	global_load_ushort v4, v[2:3], off
	global_load_ushort v5, v[2:3], off offset:512
	global_load_ushort v23, v[2:3], off offset:1024
	;; [unrolled: 1-line block ×7, first 2 shown]
	s_mov_b64 s[4:5], 0
	s_waitcnt vmcnt(23)
	ds_write_b16 v14, v6
	s_waitcnt vmcnt(22)
	ds_write_b16 v14, v7 offset:512
	s_waitcnt vmcnt(21)
	ds_write_b16 v14, v8 offset:1024
	;; [unrolled: 2-line block ×23, first 2 shown]
	s_waitcnt lgkmcnt(0)
	s_barrier
.LBB137_2:
	s_andn2_b64 vcc, exec, s[4:5]
	v_cmp_gt_u32_e64 s[4:5], s30, v0
	s_cbranch_vccnz .LBB137_52
; %bb.3:
	v_mov_b32_e32 v15, 0
	global_load_ushort v4, v15, s[6:7]
	v_lshl_add_u64 v[2:3], s[6:7], 0, v[14:15]
	s_waitcnt vmcnt(0)
	v_mov_b32_e32 v5, v4
	s_and_saveexec_b64 s[6:7], s[4:5]
	s_cbranch_execz .LBB137_5
; %bb.4:
	global_load_ushort v5, v[2:3], off
.LBB137_5:
	s_or_b64 exec, exec, s[6:7]
	v_or_b32_e32 v6, 0x100, v0
	v_cmp_gt_u32_e32 vcc, s30, v6
	v_mov_b32_e32 v6, v4
	s_and_saveexec_b64 s[4:5], vcc
	s_cbranch_execz .LBB137_7
; %bb.6:
	global_load_ushort v6, v[2:3], off offset:512
.LBB137_7:
	s_or_b64 exec, exec, s[4:5]
	v_or_b32_e32 v7, 0x200, v0
	v_cmp_gt_u32_e32 vcc, s30, v7
	v_mov_b32_e32 v7, v4
	s_and_saveexec_b64 s[4:5], vcc
	s_cbranch_execz .LBB137_9
; %bb.8:
	global_load_ushort v7, v[2:3], off offset:1024
.LBB137_9:
	;; [unrolled: 9-line block ×7, first 2 shown]
	s_or_b64 exec, exec, s[4:5]
	v_or_b32_e32 v13, 0x800, v0
	v_cmp_gt_u32_e32 vcc, s30, v13
	v_mov_b32_e32 v13, v4
	s_and_saveexec_b64 s[4:5], vcc
	s_cbranch_execz .LBB137_21
; %bb.20:
	v_add_co_u32_e32 v16, vcc, 0x1000, v2
	s_nop 1
	v_addc_co_u32_e32 v17, vcc, 0, v3, vcc
	global_load_ushort v13, v[16:17], off
.LBB137_21:
	s_or_b64 exec, exec, s[4:5]
	v_or_b32_e32 v15, 0x900, v0
	v_cmp_gt_u32_e32 vcc, s30, v15
	v_mov_b32_e32 v15, v4
	s_and_saveexec_b64 s[4:5], vcc
	s_cbranch_execz .LBB137_23
; %bb.22:
	v_add_co_u32_e32 v16, vcc, 0x1000, v2
	s_nop 1
	v_addc_co_u32_e32 v17, vcc, 0, v3, vcc
	global_load_ushort v15, v[16:17], off offset:512
.LBB137_23:
	s_or_b64 exec, exec, s[4:5]
	v_or_b32_e32 v16, 0xa00, v0
	v_cmp_gt_u32_e32 vcc, s30, v16
	v_mov_b32_e32 v16, v4
	s_and_saveexec_b64 s[4:5], vcc
	s_cbranch_execz .LBB137_25
; %bb.24:
	v_add_co_u32_e32 v16, vcc, 0x1000, v2
	s_nop 1
	v_addc_co_u32_e32 v17, vcc, 0, v3, vcc
	global_load_ushort v16, v[16:17], off offset:1024
.LBB137_25:
	;; [unrolled: 12-line block ×7, first 2 shown]
	s_or_b64 exec, exec, s[4:5]
	v_or_b32_e32 v22, 0x1000, v0
	v_cmp_gt_u32_e32 vcc, s30, v22
	v_mov_b32_e32 v22, v4
	s_and_saveexec_b64 s[4:5], vcc
	s_cbranch_execz .LBB137_37
; %bb.36:
	v_add_co_u32_e32 v22, vcc, 0x2000, v2
	s_nop 1
	v_addc_co_u32_e32 v23, vcc, 0, v3, vcc
	global_load_ushort v22, v[22:23], off
.LBB137_37:
	s_or_b64 exec, exec, s[4:5]
	v_or_b32_e32 v23, 0x1100, v0
	v_cmp_gt_u32_e32 vcc, s30, v23
	v_mov_b32_e32 v23, v4
	s_and_saveexec_b64 s[4:5], vcc
	s_cbranch_execz .LBB137_39
; %bb.38:
	v_add_co_u32_e32 v24, vcc, 0x2000, v2
	s_nop 1
	v_addc_co_u32_e32 v25, vcc, 0, v3, vcc
	global_load_ushort v23, v[24:25], off offset:512
.LBB137_39:
	s_or_b64 exec, exec, s[4:5]
	v_or_b32_e32 v24, 0x1200, v0
	v_cmp_gt_u32_e32 vcc, s30, v24
	v_mov_b32_e32 v24, v4
	s_and_saveexec_b64 s[4:5], vcc
	s_cbranch_execz .LBB137_41
; %bb.40:
	v_add_co_u32_e32 v24, vcc, 0x2000, v2
	s_nop 1
	v_addc_co_u32_e32 v25, vcc, 0, v3, vcc
	global_load_ushort v24, v[24:25], off offset:1024
.LBB137_41:
	;; [unrolled: 12-line block ×6, first 2 shown]
	s_or_b64 exec, exec, s[4:5]
	v_or_b32_e32 v29, 0x1700, v0
	v_cmp_gt_u32_e32 vcc, s30, v29
	s_and_saveexec_b64 s[4:5], vcc
	s_cbranch_execz .LBB137_51
; %bb.50:
	v_add_co_u32_e32 v2, vcc, 0x2000, v2
	s_nop 1
	v_addc_co_u32_e32 v3, vcc, 0, v3, vcc
	global_load_ushort v4, v[2:3], off offset:3584
.LBB137_51:
	s_or_b64 exec, exec, s[4:5]
	s_waitcnt vmcnt(0)
	ds_write_b16 v14, v5
	ds_write_b16 v14, v6 offset:512
	ds_write_b16 v14, v7 offset:1024
	;; [unrolled: 1-line block ×23, first 2 shown]
	s_waitcnt lgkmcnt(0)
	s_barrier
.LBB137_52:
	v_mul_u32_u24_e32 v22, 24, v0
	v_lshlrev_b32_e32 v23, 1, v22
	ds_read_b128 v[10:13], v23
	ds_read_b128 v[6:9], v23 offset:16
	ds_read_b128 v[2:5], v23 offset:32
	s_load_dwordx2 s[26:27], s[0:1], 0x30
	s_cmp_lg_u32 s2, 0
	v_mbcnt_lo_u32_b32 v60, -1, 0
	s_waitcnt lgkmcnt(0)
	v_lshrrev_b32_e32 v43, 16, v11
	v_lshrrev_b32_e32 v39, 16, v12
	;; [unrolled: 1-line block ×11, first 2 shown]
	v_lshlrev_b32_e32 v53, 16, v11
	v_lshlrev_b32_e32 v52, 16, v43
	;; [unrolled: 1-line block ×23, first 2 shown]
	v_lshrrev_b32_e32 v54, 16, v10
	v_lshrrev_b32_e32 v56, 6, v0
	v_or_b32_e32 v57, 63, v0
	s_barrier
	s_cbranch_scc0 .LBB137_83
; %bb.53:
	v_and_b32_e32 v61, 0xffff0000, v10
	v_cmp_lt_f32_e32 vcc, v55, v61
	s_nop 1
	v_cndmask_b32_e32 v16, v10, v54, vcc
	v_lshlrev_b32_e32 v17, 16, v16
	v_cmp_lt_f32_e32 vcc, v17, v53
	s_nop 1
	v_cndmask_b32_e32 v16, v16, v11, vcc
	v_lshlrev_b32_e32 v17, 16, v16
	;; [unrolled: 4-line block ×22, first 2 shown]
	v_cmp_lt_f32_e32 vcc, v17, v59
	v_mbcnt_hi_u32_b32 v17, -1, v60
	v_and_b32_e32 v18, 15, v17
	v_cndmask_b32_e32 v16, v16, v58, vcc
	v_and_b32_e32 v19, 0xffff, v16
	v_lshlrev_b32_e32 v62, 16, v16
	s_nop 0
	v_mov_b32_dpp v20, v19 row_shr:1 row_mask:0xf bank_mask:0xf
	v_lshlrev_b32_e32 v21, 16, v20
	v_cmp_lt_f32_e32 vcc, v21, v62
	s_nop 1
	v_cndmask_b32_e32 v20, v20, v16, vcc
	v_and_b32_e32 v21, 0xffff, v20
	v_cmp_eq_u32_e32 vcc, 0, v18
	s_nop 1
	v_cndmask_b32_e32 v19, v21, v19, vcc
	v_cndmask_b32_e32 v16, v20, v16, vcc
	v_lshlrev_b32_e32 v21, 16, v19
	v_mov_b32_dpp v20, v19 row_shr:2 row_mask:0xf bank_mask:0xf
	v_lshlrev_b32_e32 v62, 16, v20
	v_cmp_lt_f32_e32 vcc, v62, v21
	s_nop 1
	v_cndmask_b32_e32 v20, v20, v16, vcc
	v_and_b32_e32 v21, 0xffff, v20
	v_cmp_lt_u32_e32 vcc, 1, v18
	s_nop 1
	v_cndmask_b32_e32 v19, v19, v21, vcc
	v_cndmask_b32_e32 v16, v16, v20, vcc
	v_lshlrev_b32_e32 v21, 16, v19
	v_mov_b32_dpp v20, v19 row_shr:4 row_mask:0xf bank_mask:0xf
	v_lshlrev_b32_e32 v62, 16, v20
	v_cmp_lt_f32_e32 vcc, v62, v21
	s_nop 1
	v_cndmask_b32_e32 v20, v20, v16, vcc
	v_and_b32_e32 v21, 0xffff, v20
	v_cmp_lt_u32_e32 vcc, 3, v18
	;; [unrolled: 11-line block ×3, first 2 shown]
	s_nop 1
	v_cndmask_b32_e32 v18, v19, v21, vcc
	v_lshlrev_b32_e32 v21, 16, v18
	v_cndmask_b32_e32 v16, v16, v20, vcc
	v_mov_b32_dpp v19, v18 row_bcast:15 row_mask:0xf bank_mask:0xf
	v_lshlrev_b32_e32 v62, 16, v19
	v_cmp_lt_f32_e32 vcc, v62, v21
	v_and_b32_e32 v20, 16, v17
	s_nop 0
	v_cndmask_b32_e32 v19, v19, v16, vcc
	v_and_b32_e32 v21, 0xffff, v19
	v_cmp_eq_u32_e32 vcc, 0, v20
	s_nop 1
	v_cndmask_b32_e32 v18, v21, v18, vcc
	v_cndmask_b32_e32 v16, v19, v16, vcc
	s_nop 0
	v_mov_b32_dpp v19, v18 row_bcast:31 row_mask:0xf bank_mask:0xf
	v_lshlrev_b32_e32 v18, 16, v18
	v_lshlrev_b32_e32 v20, 16, v19
	v_cmp_lt_f32_e32 vcc, v20, v18
	s_nop 1
	v_cndmask_b32_e32 v18, v19, v16, vcc
	v_cmp_lt_u32_e32 vcc, 31, v17
	s_nop 1
	v_cndmask_b32_e32 v16, v16, v18, vcc
	v_cmp_eq_u32_e32 vcc, v57, v0
	s_and_saveexec_b64 s[4:5], vcc
	s_cbranch_execz .LBB137_55
; %bb.54:
	v_lshlrev_b32_e32 v18, 1, v56
	ds_write_b16 v18, v16
.LBB137_55:
	s_or_b64 exec, exec, s[4:5]
	v_cmp_gt_u32_e32 vcc, 4, v0
	s_waitcnt lgkmcnt(0)
	s_barrier
	s_and_saveexec_b64 s[4:5], vcc
	s_cbranch_execz .LBB137_57
; %bb.56:
	ds_read_u16 v18, v14
	v_and_b32_e32 v19, 3, v17
	s_waitcnt lgkmcnt(0)
	v_and_b32_e32 v20, 0xffff, v18
	s_nop 1
	v_mov_b32_dpp v62, v20 row_shr:1 row_mask:0xf bank_mask:0xf
	v_lshlrev_b32_e32 v21, 16, v18
	v_lshlrev_b32_e32 v63, 16, v62
	v_cmp_lt_f32_e32 vcc, v63, v21
	s_nop 1
	v_cndmask_b32_e32 v21, v62, v18, vcc
	v_and_b32_e32 v62, 0xffff, v21
	v_cmp_eq_u32_e32 vcc, 0, v19
	s_nop 1
	v_cndmask_b32_e32 v20, v62, v20, vcc
	v_cndmask_b32_e32 v18, v21, v18, vcc
	s_nop 0
	v_mov_b32_dpp v21, v20 row_shr:2 row_mask:0xf bank_mask:0xf
	v_lshlrev_b32_e32 v20, 16, v20
	v_lshlrev_b32_e32 v62, 16, v21
	v_cmp_lt_f32_e32 vcc, v62, v20
	s_nop 1
	v_cndmask_b32_e32 v20, v21, v18, vcc
	v_cmp_lt_u32_e32 vcc, 1, v19
	s_nop 1
	v_cndmask_b32_e32 v18, v18, v20, vcc
	ds_write_b16 v14, v18
.LBB137_57:
	s_or_b64 exec, exec, s[4:5]
	v_cmp_gt_u32_e32 vcc, 64, v0
	v_cmp_lt_u32_e64 s[4:5], 63, v0
	s_waitcnt lgkmcnt(0)
	s_barrier
	s_waitcnt lgkmcnt(0)
                                        ; implicit-def: $vgpr62
	s_and_saveexec_b64 s[6:7], s[4:5]
	s_cbranch_execz .LBB137_59
; %bb.58:
	v_lshl_add_u32 v18, v56, 1, -2
	ds_read_u16 v62, v18
	v_lshlrev_b32_e32 v18, 16, v16
	s_waitcnt lgkmcnt(0)
	v_lshlrev_b32_e32 v19, 16, v62
	v_cmp_lt_f32_e64 s[4:5], v19, v18
	s_nop 1
	v_cndmask_b32_e64 v16, v62, v16, s[4:5]
.LBB137_59:
	s_or_b64 exec, exec, s[6:7]
	v_add_u32_e32 v18, -1, v17
	v_and_b32_e32 v19, 64, v17
	v_cmp_lt_i32_e64 s[4:5], v18, v19
	v_and_b32_e32 v16, 0xffff, v16
	v_cmp_eq_u32_e64 s[6:7], 0, v17
	v_cndmask_b32_e64 v18, v18, v17, s[4:5]
	v_lshlrev_b32_e32 v18, 2, v18
	ds_bpermute_b32 v63, v18, v16
	s_and_saveexec_b64 s[28:29], vcc
	s_cbranch_execz .LBB137_82
; %bb.60:
	v_mov_b32_e32 v19, 0
	ds_read_u16 v64, v19 offset:6
	s_and_saveexec_b64 s[4:5], s[6:7]
	s_cbranch_execz .LBB137_62
; %bb.61:
	s_add_i32 s8, s2, 64
	s_mov_b32 s9, 0
	s_lshl_b64 s[8:9], s[8:9], 2
	s_add_u32 s8, s26, s8
	s_addc_u32 s9, s27, s9
	s_waitcnt lgkmcnt(0)
	v_or_b32_e32 v16, 0x10000, v64
	global_store_dword v19, v16, s[8:9] sc1
.LBB137_62:
	s_or_b64 exec, exec, s[4:5]
	v_xad_u32 v16, v17, -1, s2
	v_add_u32_e32 v18, 64, v16
	v_lshl_add_u64 v[20:21], v[18:19], 2, s[26:27]
	global_load_dword v80, v[20:21], off sc1
	s_waitcnt vmcnt(0)
	v_lshrrev_b32_e32 v65, 16, v80
	v_cmp_eq_u16_sdwa s[8:9], v65, v19 src0_sel:BYTE_0 src1_sel:DWORD
	s_and_saveexec_b64 s[4:5], s[8:9]
	s_cbranch_execz .LBB137_66
; %bb.63:
	s_mov_b64 s[8:9], 0
	v_mov_b32_e32 v18, 0
.LBB137_64:                             ; =>This Inner Loop Header: Depth=1
	global_load_dword v80, v[20:21], off sc1
	s_waitcnt vmcnt(0)
	v_lshrrev_b32_e32 v65, 16, v80
	v_cmp_ne_u16_sdwa s[10:11], v65, v18 src0_sel:BYTE_0 src1_sel:DWORD
	s_or_b64 s[8:9], s[10:11], s[8:9]
	s_andn2_b64 exec, exec, s[8:9]
	s_cbranch_execnz .LBB137_64
; %bb.65:
	s_or_b64 exec, exec, s[8:9]
.LBB137_66:
	s_or_b64 exec, exec, s[4:5]
	v_and_b32_e32 v77, 63, v17
	v_cmp_ne_u32_e32 vcc, 63, v77
	v_mov_b32_e32 v66, 2
	v_and_b32_e32 v69, 0xffff, v80
	v_addc_co_u32_e32 v67, vcc, 0, v17, vcc
	v_lshlrev_b32_e32 v67, 2, v67
	v_cmp_eq_u16_sdwa s[4:5], v65, v66 src0_sel:BYTE_0 src1_sel:DWORD
	v_lshlrev_b64 v[18:19], v17, -1
	ds_bpermute_b32 v70, v67, v69
	v_and_b32_e32 v20, s5, v19
	v_or_b32_e32 v20, 0x80000000, v20
	v_and_b32_e32 v21, s4, v18
	v_ffbl_b32_e32 v20, v20
	v_add_u32_e32 v20, 32, v20
	v_ffbl_b32_e32 v21, v21
	v_min_u32_e32 v82, v21, v20
	s_waitcnt lgkmcnt(0)
	v_lshlrev_b32_e32 v20, 16, v70
	v_lshlrev_b32_e32 v21, 16, v80
	v_cmp_lt_f32_e32 vcc, v20, v21
	v_add_u32_e32 v68, 1, v17
	v_cmp_le_u32_e64 s[8:9], v68, v82
	v_cndmask_b32_e32 v20, v70, v80, vcc
	v_and_b32_e32 v21, 0xffff, v20
	v_cmp_gt_u32_e32 vcc, 62, v77
	v_cndmask_b32_e64 v21, v69, v21, s[8:9]
	v_lshlrev_b32_e32 v72, 16, v21
	v_cndmask_b32_e64 v69, 0, 1, vcc
	v_lshlrev_b32_e32 v69, 1, v69
	v_add_lshl_u32 v69, v69, v17, 2
	ds_bpermute_b32 v71, v69, v21
	v_cndmask_b32_e64 v20, v80, v20, s[8:9]
	v_add_u32_e32 v70, 2, v17
	v_cmp_le_u32_e64 s[10:11], v70, v82
	v_cmp_gt_u32_e64 s[4:5], 32, v77
	s_waitcnt lgkmcnt(0)
	v_lshlrev_b32_e32 v73, 16, v71
	v_cmp_lt_f32_e32 vcc, v73, v72
	s_nop 1
	v_cndmask_b32_e32 v72, v71, v20, vcc
	v_and_b32_e32 v71, 0xffff, v72
	v_cmp_gt_u32_e32 vcc, 60, v77
	v_cndmask_b32_e64 v21, v21, v71, s[10:11]
	v_lshlrev_b32_e32 v74, 16, v21
	v_cndmask_b32_e64 v71, 0, 1, vcc
	v_lshlrev_b32_e32 v71, 2, v71
	v_add_lshl_u32 v71, v71, v17, 2
	ds_bpermute_b32 v73, v71, v21
	v_cndmask_b32_e64 v20, v20, v72, s[10:11]
	v_add_u32_e32 v72, 4, v17
	v_cmp_le_u32_e64 s[12:13], v72, v82
	s_waitcnt lgkmcnt(0)
	v_lshlrev_b32_e32 v75, 16, v73
	v_cmp_lt_f32_e32 vcc, v75, v74
	s_nop 1
	v_cndmask_b32_e32 v74, v73, v20, vcc
	v_and_b32_e32 v73, 0xffff, v74
	v_cmp_gt_u32_e32 vcc, 56, v77
	v_cndmask_b32_e64 v21, v21, v73, s[12:13]
	v_lshlrev_b32_e32 v76, 16, v21
	v_cndmask_b32_e64 v73, 0, 1, vcc
	v_lshlrev_b32_e32 v73, 3, v73
	v_add_lshl_u32 v73, v73, v17, 2
	ds_bpermute_b32 v75, v73, v21
	v_cndmask_b32_e64 v20, v20, v74, s[12:13]
	v_add_u32_e32 v74, 8, v17
	v_cmp_le_u32_e64 s[14:15], v74, v82
	s_waitcnt lgkmcnt(0)
	v_lshlrev_b32_e32 v78, 16, v75
	v_cmp_lt_f32_e32 vcc, v78, v76
	s_nop 1
	v_cndmask_b32_e32 v76, v75, v20, vcc
	v_and_b32_e32 v75, 0xffff, v76
	v_cmp_gt_u32_e32 vcc, 48, v77
	v_cndmask_b32_e64 v78, v21, v75, s[14:15]
	v_lshlrev_b32_e32 v79, 16, v78
	v_cndmask_b32_e64 v21, 0, 1, vcc
	v_lshlrev_b32_e32 v21, 4, v21
	v_add_lshl_u32 v75, v21, v17, 2
	ds_bpermute_b32 v21, v75, v78
	v_cndmask_b32_e64 v20, v20, v76, s[14:15]
	v_add_u32_e32 v76, 16, v17
	v_cndmask_b32_e64 v77, 0, 1, s[4:5]
	v_lshlrev_b32_e32 v77, 5, v77
	s_waitcnt lgkmcnt(0)
	v_lshlrev_b32_e32 v81, 16, v21
	v_cmp_lt_f32_e32 vcc, v81, v79
	v_add_lshl_u32 v77, v77, v17, 2
	s_nop 0
	v_cndmask_b32_e32 v21, v21, v20, vcc
	v_and_b32_e32 v79, 0xffff, v21
	v_cmp_le_u32_e32 vcc, v76, v82
	s_nop 1
	v_cndmask_b32_e32 v79, v78, v79, vcc
	v_add_u32_e32 v78, 32, v17
	v_cmp_le_u32_e64 s[16:17], v78, v82
	ds_bpermute_b32 v81, v77, v79
	s_or_b64 s[10:11], s[10:11], s[16:17]
	s_or_b64 s[8:9], s[8:9], s[10:11]
	s_or_b64 s[8:9], s[12:13], s[8:9]
	s_or_b64 s[8:9], s[14:15], s[8:9]
	v_cmp_gt_u32_e64 s[4:5], v78, v82
	s_or_b64 s[10:11], vcc, s[8:9]
	s_and_saveexec_b64 s[8:9], s[10:11]
	s_cbranch_execz .LBB137_68
; %bb.67:
	v_cndmask_b32_e32 v17, v20, v21, vcc
	s_waitcnt lgkmcnt(0)
	v_lshlrev_b32_e32 v20, 16, v81
	v_lshlrev_b32_e32 v21, 16, v79
	v_cmp_lt_f32_e32 vcc, v20, v21
	s_or_b64 vcc, s[4:5], vcc
	s_nop 0
	v_cndmask_b32_e32 v80, v81, v17, vcc
.LBB137_68:
	s_or_b64 exec, exec, s[8:9]
	v_mov_b32_e32 v17, 0
	s_branch .LBB137_70
.LBB137_69:                             ;   in Loop: Header=BB137_70 Depth=1
                                        ; implicit-def: $vgpr80
                                        ; implicit-def: $vgpr65
	s_cbranch_execnz .LBB137_78
.LBB137_70:                             ; =>This Loop Header: Depth=1
                                        ;     Child Loop BB137_73 Depth 2
	v_cmp_ne_u16_sdwa s[4:5], v65, v66 src0_sel:BYTE_0 src1_sel:DWORD
	v_mov_b32_e32 v79, v80
	s_nop 0
	v_cndmask_b32_e64 v20, 0, 1, s[4:5]
	;;#ASMSTART
	;;#ASMEND
	s_nop 0
	v_cmp_ne_u32_e32 vcc, 0, v20
	s_cmp_lg_u64 vcc, exec
	s_cbranch_scc1 .LBB137_69
; %bb.71:                               ;   in Loop: Header=BB137_70 Depth=1
	v_lshl_add_u64 v[20:21], v[16:17], 2, s[26:27]
	global_load_dword v80, v[20:21], off sc1
	s_waitcnt vmcnt(0)
	v_lshrrev_b32_e32 v65, 16, v80
	v_cmp_eq_u16_sdwa s[8:9], v65, v17 src0_sel:BYTE_0 src1_sel:DWORD
	s_and_saveexec_b64 s[4:5], s[8:9]
	s_cbranch_execz .LBB137_75
; %bb.72:                               ;   in Loop: Header=BB137_70 Depth=1
	s_mov_b64 s[8:9], 0
.LBB137_73:                             ;   Parent Loop BB137_70 Depth=1
                                        ; =>  This Inner Loop Header: Depth=2
	global_load_dword v80, v[20:21], off sc1
	s_waitcnt vmcnt(0)
	v_lshrrev_b32_e32 v65, 16, v80
	v_cmp_ne_u16_sdwa s[10:11], v65, v17 src0_sel:BYTE_0 src1_sel:DWORD
	s_or_b64 s[8:9], s[10:11], s[8:9]
	s_andn2_b64 exec, exec, s[8:9]
	s_cbranch_execnz .LBB137_73
; %bb.74:                               ;   in Loop: Header=BB137_70 Depth=1
	s_or_b64 exec, exec, s[8:9]
.LBB137_75:                             ;   in Loop: Header=BB137_70 Depth=1
	s_or_b64 exec, exec, s[4:5]
	s_waitcnt lgkmcnt(0)
	v_and_b32_e32 v81, 0xffff, v80
	v_cmp_eq_u16_sdwa s[4:5], v65, v66 src0_sel:BYTE_0 src1_sel:DWORD
	ds_bpermute_b32 v82, v67, v81
	s_nop 0
	v_and_b32_e32 v20, s5, v19
	v_or_b32_e32 v20, 0x80000000, v20
	v_and_b32_e32 v21, s4, v18
	v_ffbl_b32_e32 v20, v20
	v_add_u32_e32 v20, 32, v20
	v_ffbl_b32_e32 v21, v21
	v_min_u32_e32 v83, v21, v20
	v_lshlrev_b32_e32 v20, 16, v80
	s_waitcnt lgkmcnt(0)
	v_lshlrev_b32_e32 v21, 16, v82
	v_cmp_lt_f32_e32 vcc, v21, v20
	v_cmp_le_u32_e64 s[8:9], v68, v83
	v_cmp_le_u32_e64 s[10:11], v70, v83
	v_cndmask_b32_e32 v20, v82, v80, vcc
	v_and_b32_e32 v21, 0xffff, v20
	v_cndmask_b32_e64 v21, v81, v21, s[8:9]
	ds_bpermute_b32 v81, v69, v21
	v_lshlrev_b32_e32 v82, 16, v21
	v_cndmask_b32_e64 v20, v80, v20, s[8:9]
	v_cmp_le_u32_e64 s[12:13], v72, v83
	v_cmp_le_u32_e64 s[14:15], v74, v83
	s_waitcnt lgkmcnt(0)
	v_lshlrev_b32_e32 v84, 16, v81
	v_cmp_lt_f32_e32 vcc, v84, v82
	v_cmp_le_u32_e64 s[4:5], v76, v83
	v_cmp_le_u32_e64 s[16:17], v78, v83
	v_cndmask_b32_e32 v81, v81, v20, vcc
	v_and_b32_e32 v82, 0xffff, v81
	v_cndmask_b32_e64 v21, v21, v82, s[10:11]
	ds_bpermute_b32 v82, v71, v21
	v_cndmask_b32_e64 v20, v20, v81, s[10:11]
	v_lshlrev_b32_e32 v81, 16, v21
	s_or_b64 s[10:11], s[10:11], s[16:17]
	s_or_b64 s[8:9], s[8:9], s[10:11]
	s_waitcnt lgkmcnt(0)
	v_lshlrev_b32_e32 v84, 16, v82
	v_cmp_lt_f32_e32 vcc, v84, v81
	s_or_b64 s[8:9], s[12:13], s[8:9]
	s_or_b64 s[8:9], s[14:15], s[8:9]
	v_cndmask_b32_e32 v81, v82, v20, vcc
	v_and_b32_e32 v82, 0xffff, v81
	v_cndmask_b32_e64 v21, v21, v82, s[12:13]
	ds_bpermute_b32 v82, v73, v21
	v_cndmask_b32_e64 v20, v20, v81, s[12:13]
	v_lshlrev_b32_e32 v81, 16, v21
	s_or_b64 s[10:11], s[4:5], s[8:9]
	s_waitcnt lgkmcnt(0)
	v_lshlrev_b32_e32 v84, 16, v82
	v_cmp_lt_f32_e32 vcc, v84, v81
	s_nop 1
	v_cndmask_b32_e32 v81, v82, v20, vcc
	v_and_b32_e32 v82, 0xffff, v81
	v_cndmask_b32_e64 v21, v21, v82, s[14:15]
	ds_bpermute_b32 v82, v75, v21
	v_cndmask_b32_e64 v20, v20, v81, s[14:15]
	v_lshlrev_b32_e32 v81, 16, v21
	s_waitcnt lgkmcnt(0)
	v_lshlrev_b32_e32 v84, 16, v82
	v_cmp_lt_f32_e32 vcc, v84, v81
	s_nop 1
	v_cndmask_b32_e32 v81, v82, v20, vcc
	v_and_b32_e32 v82, 0xffff, v81
	v_cndmask_b32_e64 v82, v21, v82, s[4:5]
	ds_bpermute_b32 v21, v77, v82
	v_cmp_gt_u32_e32 vcc, v78, v83
	s_and_saveexec_b64 s[8:9], s[10:11]
	s_cbranch_execz .LBB137_77
; %bb.76:                               ;   in Loop: Header=BB137_70 Depth=1
	v_cndmask_b32_e64 v20, v20, v81, s[4:5]
	s_waitcnt lgkmcnt(0)
	v_lshlrev_b32_e32 v80, 16, v21
	v_lshlrev_b32_e32 v81, 16, v82
	v_cmp_lt_f32_e64 s[4:5], v80, v81
	s_or_b64 vcc, vcc, s[4:5]
	v_cndmask_b32_e32 v80, v21, v20, vcc
.LBB137_77:                             ;   in Loop: Header=BB137_70 Depth=1
	s_or_b64 exec, exec, s[8:9]
	v_lshlrev_b32_e32 v20, 16, v79
	s_waitcnt lgkmcnt(0)
	v_lshlrev_b32_e32 v21, 16, v80
	v_cmp_lt_f32_e32 vcc, v21, v20
	v_subrev_u32_e32 v16, 64, v16
	s_nop 0
	v_cndmask_b32_e32 v80, v80, v79, vcc
	s_branch .LBB137_70
.LBB137_78:
	s_and_saveexec_b64 s[4:5], s[6:7]
	s_cbranch_execz .LBB137_80
; %bb.79:
	v_lshlrev_b32_e32 v16, 16, v64
	v_lshlrev_b32_e32 v17, 16, v79
	s_add_i32 s2, s2, 64
	s_mov_b32 s3, 0
	v_cmp_lt_f32_e32 vcc, v17, v16
	s_lshl_b64 s[2:3], s[2:3], 2
	s_add_u32 s2, s26, s2
	v_cndmask_b32_e32 v16, v79, v64, vcc
	s_mov_b32 s8, 0x20000
	s_addc_u32 s3, s27, s3
	v_mov_b32_e32 v17, 0
	v_or_b32_sdwa v16, v16, s8 dst_sel:DWORD dst_unused:UNUSED_PAD src0_sel:WORD_0 src1_sel:DWORD
	global_store_dword v17, v16, s[2:3] sc1
.LBB137_80:
	s_or_b64 exec, exec, s[4:5]
	v_cmp_eq_u32_e32 vcc, 0, v0
	s_and_b64 exec, exec, vcc
	s_cbranch_execz .LBB137_82
; %bb.81:
	v_mov_b32_e32 v16, 0
	ds_write_b16 v16, v79 offset:6
.LBB137_82:
	s_or_b64 exec, exec, s[28:29]
	v_mov_b32_e32 v16, 0
	s_waitcnt lgkmcnt(0)
	s_barrier
	ds_read_u16 v16, v16 offset:6
	v_cndmask_b32_e64 v17, v63, v62, s[6:7]
	v_lshlrev_b32_e32 v18, 16, v17
	s_waitcnt lgkmcnt(0)
	v_lshlrev_b32_e32 v19, 16, v16
	v_cmp_lt_f32_e32 vcc, v19, v18
	s_nop 1
	v_cndmask_b32_e32 v17, v16, v17, vcc
	v_cmp_eq_u32_e32 vcc, 0, v0
	s_nop 1
	v_cndmask_b32_e32 v17, v17, v16, vcc
	v_lshlrev_b32_e32 v16, 16, v17
	v_cmp_gt_f32_e32 vcc, v55, v16
	s_nop 1
	v_cndmask_b32_e32 v16, v17, v10, vcc
	v_lshlrev_b32_e32 v18, 16, v16
	v_cmp_gt_f32_e32 vcc, v61, v18
	;; [unrolled: 4-line block ×23, first 2 shown]
	s_nop 1
	v_cndmask_b32_e32 v78, v77, v5, vcc
	s_load_dwordx4 s[4:7], s[0:1], 0x40
	s_branch .LBB137_97
.LBB137_83:
                                        ; implicit-def: $vgpr17
                                        ; implicit-def: $vgpr16
                                        ; implicit-def: $vgpr18
                                        ; implicit-def: $vgpr19
                                        ; implicit-def: $vgpr20
                                        ; implicit-def: $vgpr21
                                        ; implicit-def: $vgpr61
                                        ; implicit-def: $vgpr63
                                        ; implicit-def: $vgpr62
                                        ; implicit-def: $vgpr64
                                        ; implicit-def: $vgpr65
                                        ; implicit-def: $vgpr66
                                        ; implicit-def: $vgpr67
                                        ; implicit-def: $vgpr68
                                        ; implicit-def: $vgpr69
                                        ; implicit-def: $vgpr71
                                        ; implicit-def: $vgpr70
                                        ; implicit-def: $vgpr72
                                        ; implicit-def: $vgpr73
                                        ; implicit-def: $vgpr74
                                        ; implicit-def: $vgpr75
                                        ; implicit-def: $vgpr76
                                        ; implicit-def: $vgpr77
                                        ; implicit-def: $vgpr78
	s_load_dwordx4 s[4:7], s[0:1], 0x40
	s_cbranch_execz .LBB137_97
; %bb.84:
	s_load_dword s2, s[0:1], 0x50
	s_waitcnt lgkmcnt(0)
	s_bitcmp0_b32 s2, 0
	s_cbranch_scc1 .LBB137_86
; %bb.85:
	s_waitcnt vmcnt(0)
	v_mov_b32_e32 v1, 0
	global_load_ushort v16, v1, s[24:25] offset:-2
	global_load_ushort v17, v1, s[4:5]
	s_waitcnt vmcnt(1)
	v_lshlrev_b32_e32 v1, 16, v16
	s_waitcnt vmcnt(0)
	v_lshlrev_b32_e32 v18, 16, v17
	v_cmp_lt_f32_e32 vcc, v18, v1
	s_nop 1
	v_cndmask_b32_e32 v1, v17, v16, vcc
.LBB137_86:
	v_and_b32_e32 v18, 0xffff0000, v10
	v_cmp_lt_f32_e32 vcc, v55, v18
	s_nop 1
	v_cndmask_b32_e32 v16, v10, v54, vcc
	v_lshlrev_b32_e32 v17, 16, v16
	v_cmp_lt_f32_e32 vcc, v17, v53
	s_nop 1
	v_cndmask_b32_e32 v16, v16, v11, vcc
	v_lshlrev_b32_e32 v17, 16, v16
	;; [unrolled: 4-line block ×22, first 2 shown]
	v_cmp_lt_f32_e32 vcc, v17, v59
	s_nop 1
	v_cndmask_b32_e32 v17, v16, v58, vcc
	v_and_b32_e32 v20, 0xffff, v17
	v_lshlrev_b32_e32 v59, 16, v17
	v_mbcnt_hi_u32_b32 v16, -1, v60
	v_mov_b32_dpp v21, v20 row_shr:1 row_mask:0xf bank_mask:0xf
	v_lshlrev_b32_e32 v58, 16, v21
	v_cmp_lt_f32_e32 vcc, v58, v59
	v_and_b32_e32 v19, 15, v16
	s_nop 0
	v_cndmask_b32_e32 v21, v21, v17, vcc
	v_and_b32_e32 v58, 0xffff, v21
	v_cmp_eq_u32_e32 vcc, 0, v19
	s_nop 1
	v_cndmask_b32_e32 v20, v58, v20, vcc
	v_cndmask_b32_e32 v17, v21, v17, vcc
	v_lshlrev_b32_e32 v58, 16, v20
	v_mov_b32_dpp v21, v20 row_shr:2 row_mask:0xf bank_mask:0xf
	v_lshlrev_b32_e32 v59, 16, v21
	v_cmp_lt_f32_e32 vcc, v59, v58
	s_nop 1
	v_cndmask_b32_e32 v21, v21, v17, vcc
	v_and_b32_e32 v58, 0xffff, v21
	v_cmp_lt_u32_e32 vcc, 1, v19
	s_nop 1
	v_cndmask_b32_e32 v20, v20, v58, vcc
	v_cndmask_b32_e32 v17, v17, v21, vcc
	v_lshlrev_b32_e32 v58, 16, v20
	v_mov_b32_dpp v21, v20 row_shr:4 row_mask:0xf bank_mask:0xf
	v_lshlrev_b32_e32 v59, 16, v21
	v_cmp_lt_f32_e32 vcc, v59, v58
	s_nop 1
	v_cndmask_b32_e32 v21, v21, v17, vcc
	v_and_b32_e32 v58, 0xffff, v21
	v_cmp_lt_u32_e32 vcc, 3, v19
	;; [unrolled: 11-line block ×3, first 2 shown]
	s_nop 1
	v_cndmask_b32_e32 v19, v20, v58, vcc
	v_lshlrev_b32_e32 v58, 16, v19
	v_cndmask_b32_e32 v17, v17, v21, vcc
	v_mov_b32_dpp v20, v19 row_bcast:15 row_mask:0xf bank_mask:0xf
	v_lshlrev_b32_e32 v59, 16, v20
	v_cmp_lt_f32_e32 vcc, v59, v58
	v_and_b32_e32 v21, 16, v16
	s_nop 0
	v_cndmask_b32_e32 v20, v20, v17, vcc
	v_and_b32_e32 v58, 0xffff, v20
	v_cmp_eq_u32_e32 vcc, 0, v21
	s_nop 1
	v_cndmask_b32_e32 v19, v58, v19, vcc
	v_cndmask_b32_e32 v17, v20, v17, vcc
	s_nop 0
	v_mov_b32_dpp v20, v19 row_bcast:31 row_mask:0xf bank_mask:0xf
	v_lshlrev_b32_e32 v19, 16, v19
	v_lshlrev_b32_e32 v21, 16, v20
	v_cmp_lt_f32_e32 vcc, v21, v19
	s_nop 1
	v_cndmask_b32_e32 v19, v20, v17, vcc
	v_cmp_lt_u32_e32 vcc, 31, v16
	s_nop 1
	v_cndmask_b32_e32 v17, v17, v19, vcc
	v_cmp_eq_u32_e32 vcc, v57, v0
	s_and_saveexec_b64 s[2:3], vcc
	s_cbranch_execz .LBB137_88
; %bb.87:
	v_lshlrev_b32_e32 v19, 1, v56
	ds_write_b16 v19, v17
.LBB137_88:
	s_or_b64 exec, exec, s[2:3]
	v_cmp_gt_u32_e32 vcc, 4, v0
	s_waitcnt lgkmcnt(0)
	s_barrier
	s_and_saveexec_b64 s[2:3], vcc
	s_cbranch_execz .LBB137_90
; %bb.89:
	s_movk_i32 s4, 0xffd2
	v_mad_i32_i24 v19, v0, s4, v23
	ds_read_u16 v20, v19
	v_and_b32_e32 v21, 3, v16
	s_waitcnt lgkmcnt(0)
	v_and_b32_e32 v57, 0xffff, v20
	s_nop 1
	v_mov_b32_dpp v59, v57 row_shr:1 row_mask:0xf bank_mask:0xf
	v_lshlrev_b32_e32 v58, 16, v20
	v_lshlrev_b32_e32 v60, 16, v59
	v_cmp_lt_f32_e32 vcc, v60, v58
	s_nop 1
	v_cndmask_b32_e32 v58, v59, v20, vcc
	v_and_b32_e32 v59, 0xffff, v58
	v_cmp_eq_u32_e32 vcc, 0, v21
	s_nop 1
	v_cndmask_b32_e32 v57, v59, v57, vcc
	v_cndmask_b32_e32 v20, v58, v20, vcc
	s_nop 0
	v_mov_b32_dpp v58, v57 row_shr:2 row_mask:0xf bank_mask:0xf
	v_lshlrev_b32_e32 v57, 16, v57
	v_lshlrev_b32_e32 v59, 16, v58
	v_cmp_lt_f32_e32 vcc, v59, v57
	s_nop 1
	v_cndmask_b32_e32 v57, v58, v20, vcc
	v_cmp_lt_u32_e32 vcc, 1, v21
	s_nop 1
	v_cndmask_b32_e32 v20, v20, v57, vcc
	ds_write_b16 v19, v20
.LBB137_90:
	s_or_b64 exec, exec, s[2:3]
	v_cmp_lt_u32_e32 vcc, 63, v0
	s_waitcnt vmcnt(0)
	v_lshlrev_b32_e32 v20, 16, v1
	s_waitcnt lgkmcnt(0)
	s_barrier
	s_waitcnt lgkmcnt(0)
                                        ; implicit-def: $vgpr19
                                        ; implicit-def: $vgpr57
	s_and_saveexec_b64 s[2:3], vcc
	s_xor_b64 s[2:3], exec, s[2:3]
	s_cbranch_execz .LBB137_92
; %bb.91:
	v_lshl_add_u32 v19, v56, 1, -2
	ds_read_u16 v19, v19
	v_lshlrev_b32_e32 v57, 16, v1
	s_waitcnt lgkmcnt(0)
	v_lshlrev_b32_e32 v20, 16, v19
	v_cmp_lt_f32_e32 vcc, v57, v20
	s_nop 1
	v_cndmask_b32_e32 v19, v1, v19, vcc
	v_lshlrev_b32_e32 v20, 16, v19
.LBB137_92:
	s_andn2_saveexec_b64 s[2:3], s[2:3]
; %bb.93:
	v_mov_b32_e32 v57, v20
	v_mov_b32_e32 v19, v1
; %bb.94:
	s_or_b64 exec, exec, s[2:3]
	v_lshlrev_b32_e32 v21, 16, v17
	v_cmp_lt_f32_e32 vcc, v20, v21
	v_add_u32_e32 v20, -1, v16
	v_and_b32_e32 v21, 64, v16
	v_cndmask_b32_e32 v17, v19, v17, vcc
	v_cmp_lt_i32_e32 vcc, v20, v21
	v_and_b32_e32 v17, 0xffff, v17
	v_cmp_eq_u32_e64 s[2:3], 0, v0
	v_cndmask_b32_e32 v20, v20, v16, vcc
	v_lshlrev_b32_e32 v20, 2, v20
	ds_bpermute_b32 v17, v20, v17
	v_cmp_eq_u32_e32 vcc, 0, v16
	s_waitcnt lgkmcnt(0)
	s_nop 0
	v_cndmask_b32_e32 v17, v17, v19, vcc
	v_cndmask_b32_e64 v16, v17, v1, s[2:3]
	v_lshlrev_b32_e32 v19, 16, v16
	v_cmp_gt_f32_e32 vcc, v55, v19
	s_nop 1
	v_cndmask_b32_e32 v16, v16, v10, vcc
	v_lshlrev_b32_e32 v10, 16, v16
	v_cmp_gt_f32_e32 vcc, v18, v10
	s_nop 1
	v_cndmask_b32_e32 v18, v16, v54, vcc
	;; [unrolled: 4-line block ×22, first 2 shown]
	v_lshlrev_b32_e32 v2, 16, v77
	v_cmp_gt_f32_e32 vcc, v28, v2
	s_and_saveexec_b64 s[4:5], s[2:3]
	s_cbranch_execz .LBB137_96
; %bb.95:
	v_mov_b32_e32 v2, 0
	ds_read_u16 v3, v2 offset:6
	s_mov_b32 s8, 0x20000
	v_mov_b32_e32 v17, v1
	s_waitcnt lgkmcnt(0)
	v_lshlrev_b32_e32 v4, 16, v3
	v_cmp_lt_f32_e64 s[2:3], v57, v4
	s_nop 1
	v_cndmask_b32_e64 v3, v1, v3, s[2:3]
	v_or_b32_sdwa v3, v3, s8 dst_sel:DWORD dst_unused:UNUSED_PAD src0_sel:WORD_0 src1_sel:DWORD
	global_store_dword v2, v3, s[26:27] offset:256 sc1
.LBB137_96:
	s_or_b64 exec, exec, s[4:5]
	v_cndmask_b32_e32 v78, v77, v5, vcc
.LBB137_97:
	s_add_u32 s2, s20, s22
	s_addc_u32 s3, s21, s23
	s_waitcnt lgkmcnt(0)
	s_mov_b64 s[4:5], -1
	s_and_b64 vcc, exec, s[18:19]
	s_barrier
	s_cbranch_vccz .LBB137_99
; %bb.98:
	s_mov_b32 s4, 0x5040100
	v_perm_b32 v5, v63, v61, s4
	v_perm_b32 v4, v21, v20, s4
	v_perm_b32 v3, v19, v18, s4
	v_perm_b32 v2, v16, v17, s4
	ds_write_b128 v23, v[2:5]
	v_perm_b32 v5, v71, v69, s4
	v_perm_b32 v4, v68, v67, s4
	v_perm_b32 v3, v66, v65, s4
	v_perm_b32 v2, v64, v62, s4
	ds_write_b128 v23, v[2:5] offset:16
	v_perm_b32 v5, v78, v77, s4
	v_perm_b32 v4, v76, v75, s4
	;; [unrolled: 1-line block ×4, first 2 shown]
	v_mov_b32_e32 v15, 0
	ds_write_b128 v23, v[2:5] offset:32
	s_waitcnt lgkmcnt(0)
	s_barrier
	s_waitcnt vmcnt(0)
	ds_read_u16 v1, v14
	ds_read_u16 v4, v14 offset:512
	ds_read_u16 v5, v14 offset:1024
	;; [unrolled: 1-line block ×23, first 2 shown]
	v_lshl_add_u64 v[2:3], s[2:3], 0, v[14:15]
	s_movk_i32 s4, 0x1000
	s_waitcnt lgkmcnt(14)
	global_store_short v14, v1, s[2:3]
	global_store_short v14, v4, s[2:3] offset:512
	global_store_short v14, v5, s[2:3] offset:1024
	;; [unrolled: 1-line block ×7, first 2 shown]
	v_add_co_u32_e32 v4, vcc, s4, v2
	s_mov_b64 s[4:5], 0
	s_nop 0
	v_addc_co_u32_e32 v5, vcc, 0, v3, vcc
	v_add_co_u32_e32 v2, vcc, 0x2000, v2
	global_store_short v[4:5], v11, off
	global_store_short v[4:5], v12, off offset:512
	s_waitcnt lgkmcnt(13)
	global_store_short v[4:5], v13, off offset:1024
	s_waitcnt lgkmcnt(12)
	;; [unrolled: 2-line block ×6, first 2 shown]
	global_store_short v[4:5], v28, off offset:3584
	v_addc_co_u32_e32 v3, vcc, 0, v3, vcc
	s_waitcnt lgkmcnt(7)
	global_store_short v[2:3], v29, off
	s_waitcnt lgkmcnt(6)
	global_store_short v[2:3], v30, off offset:512
	s_waitcnt lgkmcnt(5)
	global_store_short v[2:3], v31, off offset:1024
	;; [unrolled: 2-line block ×7, first 2 shown]
.LBB137_99:
	s_andn2_b64 vcc, exec, s[4:5]
	s_cbranch_vccnz .LBB137_156
; %bb.100:
	s_mov_b32 s4, 0x5040100
	v_perm_b32 v5, v63, v61, s4
	v_perm_b32 v4, v21, v20, s4
	;; [unrolled: 1-line block ×4, first 2 shown]
	ds_write_b128 v23, v[2:5]
	v_perm_b32 v5, v71, v69, s4
	v_perm_b32 v4, v68, v67, s4
	;; [unrolled: 1-line block ×4, first 2 shown]
	ds_write_b128 v23, v[2:5] offset:16
	v_perm_b32 v5, v78, v77, s4
	v_perm_b32 v4, v76, v75, s4
	;; [unrolled: 1-line block ×4, first 2 shown]
	s_movk_i32 s4, 0xffd2
	s_waitcnt vmcnt(0)
	v_mad_i32_i24 v1, v0, s4, v23
	ds_write_b128 v23, v[2:5] offset:32
	s_waitcnt lgkmcnt(0)
	s_barrier
	ds_read_u16 v5, v1
	ds_read_u16 v4, v1 offset:512
	ds_read_u16 v7, v1 offset:1024
	;; [unrolled: 1-line block ×23, first 2 shown]
	v_mov_b32_e32 v15, 0
	v_lshl_add_u64 v[2:3], s[2:3], 0, v[14:15]
	v_cmp_gt_u32_e32 vcc, s30, v0
	s_and_saveexec_b64 s[2:3], vcc
	s_cbranch_execz .LBB137_102
; %bb.101:
	s_waitcnt lgkmcnt(14)
	global_store_short v[2:3], v5, off
.LBB137_102:
	s_or_b64 exec, exec, s[2:3]
	v_or_b32_e32 v1, 0x100, v0
	v_cmp_gt_u32_e32 vcc, s30, v1
	s_and_saveexec_b64 s[2:3], vcc
	s_cbranch_execz .LBB137_104
; %bb.103:
	s_waitcnt lgkmcnt(14)
	global_store_short v[2:3], v4, off offset:512
.LBB137_104:
	s_or_b64 exec, exec, s[2:3]
	v_or_b32_e32 v1, 0x200, v0
	v_cmp_gt_u32_e32 vcc, s30, v1
	s_and_saveexec_b64 s[2:3], vcc
	s_cbranch_execz .LBB137_106
; %bb.105:
	s_waitcnt lgkmcnt(14)
	global_store_short v[2:3], v7, off offset:1024
.LBB137_106:
	;; [unrolled: 9-line block ×7, first 2 shown]
	s_or_b64 exec, exec, s[2:3]
	v_or_b32_e32 v1, 0x800, v0
	v_cmp_gt_u32_e32 vcc, s30, v1
	s_and_saveexec_b64 s[2:3], vcc
	s_cbranch_execz .LBB137_118
; %bb.117:
	v_add_co_u32_e32 v32, vcc, 0x1000, v2
	s_nop 1
	v_addc_co_u32_e32 v33, vcc, 0, v3, vcc
	s_waitcnt lgkmcnt(14)
	global_store_short v[32:33], v18, off
.LBB137_118:
	s_or_b64 exec, exec, s[2:3]
	v_or_b32_e32 v1, 0x900, v0
	v_cmp_gt_u32_e32 vcc, s30, v1
	s_and_saveexec_b64 s[2:3], vcc
	s_cbranch_execz .LBB137_120
; %bb.119:
	v_add_co_u32_e32 v32, vcc, 0x1000, v2
	s_nop 1
	v_addc_co_u32_e32 v33, vcc, 0, v3, vcc
	s_waitcnt lgkmcnt(14)
	global_store_short v[32:33], v26, off offset:512
.LBB137_120:
	s_or_b64 exec, exec, s[2:3]
	v_or_b32_e32 v1, 0xa00, v0
	v_cmp_gt_u32_e32 vcc, s30, v1
	s_and_saveexec_b64 s[2:3], vcc
	s_cbranch_execz .LBB137_122
; %bb.121:
	v_add_co_u32_e32 v32, vcc, 0x1000, v2
	s_nop 1
	v_addc_co_u32_e32 v33, vcc, 0, v3, vcc
	s_waitcnt lgkmcnt(13)
	global_store_short v[32:33], v23, off offset:1024
.LBB137_122:
	;; [unrolled: 12-line block ×7, first 2 shown]
	s_or_b64 exec, exec, s[2:3]
	v_or_b32_e32 v1, 0x1000, v0
	v_cmp_gt_u32_e32 vcc, s30, v1
	s_and_saveexec_b64 s[2:3], vcc
	s_cbranch_execz .LBB137_134
; %bb.133:
	v_add_co_u32_e32 v32, vcc, 0x2000, v2
	s_nop 1
	v_addc_co_u32_e32 v33, vcc, 0, v3, vcc
	s_waitcnt lgkmcnt(7)
	global_store_short v[32:33], v25, off
.LBB137_134:
	s_or_b64 exec, exec, s[2:3]
	v_or_b32_e32 v1, 0x1100, v0
	v_cmp_gt_u32_e32 vcc, s30, v1
	s_and_saveexec_b64 s[2:3], vcc
	s_cbranch_execz .LBB137_136
; %bb.135:
	v_add_co_u32_e32 v32, vcc, 0x2000, v2
	s_nop 1
	v_addc_co_u32_e32 v33, vcc, 0, v3, vcc
	s_waitcnt lgkmcnt(6)
	global_store_short v[32:33], v28, off offset:512
.LBB137_136:
	s_or_b64 exec, exec, s[2:3]
	v_or_b32_e32 v1, 0x1200, v0
	v_cmp_gt_u32_e32 vcc, s30, v1
	s_and_saveexec_b64 s[2:3], vcc
	s_cbranch_execz .LBB137_138
; %bb.137:
	v_add_co_u32_e32 v32, vcc, 0x2000, v2
	s_nop 1
	v_addc_co_u32_e32 v33, vcc, 0, v3, vcc
	s_waitcnt lgkmcnt(5)
	global_store_short v[32:33], v27, off offset:1024
.LBB137_138:
	;; [unrolled: 12-line block ×7, first 2 shown]
	s_or_b64 exec, exec, s[2:3]
	s_load_dword s0, s[0:1], 0x50
	s_waitcnt lgkmcnt(0)
	s_bfe_u32 s0, s0, 0x10008
	s_cmp_eq_u32 s0, 0
	s_cbranch_scc1 .LBB137_156
; %bb.149:
	s_add_u32 s0, s30, -1
	s_addc_u32 s1, s31, -1
	s_add_u32 s2, 0, 0xaaaa0000
	s_addc_u32 s3, 0, 42
	s_add_i32 s3, s3, 0xaaaaa80
	s_mul_hi_u32 s9, s2, 0xffffffe8
	s_sub_i32 s9, s9, s2
	s_mul_i32 s10, s3, 0xffffffe8
	s_mul_i32 s4, s2, 0xffffffe8
	s_add_i32 s9, s9, s10
	s_mul_hi_u32 s5, s3, s4
	s_mul_i32 s8, s3, s4
	s_mul_i32 s11, s2, s9
	s_mul_hi_u32 s4, s2, s4
	s_mul_hi_u32 s10, s2, s9
	s_add_u32 s4, s4, s11
	s_addc_u32 s10, 0, s10
	s_add_u32 s4, s4, s8
	s_mul_hi_u32 s11, s3, s9
	s_addc_u32 s4, s10, s5
	s_addc_u32 s5, s11, 0
	s_mul_i32 s8, s3, s9
	s_add_u32 s4, s4, s8
	v_mov_b32_e32 v2, s4
	s_addc_u32 s5, 0, s5
	v_add_co_u32_e32 v2, vcc, s2, v2
	s_cmp_lg_u64 vcc, 0
	s_addc_u32 s2, s3, s5
	v_readfirstlane_b32 s5, v2
	s_mul_i32 s4, s0, s2
	s_mul_hi_u32 s8, s0, s5
	s_mul_hi_u32 s3, s0, s2
	s_add_u32 s4, s8, s4
	s_addc_u32 s3, 0, s3
	s_mul_hi_u32 s9, s1, s5
	s_mul_i32 s5, s1, s5
	s_add_u32 s4, s4, s5
	s_mul_hi_u32 s8, s1, s2
	s_addc_u32 s3, s3, s9
	s_addc_u32 s4, s8, 0
	s_mul_i32 s2, s1, s2
	s_add_u32 s2, s3, s2
	s_addc_u32 s3, 0, s4
	s_add_u32 s4, s2, 1
	s_addc_u32 s5, s3, 0
	s_add_u32 s8, s2, 2
	s_mul_i32 s10, s3, 24
	s_mul_hi_u32 s11, s2, 24
	s_addc_u32 s9, s3, 0
	s_add_i32 s11, s11, s10
	s_mul_i32 s10, s2, 24
	v_mov_b32_e32 v2, s10
	v_sub_co_u32_e32 v2, vcc, s0, v2
	s_cmp_lg_u64 vcc, 0
	s_subb_u32 s10, s1, s11
	v_subrev_co_u32_e32 v3, vcc, 24, v2
	s_cmp_lg_u64 vcc, 0
	s_subb_u32 s11, s10, 0
	v_readfirstlane_b32 s12, v3
	s_cmp_gt_u32 s12, 23
	s_cselect_b32 s12, -1, 0
	s_cmp_eq_u32 s11, 0
	s_cselect_b32 s11, s12, -1
	s_cmp_lg_u32 s11, 0
	s_cselect_b32 s4, s8, s4
	v_readfirstlane_b32 s8, v2
	s_cselect_b32 s5, s9, s5
	s_cmp_gt_u32 s8, 23
	s_cselect_b32 s8, -1, 0
	s_cmp_eq_u32 s10, 0
	s_cselect_b32 s8, s8, -1
	s_cmp_lg_u32 s8, 0
	v_mov_b32_e32 v1, v15
	s_cselect_b32 s3, s5, s3
	s_cselect_b32 s2, s4, s2
	v_cmp_eq_u64_e32 vcc, s[2:3], v[0:1]
	s_and_saveexec_b64 s[2:3], vcc
	s_cbranch_execz .LBB137_156
; %bb.150:
	v_mul_hi_u32_u24_e32 v1, 24, v0
	v_mov_b32_e32 v2, s1
	v_sub_co_u32_e32 v0, vcc, s0, v22
	s_mov_b64 s[0:1], 0
	s_nop 0
	v_subb_co_u32_e32 v1, vcc, v2, v1, vcc
	v_cmp_lt_i64_e32 vcc, 11, v[0:1]
	s_mov_b64 s[10:11], 0
	s_mov_b64 s[8:9], 0
	;; [unrolled: 1-line block ×3, first 2 shown]
	s_and_saveexec_b64 s[2:3], vcc
	s_xor_b64 s[2:3], exec, s[2:3]
	s_cbranch_execnz .LBB137_157
; %bb.151:
	s_andn2_saveexec_b64 s[2:3], s[2:3]
	s_cbranch_execnz .LBB137_202
.LBB137_152:
	s_or_b64 exec, exec, s[2:3]
	s_and_saveexec_b64 s[2:3], s[10:11]
	s_cbranch_execnz .LBB137_219
.LBB137_153:
	s_or_b64 exec, exec, s[2:3]
	s_and_saveexec_b64 s[2:3], s[8:9]
	s_cbranch_execnz .LBB137_220
.LBB137_154:
	s_or_b64 exec, exec, s[2:3]
	s_and_saveexec_b64 s[2:3], s[4:5]
	s_xor_b64 s[2:3], exec, s[2:3]
	s_cbranch_execnz .LBB137_221
.LBB137_155:
	s_or_b64 exec, exec, s[2:3]
	s_and_b64 exec, exec, s[0:1]
	s_cbranch_execnz .LBB137_222
.LBB137_156:
	s_endpgm
.LBB137_157:
	v_cmp_lt_i64_e32 vcc, 17, v[0:1]
	s_and_saveexec_b64 s[12:13], vcc
	s_xor_b64 s[12:13], exec, s[12:13]
	s_cbranch_execz .LBB137_179
; %bb.158:
	v_cmp_lt_i64_e32 vcc, 20, v[0:1]
                                        ; implicit-def: $vgpr10
	s_and_saveexec_b64 s[14:15], vcc
	s_xor_b64 s[14:15], exec, s[14:15]
	s_cbranch_execz .LBB137_168
; %bb.159:
	v_cmp_lt_i64_e32 vcc, 21, v[0:1]
	s_mov_b64 s[16:17], 0
                                        ; implicit-def: $vgpr10
	s_and_saveexec_b64 s[4:5], vcc
	s_xor_b64 s[4:5], exec, s[4:5]
	s_cbranch_execz .LBB137_165
; %bb.160:
	v_cmp_lt_i64_e32 vcc, 22, v[0:1]
	s_and_saveexec_b64 s[16:17], vcc
	s_xor_b64 s[16:17], exec, s[16:17]
	s_cbranch_execz .LBB137_162
; %bb.161:
	v_mov_b32_e32 v2, 0
	global_store_short v2, v30, s[6:7]
                                        ; implicit-def: $vgpr29
.LBB137_162:
	s_or_saveexec_b64 s[16:17], s[16:17]
	s_mov_b64 s[18:19], 0
	s_xor_b64 exec, exec, s[16:17]
; %bb.163:
	s_mov_b64 s[18:19], exec
; %bb.164:
	s_or_b64 exec, exec, s[16:17]
	s_and_b64 s[16:17], s[18:19], exec
	v_mov_b32_e32 v10, v29
                                        ; implicit-def: $vgpr11
.LBB137_165:
	s_andn2_saveexec_b64 s[4:5], s[4:5]
; %bb.166:
	s_mov_b64 s[8:9], exec
                                        ; implicit-def: $vgpr10
; %bb.167:
	s_or_b64 exec, exec, s[4:5]
	s_and_b64 s[4:5], s[16:17], exec
	s_and_b64 s[8:9], s[8:9], exec
                                        ; implicit-def: $vgpr27
                                        ; implicit-def: $vgpr12
                                        ; implicit-def: $vgpr24
.LBB137_168:
	s_andn2_saveexec_b64 s[14:15], s[14:15]
	s_cbranch_execz .LBB137_178
; %bb.169:
	v_cmp_lt_i64_e32 vcc, 18, v[0:1]
	s_mov_b64 s[16:17], 0
	s_and_saveexec_b64 s[10:11], vcc
	s_xor_b64 s[10:11], exec, s[10:11]
	s_cbranch_execz .LBB137_175
; %bb.170:
	v_cmp_lt_i64_e32 vcc, 19, v[0:1]
	s_and_saveexec_b64 s[18:19], vcc
	s_xor_b64 s[18:19], exec, s[18:19]
; %bb.171:
	s_mov_b64 s[16:17], exec
                                        ; implicit-def: $vgpr24
; %bb.172:
	s_andn2_saveexec_b64 s[18:19], s[18:19]
	s_cbranch_execz .LBB137_174
; %bb.173:
	v_mov_b32_e32 v2, 0
	global_store_short v2, v24, s[6:7]
                                        ; implicit-def: $vgpr12
.LBB137_174:
	s_or_b64 exec, exec, s[18:19]
	s_and_b64 s[16:17], s[16:17], exec
                                        ; implicit-def: $vgpr27
.LBB137_175:
	s_andn2_saveexec_b64 s[10:11], s[10:11]
	s_cbranch_execz .LBB137_177
; %bb.176:
	v_mov_b32_e32 v2, 0
	global_store_short v2, v27, s[6:7]
                                        ; implicit-def: $vgpr12
.LBB137_177:
	s_or_b64 exec, exec, s[10:11]
	s_and_b64 s[10:11], s[16:17], exec
                                        ; implicit-def: $vgpr10
                                        ; implicit-def: $vgpr11
.LBB137_178:
	s_or_b64 exec, exec, s[14:15]
	s_and_b64 s[4:5], s[4:5], exec
	s_and_b64 s[8:9], s[8:9], exec
	s_and_b64 s[10:11], s[10:11], exec
                                        ; implicit-def: $vgpr20
                                        ; implicit-def: $vgpr13
                                        ; implicit-def: $vgpr16
                                        ; implicit-def: $vgpr25
                                        ; implicit-def: $vgpr28
.LBB137_179:
	s_andn2_saveexec_b64 s[12:13], s[12:13]
	s_cbranch_execz .LBB137_201
; %bb.180:
	v_cmp_lt_i64_e32 vcc, 14, v[0:1]
	s_mov_b64 s[14:15], s[4:5]
	s_and_saveexec_b64 s[16:17], vcc
	s_xor_b64 s[16:17], exec, s[16:17]
	s_cbranch_execz .LBB137_190
; %bb.181:
	v_cmp_lt_i64_e32 vcc, 15, v[0:1]
	s_and_saveexec_b64 s[14:15], vcc
	s_xor_b64 s[14:15], exec, s[14:15]
	s_cbranch_execz .LBB137_187
; %bb.182:
	v_cmp_lt_i64_e32 vcc, 16, v[0:1]
	s_and_saveexec_b64 s[18:19], vcc
	s_xor_b64 s[18:19], exec, s[18:19]
	s_cbranch_execz .LBB137_184
; %bb.183:
	v_mov_b32_e32 v2, 0
	global_store_short v2, v28, s[6:7]
                                        ; implicit-def: $vgpr25
.LBB137_184:
	s_andn2_saveexec_b64 s[18:19], s[18:19]
	s_cbranch_execz .LBB137_186
; %bb.185:
	v_mov_b32_e32 v2, 0
	global_store_short v2, v25, s[6:7]
.LBB137_186:
	s_or_b64 exec, exec, s[18:19]
                                        ; implicit-def: $vgpr10
.LBB137_187:
	s_or_saveexec_b64 s[14:15], s[14:15]
	s_mov_b64 s[18:19], s[4:5]
	s_xor_b64 exec, exec, s[14:15]
; %bb.188:
	s_or_b64 s[18:19], s[4:5], exec
; %bb.189:
	s_or_b64 exec, exec, s[14:15]
	s_andn2_b64 s[14:15], s[4:5], exec
	s_and_b64 s[18:19], s[18:19], exec
	s_or_b64 s[14:15], s[14:15], s[18:19]
                                        ; implicit-def: $vgpr20
                                        ; implicit-def: $vgpr13
                                        ; implicit-def: $vgpr16
.LBB137_190:
	s_or_saveexec_b64 s[16:17], s[16:17]
	s_mov_b64 s[18:19], s[8:9]
                                        ; implicit-def: $vgpr11
	s_xor_b64 exec, exec, s[16:17]
	s_cbranch_execz .LBB137_200
; %bb.191:
	v_cmp_lt_i64_e32 vcc, 12, v[0:1]
	s_mov_b64 s[20:21], s[8:9]
	s_mov_b64 s[22:23], s[14:15]
                                        ; implicit-def: $vgpr10
                                        ; implicit-def: $vgpr11
	s_and_saveexec_b64 s[18:19], vcc
	s_xor_b64 s[18:19], exec, s[18:19]
	s_cbranch_execz .LBB137_197
; %bb.192:
	v_cmp_lt_i64_e32 vcc, 13, v[0:1]
	s_mov_b64 s[20:21], s[14:15]
	s_and_saveexec_b64 s[22:23], vcc
	s_xor_b64 s[22:23], exec, s[22:23]
; %bb.193:
	s_or_b64 s[20:21], s[14:15], exec
                                        ; implicit-def: $vgpr13
; %bb.194:
	s_or_saveexec_b64 s[22:23], s[22:23]
	s_mov_b64 s[24:25], s[8:9]
	s_xor_b64 exec, exec, s[22:23]
; %bb.195:
	s_or_b64 s[24:25], s[8:9], exec
                                        ; implicit-def: $vgpr16
; %bb.196:
	s_or_b64 exec, exec, s[22:23]
	s_andn2_b64 s[22:23], s[14:15], exec
	s_and_b64 s[20:21], s[20:21], exec
	s_or_b64 s[22:23], s[22:23], s[20:21]
	s_andn2_b64 s[20:21], s[8:9], exec
	s_and_b64 s[24:25], s[24:25], exec
	s_or_b64 s[20:21], s[20:21], s[24:25]
	v_mov_b32_e32 v10, v16
	v_mov_b32_e32 v11, v13
                                        ; implicit-def: $vgpr20
.LBB137_197:
	s_andn2_saveexec_b64 s[18:19], s[18:19]
; %bb.198:
	s_or_b64 s[20:21], s[20:21], exec
                                        ; implicit-def: $vgpr10
	v_mov_b32_e32 v11, v20
; %bb.199:
	s_or_b64 exec, exec, s[18:19]
	s_andn2_b64 s[14:15], s[14:15], exec
	s_and_b64 s[18:19], s[22:23], exec
	s_or_b64 s[14:15], s[14:15], s[18:19]
	s_andn2_b64 s[18:19], s[8:9], exec
	s_and_b64 s[20:21], s[20:21], exec
	s_or_b64 s[18:19], s[18:19], s[20:21]
.LBB137_200:
	s_or_b64 exec, exec, s[16:17]
	s_andn2_b64 s[4:5], s[4:5], exec
	s_and_b64 s[14:15], s[14:15], exec
	s_or_b64 s[4:5], s[4:5], s[14:15]
	s_andn2_b64 s[8:9], s[8:9], exec
	s_and_b64 s[14:15], s[18:19], exec
	s_or_b64 s[8:9], s[8:9], s[14:15]
                                        ; implicit-def: $vgpr12
.LBB137_201:
	s_or_b64 exec, exec, s[12:13]
	s_and_b64 s[4:5], s[4:5], exec
	s_and_b64 s[8:9], s[8:9], exec
	;; [unrolled: 1-line block ×3, first 2 shown]
                                        ; implicit-def: $vgpr19
                                        ; implicit-def: $vgpr17
                                        ; implicit-def: $vgpr18
                                        ; implicit-def: $vgpr26
                                        ; implicit-def: $vgpr23
                                        ; implicit-def: $vgpr21
	s_andn2_saveexec_b64 s[2:3], s[2:3]
	s_cbranch_execz .LBB137_152
.LBB137_202:
	v_cmp_lt_i64_e32 vcc, 5, v[0:1]
	s_mov_b64 s[14:15], -1
	s_mov_b64 s[12:13], s[10:11]
	s_mov_b64 s[16:17], s[8:9]
	;; [unrolled: 1-line block ×3, first 2 shown]
                                        ; implicit-def: $vgpr10
                                        ; implicit-def: $vgpr11
                                        ; implicit-def: $vgpr12
	s_and_saveexec_b64 s[0:1], vcc
	s_cbranch_execz .LBB137_218
; %bb.203:
	v_cmp_lt_i64_e32 vcc, 8, v[0:1]
	s_mov_b64 s[12:13], s[10:11]
                                        ; implicit-def: $vgpr12
	s_and_saveexec_b64 s[14:15], vcc
	s_xor_b64 s[14:15], exec, s[14:15]
	s_cbranch_execz .LBB137_213
; %bb.204:
	v_cmp_lt_i64_e32 vcc, 9, v[0:1]
	s_and_saveexec_b64 s[12:13], vcc
	s_xor_b64 s[12:13], exec, s[12:13]
	s_cbranch_execz .LBB137_210
; %bb.205:
	v_cmp_lt_i64_e32 vcc, 10, v[0:1]
	s_and_saveexec_b64 s[16:17], vcc
	s_xor_b64 s[16:17], exec, s[16:17]
; %bb.206:
                                        ; implicit-def: $vgpr23
; %bb.207:
	s_andn2_saveexec_b64 s[16:17], s[16:17]
; %bb.208:
	v_mov_b32_e32 v21, v23
; %bb.209:
	s_or_b64 exec, exec, s[16:17]
                                        ; implicit-def: $vgpr26
.LBB137_210:
	s_andn2_saveexec_b64 s[12:13], s[12:13]
; %bb.211:
	v_mov_b32_e32 v21, v26
; %bb.212:
	s_or_b64 exec, exec, s[12:13]
	s_or_b64 s[12:13], s[10:11], exec
	v_mov_b32_e32 v12, v21
                                        ; implicit-def: $vgpr19
                                        ; implicit-def: $vgpr17
                                        ; implicit-def: $vgpr18
.LBB137_213:
	s_or_saveexec_b64 s[14:15], s[14:15]
	s_mov_b64 s[16:17], s[8:9]
	s_mov_b64 s[20:21], s[4:5]
                                        ; implicit-def: $vgpr10
                                        ; implicit-def: $vgpr11
	s_xor_b64 exec, exec, s[14:15]
	s_cbranch_execz .LBB137_217
; %bb.214:
	v_cmp_lt_i64_e32 vcc, 6, v[0:1]
	s_mov_b64 s[20:21], -1
	s_mov_b64 s[18:19], s[12:13]
	s_mov_b64 s[16:17], s[8:9]
	s_and_saveexec_b64 s[22:23], vcc
; %bb.215:
	v_cmp_lt_i64_e32 vcc, 7, v[0:1]
	s_andn2_b64 s[18:19], s[12:13], exec
	s_and_b64 s[24:25], vcc, exec
	s_xor_b64 s[20:21], exec, -1
	s_or_b64 s[16:17], s[8:9], exec
	s_or_b64 s[18:19], s[18:19], s[24:25]
                                        ; implicit-def: $vgpr19
; %bb.216:
	s_or_b64 exec, exec, s[22:23]
	s_andn2_b64 s[22:23], s[4:5], exec
	s_and_b64 s[20:21], s[20:21], exec
	s_or_b64 s[20:21], s[22:23], s[20:21]
	s_andn2_b64 s[22:23], s[8:9], exec
	s_and_b64 s[16:17], s[16:17], exec
	s_andn2_b64 s[12:13], s[12:13], exec
	s_and_b64 s[18:19], s[18:19], exec
	s_or_b64 s[16:17], s[22:23], s[16:17]
	s_or_b64 s[12:13], s[12:13], s[18:19]
	v_mov_b32_e32 v10, v19
	v_mov_b32_e32 v11, v17
	;; [unrolled: 1-line block ×3, first 2 shown]
.LBB137_217:
	s_or_b64 exec, exec, s[14:15]
	s_andn2_b64 s[18:19], s[4:5], exec
	s_and_b64 s[20:21], s[20:21], exec
	s_or_b64 s[18:19], s[18:19], s[20:21]
	s_andn2_b64 s[20:21], s[8:9], exec
	s_and_b64 s[16:17], s[16:17], exec
	s_or_b64 s[16:17], s[20:21], s[16:17]
	s_andn2_b64 s[20:21], s[10:11], exec
	s_and_b64 s[12:13], s[12:13], exec
	s_xor_b64 s[14:15], exec, -1
	s_or_b64 s[12:13], s[20:21], s[12:13]
.LBB137_218:
	s_or_b64 exec, exec, s[0:1]
	s_and_b64 s[0:1], s[14:15], exec
	s_andn2_b64 s[4:5], s[4:5], exec
	s_and_b64 s[14:15], s[18:19], exec
	s_or_b64 s[4:5], s[4:5], s[14:15]
	s_andn2_b64 s[8:9], s[8:9], exec
	s_and_b64 s[14:15], s[16:17], exec
	s_andn2_b64 s[10:11], s[10:11], exec
	s_and_b64 s[12:13], s[12:13], exec
	s_or_b64 s[8:9], s[8:9], s[14:15]
	s_or_b64 s[10:11], s[10:11], s[12:13]
	s_or_b64 exec, exec, s[2:3]
	s_and_saveexec_b64 s[2:3], s[10:11]
	s_cbranch_execz .LBB137_153
.LBB137_219:
	v_mov_b32_e32 v2, 0
	s_andn2_b64 s[8:9], s[8:9], exec
	global_store_short v2, v12, s[6:7]
                                        ; implicit-def: $vgpr10
                                        ; implicit-def: $vgpr11
	s_or_b64 exec, exec, s[2:3]
	s_and_saveexec_b64 s[2:3], s[8:9]
	s_cbranch_execz .LBB137_154
.LBB137_220:
	v_mov_b32_e32 v2, 0
	global_store_short v2, v11, s[6:7]
                                        ; implicit-def: $vgpr10
	s_or_b64 exec, exec, s[2:3]
	s_and_saveexec_b64 s[2:3], s[4:5]
	s_xor_b64 s[2:3], exec, s[2:3]
	s_cbranch_execz .LBB137_155
.LBB137_221:
	v_mov_b32_e32 v2, 0
	global_store_short v2, v10, s[6:7]
	s_or_b64 exec, exec, s[2:3]
	s_and_b64 exec, exec, s[0:1]
	s_cbranch_execz .LBB137_156
.LBB137_222:
	v_cmp_lt_i64_e32 vcc, 2, v[0:1]
	s_and_saveexec_b64 s[0:1], vcc
	s_xor_b64 s[0:1], exec, s[0:1]
	s_cbranch_execz .LBB137_232
; %bb.223:
	v_cmp_lt_i64_e32 vcc, 3, v[0:1]
	s_and_saveexec_b64 s[2:3], vcc
	s_xor_b64 s[2:3], exec, s[2:3]
	s_cbranch_execz .LBB137_229
; %bb.224:
	;; [unrolled: 5-line block ×3, first 2 shown]
	v_mov_b32_e32 v0, 0
	global_store_short v0, v9, s[6:7]
                                        ; implicit-def: $vgpr6
.LBB137_226:
	s_andn2_saveexec_b64 s[4:5], s[4:5]
	s_cbranch_execz .LBB137_228
; %bb.227:
	v_mov_b32_e32 v0, 0
	global_store_short v0, v6, s[6:7]
.LBB137_228:
	s_or_b64 exec, exec, s[4:5]
                                        ; implicit-def: $vgpr8
.LBB137_229:
	s_andn2_saveexec_b64 s[2:3], s[2:3]
	s_cbranch_execz .LBB137_231
; %bb.230:
	v_mov_b32_e32 v0, 0
	global_store_short v0, v8, s[6:7]
.LBB137_231:
	s_or_b64 exec, exec, s[2:3]
                                        ; implicit-def: $vgpr0_vgpr1
                                        ; implicit-def: $vgpr7
                                        ; implicit-def: $vgpr4
                                        ; implicit-def: $vgpr5
.LBB137_232:
	s_andn2_saveexec_b64 s[0:1], s[0:1]
	s_cbranch_execz .LBB137_156
; %bb.233:
	v_cmp_lt_i64_e32 vcc, 1, v[0:1]
	s_and_saveexec_b64 s[0:1], vcc
	s_xor_b64 s[0:1], exec, s[0:1]
	s_cbranch_execz .LBB137_235
; %bb.234:
	v_mov_b32_e32 v0, 0
	global_store_short v0, v7, s[6:7]
                                        ; implicit-def: $vgpr4
                                        ; implicit-def: $vgpr0_vgpr1
                                        ; implicit-def: $vgpr5
.LBB137_235:
	s_andn2_saveexec_b64 s[0:1], s[0:1]
	s_cbranch_execz .LBB137_156
; %bb.236:
	v_cmp_ne_u64_e32 vcc, 1, v[0:1]
	s_and_saveexec_b64 s[0:1], vcc
	s_xor_b64 s[0:1], exec, s[0:1]
	s_cbranch_execz .LBB137_238
; %bb.237:
	v_mov_b32_e32 v0, 0
	global_store_short v0, v5, s[6:7]
                                        ; implicit-def: $vgpr4
.LBB137_238:
	s_andn2_saveexec_b64 s[0:1], s[0:1]
	s_cbranch_execz .LBB137_156
; %bb.239:
	v_mov_b32_e32 v0, 0
	global_store_short v0, v4, s[6:7]
	s_endpgm
	.section	.rodata,"a",@progbits
	.p2align	6, 0x0
	.amdhsa_kernel _ZN7rocprim6detail20lookback_scan_kernelILNS0_25lookback_scan_determinismE0ELb1ENS0_19wrapped_scan_configINS_14default_configE12hip_bfloat16EEN6hipcub22TransformInputIteratorIS5_NS7_6CastOpIS5_EEPS5_lEESB_NS7_3MaxENS_12future_valueIS5_SB_EES5_NS0_19lookback_scan_stateIS5_Lb0ELb1EEEEEvT2_T3_mT5_T4_T7_jPT6_SO_bb
		.amdhsa_group_segment_fixed_size 12288
		.amdhsa_private_segment_fixed_size 0
		.amdhsa_kernarg_size 84
		.amdhsa_user_sgpr_count 2
		.amdhsa_user_sgpr_dispatch_ptr 0
		.amdhsa_user_sgpr_queue_ptr 0
		.amdhsa_user_sgpr_kernarg_segment_ptr 1
		.amdhsa_user_sgpr_dispatch_id 0
		.amdhsa_user_sgpr_kernarg_preload_length 0
		.amdhsa_user_sgpr_kernarg_preload_offset 0
		.amdhsa_user_sgpr_private_segment_size 0
		.amdhsa_uses_dynamic_stack 0
		.amdhsa_enable_private_segment 0
		.amdhsa_system_sgpr_workgroup_id_x 1
		.amdhsa_system_sgpr_workgroup_id_y 0
		.amdhsa_system_sgpr_workgroup_id_z 0
		.amdhsa_system_sgpr_workgroup_info 0
		.amdhsa_system_vgpr_workitem_id 0
		.amdhsa_next_free_vgpr 85
		.amdhsa_next_free_sgpr 32
		.amdhsa_accum_offset 88
		.amdhsa_reserve_vcc 1
		.amdhsa_float_round_mode_32 0
		.amdhsa_float_round_mode_16_64 0
		.amdhsa_float_denorm_mode_32 3
		.amdhsa_float_denorm_mode_16_64 3
		.amdhsa_dx10_clamp 1
		.amdhsa_ieee_mode 1
		.amdhsa_fp16_overflow 0
		.amdhsa_tg_split 0
		.amdhsa_exception_fp_ieee_invalid_op 0
		.amdhsa_exception_fp_denorm_src 0
		.amdhsa_exception_fp_ieee_div_zero 0
		.amdhsa_exception_fp_ieee_overflow 0
		.amdhsa_exception_fp_ieee_underflow 0
		.amdhsa_exception_fp_ieee_inexact 0
		.amdhsa_exception_int_div_zero 0
	.end_amdhsa_kernel
	.section	.text._ZN7rocprim6detail20lookback_scan_kernelILNS0_25lookback_scan_determinismE0ELb1ENS0_19wrapped_scan_configINS_14default_configE12hip_bfloat16EEN6hipcub22TransformInputIteratorIS5_NS7_6CastOpIS5_EEPS5_lEESB_NS7_3MaxENS_12future_valueIS5_SB_EES5_NS0_19lookback_scan_stateIS5_Lb0ELb1EEEEEvT2_T3_mT5_T4_T7_jPT6_SO_bb,"axG",@progbits,_ZN7rocprim6detail20lookback_scan_kernelILNS0_25lookback_scan_determinismE0ELb1ENS0_19wrapped_scan_configINS_14default_configE12hip_bfloat16EEN6hipcub22TransformInputIteratorIS5_NS7_6CastOpIS5_EEPS5_lEESB_NS7_3MaxENS_12future_valueIS5_SB_EES5_NS0_19lookback_scan_stateIS5_Lb0ELb1EEEEEvT2_T3_mT5_T4_T7_jPT6_SO_bb,comdat
.Lfunc_end137:
	.size	_ZN7rocprim6detail20lookback_scan_kernelILNS0_25lookback_scan_determinismE0ELb1ENS0_19wrapped_scan_configINS_14default_configE12hip_bfloat16EEN6hipcub22TransformInputIteratorIS5_NS7_6CastOpIS5_EEPS5_lEESB_NS7_3MaxENS_12future_valueIS5_SB_EES5_NS0_19lookback_scan_stateIS5_Lb0ELb1EEEEEvT2_T3_mT5_T4_T7_jPT6_SO_bb, .Lfunc_end137-_ZN7rocprim6detail20lookback_scan_kernelILNS0_25lookback_scan_determinismE0ELb1ENS0_19wrapped_scan_configINS_14default_configE12hip_bfloat16EEN6hipcub22TransformInputIteratorIS5_NS7_6CastOpIS5_EEPS5_lEESB_NS7_3MaxENS_12future_valueIS5_SB_EES5_NS0_19lookback_scan_stateIS5_Lb0ELb1EEEEEvT2_T3_mT5_T4_T7_jPT6_SO_bb
                                        ; -- End function
	.section	.AMDGPU.csdata,"",@progbits
; Kernel info:
; codeLenInByte = 10572
; NumSgprs: 38
; NumVgprs: 85
; NumAgprs: 0
; TotalNumVgprs: 85
; ScratchSize: 0
; MemoryBound: 0
; FloatMode: 240
; IeeeMode: 1
; LDSByteSize: 12288 bytes/workgroup (compile time only)
; SGPRBlocks: 4
; VGPRBlocks: 10
; NumSGPRsForWavesPerEU: 38
; NumVGPRsForWavesPerEU: 85
; AccumOffset: 88
; Occupancy: 5
; WaveLimiterHint : 1
; COMPUTE_PGM_RSRC2:SCRATCH_EN: 0
; COMPUTE_PGM_RSRC2:USER_SGPR: 2
; COMPUTE_PGM_RSRC2:TRAP_HANDLER: 0
; COMPUTE_PGM_RSRC2:TGID_X_EN: 1
; COMPUTE_PGM_RSRC2:TGID_Y_EN: 0
; COMPUTE_PGM_RSRC2:TGID_Z_EN: 0
; COMPUTE_PGM_RSRC2:TIDIG_COMP_CNT: 0
; COMPUTE_PGM_RSRC3_GFX90A:ACCUM_OFFSET: 21
; COMPUTE_PGM_RSRC3_GFX90A:TG_SPLIT: 0
	.section	.text._ZN7rocprim6detail18single_scan_kernelILb1ENS0_19wrapped_scan_configINS_14default_configE12hip_bfloat16EEN6hipcub22TransformInputIteratorIS4_NS6_6CastOpIS4_EEPS4_lEESA_NS6_3MaxENS_12future_valueIS4_SA_EES4_EEvT1_mT4_T2_T3_,"axG",@progbits,_ZN7rocprim6detail18single_scan_kernelILb1ENS0_19wrapped_scan_configINS_14default_configE12hip_bfloat16EEN6hipcub22TransformInputIteratorIS4_NS6_6CastOpIS4_EEPS4_lEESA_NS6_3MaxENS_12future_valueIS4_SA_EES4_EEvT1_mT4_T2_T3_,comdat
	.protected	_ZN7rocprim6detail18single_scan_kernelILb1ENS0_19wrapped_scan_configINS_14default_configE12hip_bfloat16EEN6hipcub22TransformInputIteratorIS4_NS6_6CastOpIS4_EEPS4_lEESA_NS6_3MaxENS_12future_valueIS4_SA_EES4_EEvT1_mT4_T2_T3_ ; -- Begin function _ZN7rocprim6detail18single_scan_kernelILb1ENS0_19wrapped_scan_configINS_14default_configE12hip_bfloat16EEN6hipcub22TransformInputIteratorIS4_NS6_6CastOpIS4_EEPS4_lEESA_NS6_3MaxENS_12future_valueIS4_SA_EES4_EEvT1_mT4_T2_T3_
	.globl	_ZN7rocprim6detail18single_scan_kernelILb1ENS0_19wrapped_scan_configINS_14default_configE12hip_bfloat16EEN6hipcub22TransformInputIteratorIS4_NS6_6CastOpIS4_EEPS4_lEESA_NS6_3MaxENS_12future_valueIS4_SA_EES4_EEvT1_mT4_T2_T3_
	.p2align	8
	.type	_ZN7rocprim6detail18single_scan_kernelILb1ENS0_19wrapped_scan_configINS_14default_configE12hip_bfloat16EEN6hipcub22TransformInputIteratorIS4_NS6_6CastOpIS4_EEPS4_lEESA_NS6_3MaxENS_12future_valueIS4_SA_EES4_EEvT1_mT4_T2_T3_,@function
_ZN7rocprim6detail18single_scan_kernelILb1ENS0_19wrapped_scan_configINS_14default_configE12hip_bfloat16EEN6hipcub22TransformInputIteratorIS4_NS6_6CastOpIS4_EEPS4_lEESA_NS6_3MaxENS_12future_valueIS4_SA_EES4_EEvT1_mT4_T2_T3_: ; @_ZN7rocprim6detail18single_scan_kernelILb1ENS0_19wrapped_scan_configINS_14default_configE12hip_bfloat16EEN6hipcub22TransformInputIteratorIS4_NS6_6CastOpIS4_EEPS4_lEESA_NS6_3MaxENS_12future_valueIS4_SA_EES4_EEvT1_mT4_T2_T3_
; %bb.0:
	s_load_dwordx2 s[2:3], s[0:1], 0x0
	s_load_dwordx4 s[48:51], s[0:1], 0x10
	v_mov_b32_e32 v15, 0
	v_lshlrev_b32_e32 v14, 1, v0
	s_waitcnt lgkmcnt(0)
	global_load_ushort v4, v15, s[2:3]
	global_load_ushort v1, v15, s[50:51]
	v_lshl_add_u64 v[2:3], s[2:3], 0, v[14:15]
	v_cmp_gt_u32_e64 s[50:51], s48, v0
	s_waitcnt vmcnt(1)
	v_mov_b32_e32 v5, v4
	s_and_saveexec_b64 s[2:3], s[50:51]
	s_cbranch_execz .LBB138_2
; %bb.1:
	global_load_ushort v5, v[2:3], off
.LBB138_2:
	s_or_b64 exec, exec, s[2:3]
	v_or_b32_e32 v6, 0x100, v0
	v_cmp_gt_u32_e64 s[2:3], s48, v6
	v_mov_b32_e32 v6, v4
	s_and_saveexec_b64 s[4:5], s[2:3]
	s_cbranch_execz .LBB138_4
; %bb.3:
	global_load_ushort v6, v[2:3], off offset:512
.LBB138_4:
	s_or_b64 exec, exec, s[4:5]
	v_or_b32_e32 v7, 0x200, v0
	v_cmp_gt_u32_e64 s[4:5], s48, v7
	v_mov_b32_e32 v7, v4
	s_and_saveexec_b64 s[6:7], s[4:5]
	s_cbranch_execz .LBB138_6
; %bb.5:
	global_load_ushort v7, v[2:3], off offset:1024
.LBB138_6:
	;; [unrolled: 9-line block ×7, first 2 shown]
	s_or_b64 exec, exec, s[16:17]
	v_or_b32_e32 v13, 0x800, v0
	v_cmp_gt_u32_e64 s[16:17], s48, v13
	v_mov_b32_e32 v13, v4
	s_and_saveexec_b64 s[18:19], s[16:17]
	s_cbranch_execz .LBB138_18
; %bb.17:
	v_add_co_u32_e32 v16, vcc, 0x1000, v2
	s_nop 1
	v_addc_co_u32_e32 v17, vcc, 0, v3, vcc
	global_load_ushort v13, v[16:17], off
.LBB138_18:
	s_or_b64 exec, exec, s[18:19]
	v_or_b32_e32 v15, 0x900, v0
	v_cmp_gt_u32_e64 s[18:19], s48, v15
	v_mov_b32_e32 v15, v4
	s_and_saveexec_b64 s[20:21], s[18:19]
	s_cbranch_execz .LBB138_20
; %bb.19:
	v_add_co_u32_e32 v16, vcc, 0x1000, v2
	s_nop 1
	v_addc_co_u32_e32 v17, vcc, 0, v3, vcc
	global_load_ushort v15, v[16:17], off offset:512
.LBB138_20:
	s_or_b64 exec, exec, s[20:21]
	v_or_b32_e32 v16, 0xa00, v0
	v_cmp_gt_u32_e64 s[20:21], s48, v16
	v_mov_b32_e32 v16, v4
	s_and_saveexec_b64 s[22:23], s[20:21]
	s_cbranch_execz .LBB138_22
; %bb.21:
	v_add_co_u32_e32 v16, vcc, 0x1000, v2
	s_nop 1
	v_addc_co_u32_e32 v17, vcc, 0, v3, vcc
	global_load_ushort v16, v[16:17], off offset:1024
.LBB138_22:
	;; [unrolled: 12-line block ×7, first 2 shown]
	s_or_b64 exec, exec, s[34:35]
	v_or_b32_e32 v22, 0x1000, v0
	v_cmp_gt_u32_e64 s[34:35], s48, v22
	v_mov_b32_e32 v22, v4
	s_and_saveexec_b64 s[36:37], s[34:35]
	s_cbranch_execz .LBB138_34
; %bb.33:
	v_add_co_u32_e32 v22, vcc, 0x2000, v2
	s_nop 1
	v_addc_co_u32_e32 v23, vcc, 0, v3, vcc
	global_load_ushort v22, v[22:23], off
.LBB138_34:
	s_or_b64 exec, exec, s[36:37]
	v_or_b32_e32 v23, 0x1100, v0
	v_cmp_gt_u32_e64 s[36:37], s48, v23
	v_mov_b32_e32 v23, v4
	s_and_saveexec_b64 s[38:39], s[36:37]
	s_cbranch_execz .LBB138_36
; %bb.35:
	v_add_co_u32_e32 v24, vcc, 0x2000, v2
	s_nop 1
	v_addc_co_u32_e32 v25, vcc, 0, v3, vcc
	global_load_ushort v23, v[24:25], off offset:512
.LBB138_36:
	s_or_b64 exec, exec, s[38:39]
	v_or_b32_e32 v24, 0x1200, v0
	v_cmp_gt_u32_e64 s[38:39], s48, v24
	v_mov_b32_e32 v24, v4
	s_and_saveexec_b64 s[40:41], s[38:39]
	s_cbranch_execz .LBB138_38
; %bb.37:
	v_add_co_u32_e32 v24, vcc, 0x2000, v2
	s_nop 1
	v_addc_co_u32_e32 v25, vcc, 0, v3, vcc
	global_load_ushort v24, v[24:25], off offset:1024
.LBB138_38:
	;; [unrolled: 12-line block ×6, first 2 shown]
	s_or_b64 exec, exec, s[52:53]
	v_or_b32_e32 v29, 0x1700, v0
	v_cmp_gt_u32_e64 s[48:49], s48, v29
	s_and_saveexec_b64 s[52:53], s[48:49]
	s_cbranch_execz .LBB138_48
; %bb.47:
	v_add_co_u32_e32 v2, vcc, 0x2000, v2
	s_nop 1
	v_addc_co_u32_e32 v3, vcc, 0, v3, vcc
	global_load_ushort v4, v[2:3], off offset:3584
.LBB138_48:
	s_or_b64 exec, exec, s[52:53]
	s_waitcnt vmcnt(0)
	ds_write_b16 v14, v5
	ds_write_b16 v14, v6 offset:512
	ds_write_b16 v14, v7 offset:1024
	;; [unrolled: 1-line block ×23, first 2 shown]
	v_mad_u32_u24 v15, v0, 46, v14
	s_waitcnt lgkmcnt(0)
	s_barrier
	ds_read_b128 v[10:13], v15
	ds_read_b128 v[6:9], v15 offset:16
	ds_read_b128 v[2:5], v15 offset:32
	s_load_dwordx2 s[0:1], s[0:1], 0x20
	s_waitcnt lgkmcnt(0)
	s_barrier
	v_and_b32_e32 v26, 0xffff0000, v10
	v_lshlrev_b32_e32 v28, 16, v10
	v_lshrrev_b32_e32 v27, 16, v10
	v_cmp_lt_f32_e32 vcc, v28, v26
	v_lshlrev_b32_e32 v29, 16, v11
	v_lshrrev_b32_e32 v25, 16, v11
	v_cndmask_b32_e32 v30, v10, v27, vcc
	v_lshlrev_b32_e32 v31, 16, v30
	v_cmp_lt_f32_e32 vcc, v31, v29
	v_lshrrev_b32_e32 v24, 16, v12
	v_lshrrev_b32_e32 v23, 16, v13
	v_cndmask_b32_e32 v31, v30, v11, vcc
	v_lshlrev_b32_e32 v32, 16, v31
	v_and_b32_e32 v30, 0xffff0000, v11
	v_cmp_lt_f32_e32 vcc, v32, v30
	v_lshrrev_b32_e32 v22, 16, v6
	v_lshrrev_b32_e32 v21, 16, v7
	v_cndmask_b32_e32 v32, v31, v25, vcc
	v_lshlrev_b32_e32 v33, 16, v32
	v_lshlrev_b32_e32 v31, 16, v12
	v_cmp_lt_f32_e32 vcc, v33, v31
	v_lshrrev_b32_e32 v20, 16, v8
	v_lshrrev_b32_e32 v19, 16, v9
	v_cndmask_b32_e32 v33, v32, v12, vcc
	v_lshlrev_b32_e32 v34, 16, v33
	v_and_b32_e32 v32, 0xffff0000, v12
	v_cmp_lt_f32_e32 vcc, v34, v32
	v_lshrrev_b32_e32 v18, 16, v2
	v_lshrrev_b32_e32 v17, 16, v3
	v_cndmask_b32_e32 v34, v33, v24, vcc
	v_lshlrev_b32_e32 v35, 16, v34
	v_lshlrev_b32_e32 v33, 16, v13
	v_cmp_lt_f32_e32 vcc, v35, v33
	v_lshrrev_b32_e32 v16, 16, v4
	v_and_b32_e32 v53, 0xffff0000, v5
	v_cndmask_b32_e32 v35, v34, v13, vcc
	v_lshlrev_b32_e32 v36, 16, v35
	v_and_b32_e32 v34, 0xffff0000, v13
	v_cmp_lt_f32_e32 vcc, v36, v34
	v_lshrrev_b32_e32 v50, 16, v5
	s_nop 0
	v_cndmask_b32_e32 v36, v35, v23, vcc
	v_lshlrev_b32_e32 v37, 16, v36
	v_lshlrev_b32_e32 v35, 16, v6
	v_cmp_lt_f32_e32 vcc, v37, v35
	s_nop 1
	v_cndmask_b32_e32 v37, v36, v6, vcc
	v_lshlrev_b32_e32 v38, 16, v37
	v_and_b32_e32 v36, 0xffff0000, v6
	v_cmp_lt_f32_e32 vcc, v38, v36
	s_nop 1
	v_cndmask_b32_e32 v38, v37, v22, vcc
	v_lshlrev_b32_e32 v39, 16, v38
	v_lshlrev_b32_e32 v37, 16, v7
	v_cmp_lt_f32_e32 vcc, v39, v37
	s_nop 1
	v_cndmask_b32_e32 v39, v38, v7, vcc
	v_lshlrev_b32_e32 v40, 16, v39
	v_and_b32_e32 v38, 0xffff0000, v7
	v_cmp_lt_f32_e32 vcc, v40, v38
	;; [unrolled: 10-line block ×7, first 2 shown]
	s_nop 1
	v_cndmask_b32_e32 v51, v49, v16, vcc
	v_lshlrev_b32_e32 v52, 16, v51
	v_lshlrev_b32_e32 v49, 16, v5
	v_cmp_lt_f32_e32 vcc, v52, v49
	s_nop 1
	v_cndmask_b32_e32 v51, v51, v5, vcc
	v_lshlrev_b32_e32 v52, 16, v51
	v_cmp_lt_f32_e32 vcc, v52, v53
	s_nop 1
	v_cndmask_b32_e32 v51, v51, v50, vcc
	v_and_b32_e32 v53, 0xffff, v51
	v_mbcnt_lo_u32_b32 v50, -1, 0
	v_lshlrev_b32_e32 v56, 16, v51
	v_mov_b32_dpp v54, v53 row_shr:1 row_mask:0xf bank_mask:0xf
	v_lshlrev_b32_e32 v55, 16, v54
	v_mbcnt_hi_u32_b32 v50, -1, v50
	v_cmp_lt_f32_e32 vcc, v55, v56
	v_and_b32_e32 v52, 15, v50
	s_nop 0
	v_cndmask_b32_e32 v54, v54, v51, vcc
	v_and_b32_e32 v55, 0xffff, v54
	v_cmp_eq_u32_e32 vcc, 0, v52
	s_nop 1
	v_cndmask_b32_e32 v53, v55, v53, vcc
	v_cndmask_b32_e32 v51, v54, v51, vcc
	v_lshlrev_b32_e32 v55, 16, v53
	v_mov_b32_dpp v54, v53 row_shr:2 row_mask:0xf bank_mask:0xf
	v_lshlrev_b32_e32 v56, 16, v54
	v_cmp_lt_f32_e32 vcc, v56, v55
	s_nop 1
	v_cndmask_b32_e32 v54, v54, v51, vcc
	v_and_b32_e32 v55, 0xffff, v54
	v_cmp_lt_u32_e32 vcc, 1, v52
	s_nop 1
	v_cndmask_b32_e32 v53, v53, v55, vcc
	v_cndmask_b32_e32 v51, v51, v54, vcc
	v_lshlrev_b32_e32 v55, 16, v53
	v_mov_b32_dpp v54, v53 row_shr:4 row_mask:0xf bank_mask:0xf
	v_lshlrev_b32_e32 v56, 16, v54
	v_cmp_lt_f32_e32 vcc, v56, v55
	s_nop 1
	v_cndmask_b32_e32 v54, v54, v51, vcc
	v_and_b32_e32 v55, 0xffff, v54
	v_cmp_lt_u32_e32 vcc, 3, v52
	;; [unrolled: 11-line block ×3, first 2 shown]
	s_nop 1
	v_cndmask_b32_e32 v52, v53, v55, vcc
	v_lshlrev_b32_e32 v55, 16, v52
	v_cndmask_b32_e32 v51, v51, v54, vcc
	v_mov_b32_dpp v53, v52 row_bcast:15 row_mask:0xf bank_mask:0xf
	v_lshlrev_b32_e32 v56, 16, v53
	v_cmp_lt_f32_e32 vcc, v56, v55
	v_and_b32_e32 v54, 16, v50
	s_nop 0
	v_cndmask_b32_e32 v53, v53, v51, vcc
	v_and_b32_e32 v55, 0xffff, v53
	v_cmp_eq_u32_e32 vcc, 0, v54
	s_nop 1
	v_cndmask_b32_e32 v52, v55, v52, vcc
	v_cndmask_b32_e32 v51, v53, v51, vcc
	s_nop 0
	v_mov_b32_dpp v53, v52 row_bcast:31 row_mask:0xf bank_mask:0xf
	v_lshlrev_b32_e32 v52, 16, v52
	v_lshlrev_b32_e32 v54, 16, v53
	v_cmp_lt_f32_e32 vcc, v54, v52
	s_nop 1
	v_cndmask_b32_e32 v52, v53, v51, vcc
	v_cmp_lt_u32_e32 vcc, 31, v50
	v_or_b32_e32 v53, 63, v0
	s_nop 0
	v_cndmask_b32_e32 v51, v51, v52, vcc
	v_lshrrev_b32_e32 v52, 6, v0
	v_cmp_eq_u32_e32 vcc, v53, v0
	s_and_saveexec_b64 s[52:53], vcc
	s_cbranch_execz .LBB138_50
; %bb.49:
	v_lshlrev_b32_e32 v53, 1, v52
	ds_write_b16 v53, v51
.LBB138_50:
	s_or_b64 exec, exec, s[52:53]
	v_cmp_gt_u32_e32 vcc, 4, v0
	s_waitcnt lgkmcnt(0)
	s_barrier
	s_and_saveexec_b64 s[52:53], vcc
	s_cbranch_execz .LBB138_52
; %bb.51:
	ds_read_u16 v53, v14
	v_and_b32_e32 v54, 3, v50
	s_waitcnt lgkmcnt(0)
	v_and_b32_e32 v55, 0xffff, v53
	s_nop 1
	v_mov_b32_dpp v57, v55 row_shr:1 row_mask:0xf bank_mask:0xf
	v_lshlrev_b32_e32 v56, 16, v53
	v_lshlrev_b32_e32 v58, 16, v57
	v_cmp_lt_f32_e32 vcc, v58, v56
	s_nop 1
	v_cndmask_b32_e32 v56, v57, v53, vcc
	v_and_b32_e32 v57, 0xffff, v56
	v_cmp_eq_u32_e32 vcc, 0, v54
	s_nop 1
	v_cndmask_b32_e32 v55, v57, v55, vcc
	v_cndmask_b32_e32 v53, v56, v53, vcc
	s_nop 0
	v_mov_b32_dpp v56, v55 row_shr:2 row_mask:0xf bank_mask:0xf
	v_lshlrev_b32_e32 v55, 16, v55
	v_lshlrev_b32_e32 v57, 16, v56
	v_cmp_lt_f32_e32 vcc, v57, v55
	s_nop 1
	v_cndmask_b32_e32 v55, v56, v53, vcc
	v_cmp_lt_u32_e32 vcc, 1, v54
	s_nop 1
	v_cndmask_b32_e32 v53, v53, v55, vcc
	ds_write_b16 v14, v53
.LBB138_52:
	s_or_b64 exec, exec, s[52:53]
	v_cmp_lt_u32_e32 vcc, 63, v0
	v_mov_b32_e32 v53, v1
	s_waitcnt lgkmcnt(0)
	s_barrier
	s_and_saveexec_b64 s[52:53], vcc
	s_cbranch_execz .LBB138_54
; %bb.53:
	v_lshl_add_u32 v52, v52, 1, -2
	ds_read_u16 v52, v52
	v_lshlrev_b32_e32 v53, 16, v1
	s_waitcnt lgkmcnt(0)
	v_lshlrev_b32_e32 v54, 16, v52
	v_cmp_lt_f32_e32 vcc, v53, v54
	s_nop 1
	v_cndmask_b32_e32 v53, v1, v52, vcc
.LBB138_54:
	s_or_b64 exec, exec, s[52:53]
	v_lshlrev_b32_e32 v52, 16, v51
	v_lshlrev_b32_e32 v54, 16, v53
	v_cmp_lt_f32_e32 vcc, v54, v52
	v_add_u32_e32 v52, -1, v50
	v_and_b32_e32 v54, 64, v50
	v_cndmask_b32_e32 v51, v53, v51, vcc
	v_cmp_lt_i32_e32 vcc, v52, v54
	v_and_b32_e32 v51, 0xffff, v51
	s_mov_b32 s33, 0x5040100
	v_cndmask_b32_e32 v52, v52, v50, vcc
	v_lshlrev_b32_e32 v52, 2, v52
	ds_bpermute_b32 v51, v52, v51
	v_cmp_eq_u32_e32 vcc, 0, v50
	s_waitcnt lgkmcnt(0)
	s_barrier
	v_cndmask_b32_e32 v50, v51, v53, vcc
	v_cmp_eq_u32_e32 vcc, 0, v0
	s_nop 1
	v_cndmask_b32_e32 v1, v50, v1, vcc
	v_lshlrev_b32_e32 v50, 16, v1
	v_cmp_gt_f32_e32 vcc, v28, v50
	s_nop 1
	v_cndmask_b32_e32 v10, v1, v10, vcc
	v_lshlrev_b32_e32 v28, 16, v10
	v_cmp_gt_f32_e32 vcc, v26, v28
	;; [unrolled: 4-line block ×20, first 2 shown]
	v_perm_b32 v3, v11, v26, s33
	s_nop 0
	v_cndmask_b32_e32 v17, v28, v17, vcc
	v_lshlrev_b32_e32 v2, 16, v17
	v_cmp_gt_f32_e32 vcc, v47, v2
	s_nop 1
	v_cndmask_b32_e32 v29, v17, v4, vcc
	v_lshlrev_b32_e32 v2, 16, v29
	v_cmp_gt_f32_e32 vcc, v48, v2
	v_perm_b32 v4, v12, v25, s33
	s_nop 0
	v_cndmask_b32_e32 v16, v29, v16, vcc
	v_lshlrev_b32_e32 v2, 16, v16
	v_cmp_gt_f32_e32 vcc, v49, v2
	v_perm_b32 v2, v10, v1, s33
	s_nop 0
	v_cndmask_b32_e32 v30, v16, v5, vcc
	v_perm_b32 v5, v13, v24, s33
	ds_write_b128 v15, v[2:5]
	v_perm_b32 v5, v9, v20, s33
	v_perm_b32 v4, v8, v21, s33
	;; [unrolled: 1-line block ×4, first 2 shown]
	ds_write_b128 v15, v[2:5] offset:16
	v_perm_b32 v5, v30, v16, s33
	v_perm_b32 v4, v29, v17, s33
	;; [unrolled: 1-line block ×4, first 2 shown]
	s_movk_i32 s33, 0xffd2
	v_mad_i32_i24 v0, v0, s33, v15
	ds_write_b128 v15, v[2:5] offset:32
	s_waitcnt lgkmcnt(0)
	s_barrier
	ds_read_u16 v25, v0 offset:512
	ds_read_u16 v24, v0 offset:1024
	;; [unrolled: 1-line block ×23, first 2 shown]
	v_mov_b32_e32 v15, 0
	v_lshl_add_u64 v[0:1], s[0:1], 0, v[14:15]
	s_and_saveexec_b64 s[0:1], s[50:51]
	s_cbranch_execnz .LBB138_79
; %bb.55:
	s_or_b64 exec, exec, s[0:1]
	s_and_saveexec_b64 s[0:1], s[2:3]
	s_cbranch_execnz .LBB138_80
.LBB138_56:
	s_or_b64 exec, exec, s[0:1]
	s_and_saveexec_b64 s[0:1], s[4:5]
	s_cbranch_execnz .LBB138_81
.LBB138_57:
	s_or_b64 exec, exec, s[0:1]
	s_and_saveexec_b64 s[0:1], s[6:7]
	s_cbranch_execnz .LBB138_82
.LBB138_58:
	s_or_b64 exec, exec, s[0:1]
	s_and_saveexec_b64 s[0:1], s[8:9]
	s_cbranch_execnz .LBB138_83
.LBB138_59:
	s_or_b64 exec, exec, s[0:1]
	s_and_saveexec_b64 s[0:1], s[10:11]
	s_cbranch_execnz .LBB138_84
.LBB138_60:
	s_or_b64 exec, exec, s[0:1]
	s_and_saveexec_b64 s[0:1], s[12:13]
	s_cbranch_execnz .LBB138_85
.LBB138_61:
	s_or_b64 exec, exec, s[0:1]
	s_and_saveexec_b64 s[0:1], s[14:15]
	s_cbranch_execnz .LBB138_86
.LBB138_62:
	s_or_b64 exec, exec, s[0:1]
	s_and_saveexec_b64 s[0:1], s[16:17]
	s_cbranch_execnz .LBB138_87
.LBB138_63:
	s_or_b64 exec, exec, s[0:1]
	s_and_saveexec_b64 s[0:1], s[18:19]
	s_cbranch_execnz .LBB138_88
.LBB138_64:
	s_or_b64 exec, exec, s[0:1]
	s_and_saveexec_b64 s[0:1], s[20:21]
	s_cbranch_execnz .LBB138_89
.LBB138_65:
	s_or_b64 exec, exec, s[0:1]
	s_and_saveexec_b64 s[0:1], s[22:23]
	s_cbranch_execnz .LBB138_90
.LBB138_66:
	s_or_b64 exec, exec, s[0:1]
	s_and_saveexec_b64 s[0:1], s[24:25]
	s_cbranch_execnz .LBB138_91
.LBB138_67:
	s_or_b64 exec, exec, s[0:1]
	s_and_saveexec_b64 s[0:1], s[26:27]
	s_cbranch_execnz .LBB138_92
.LBB138_68:
	s_or_b64 exec, exec, s[0:1]
	s_and_saveexec_b64 s[0:1], s[28:29]
	s_cbranch_execnz .LBB138_93
.LBB138_69:
	s_or_b64 exec, exec, s[0:1]
	s_and_saveexec_b64 s[0:1], s[30:31]
	s_cbranch_execnz .LBB138_94
.LBB138_70:
	s_or_b64 exec, exec, s[0:1]
	s_and_saveexec_b64 s[0:1], s[34:35]
	s_cbranch_execnz .LBB138_95
.LBB138_71:
	s_or_b64 exec, exec, s[0:1]
	s_and_saveexec_b64 s[0:1], s[36:37]
	s_cbranch_execnz .LBB138_96
.LBB138_72:
	s_or_b64 exec, exec, s[0:1]
	s_and_saveexec_b64 s[0:1], s[38:39]
	s_cbranch_execnz .LBB138_97
.LBB138_73:
	s_or_b64 exec, exec, s[0:1]
	s_and_saveexec_b64 s[0:1], s[40:41]
	s_cbranch_execnz .LBB138_98
.LBB138_74:
	s_or_b64 exec, exec, s[0:1]
	s_and_saveexec_b64 s[0:1], s[42:43]
	s_cbranch_execnz .LBB138_99
.LBB138_75:
	s_or_b64 exec, exec, s[0:1]
	s_and_saveexec_b64 s[0:1], s[44:45]
	s_cbranch_execnz .LBB138_100
.LBB138_76:
	s_or_b64 exec, exec, s[0:1]
	s_and_saveexec_b64 s[0:1], s[46:47]
	s_cbranch_execnz .LBB138_101
.LBB138_77:
	s_or_b64 exec, exec, s[0:1]
	s_and_saveexec_b64 s[0:1], s[48:49]
	s_cbranch_execnz .LBB138_102
.LBB138_78:
	s_endpgm
.LBB138_79:
	ds_read_u16 v14, v14
	s_waitcnt lgkmcnt(0)
	global_store_short v[0:1], v14, off
	s_or_b64 exec, exec, s[0:1]
	s_and_saveexec_b64 s[0:1], s[2:3]
	s_cbranch_execz .LBB138_56
.LBB138_80:
	s_waitcnt lgkmcnt(14)
	global_store_short v[0:1], v25, off offset:512
	s_or_b64 exec, exec, s[0:1]
	s_and_saveexec_b64 s[0:1], s[4:5]
	s_cbranch_execz .LBB138_57
.LBB138_81:
	s_waitcnt lgkmcnt(14)
	global_store_short v[0:1], v24, off offset:1024
	s_or_b64 exec, exec, s[0:1]
	s_and_saveexec_b64 s[0:1], s[6:7]
	s_cbranch_execz .LBB138_58
.LBB138_82:
	s_waitcnt lgkmcnt(14)
	global_store_short v[0:1], v23, off offset:1536
	s_or_b64 exec, exec, s[0:1]
	s_and_saveexec_b64 s[0:1], s[8:9]
	s_cbranch_execz .LBB138_59
.LBB138_83:
	s_waitcnt lgkmcnt(1)
	global_store_short v[0:1], v26, off offset:2048
	s_or_b64 exec, exec, s[0:1]
	s_and_saveexec_b64 s[0:1], s[10:11]
	s_cbranch_execz .LBB138_60
.LBB138_84:
	s_waitcnt lgkmcnt(14)
	global_store_short v[0:1], v22, off offset:2560
	s_or_b64 exec, exec, s[0:1]
	s_and_saveexec_b64 s[0:1], s[12:13]
	s_cbranch_execz .LBB138_61
.LBB138_85:
	s_waitcnt lgkmcnt(14)
	global_store_short v[0:1], v21, off offset:3072
	s_or_b64 exec, exec, s[0:1]
	s_and_saveexec_b64 s[0:1], s[14:15]
	s_cbranch_execz .LBB138_62
.LBB138_86:
	s_waitcnt lgkmcnt(14)
	global_store_short v[0:1], v20, off offset:3584
	s_or_b64 exec, exec, s[0:1]
	s_and_saveexec_b64 s[0:1], s[16:17]
	s_cbranch_execz .LBB138_63
.LBB138_87:
	v_add_co_u32_e32 v14, vcc, 0x1000, v0
	s_nop 1
	v_addc_co_u32_e32 v15, vcc, 0, v1, vcc
	s_waitcnt lgkmcnt(14)
	global_store_short v[14:15], v19, off
	s_or_b64 exec, exec, s[0:1]
	s_and_saveexec_b64 s[0:1], s[18:19]
	s_cbranch_execz .LBB138_64
.LBB138_88:
	v_add_co_u32_e32 v14, vcc, 0x1000, v0
	s_nop 1
	v_addc_co_u32_e32 v15, vcc, 0, v1, vcc
	s_waitcnt lgkmcnt(14)
	global_store_short v[14:15], v18, off offset:512
	s_or_b64 exec, exec, s[0:1]
	s_and_saveexec_b64 s[0:1], s[20:21]
	s_cbranch_execz .LBB138_65
.LBB138_89:
	v_add_co_u32_e32 v14, vcc, 0x1000, v0
	s_nop 1
	v_addc_co_u32_e32 v15, vcc, 0, v1, vcc
	s_waitcnt lgkmcnt(14)
	global_store_short v[14:15], v17, off offset:1024
	s_or_b64 exec, exec, s[0:1]
	s_and_saveexec_b64 s[0:1], s[22:23]
	s_cbranch_execz .LBB138_66
.LBB138_90:
	v_add_co_u32_e32 v14, vcc, 0x1000, v0
	s_nop 1
	v_addc_co_u32_e32 v15, vcc, 0, v1, vcc
	s_waitcnt lgkmcnt(10)
	global_store_short v[14:15], v16, off offset:1536
	s_or_b64 exec, exec, s[0:1]
	s_and_saveexec_b64 s[0:1], s[24:25]
	s_cbranch_execz .LBB138_67
.LBB138_91:
	v_add_co_u32_e32 v14, vcc, 0x1000, v0
	s_nop 1
	v_addc_co_u32_e32 v15, vcc, 0, v1, vcc
	s_waitcnt lgkmcnt(13)
	global_store_short v[14:15], v13, off offset:2048
	s_or_b64 exec, exec, s[0:1]
	s_and_saveexec_b64 s[0:1], s[26:27]
	s_cbranch_execz .LBB138_68
.LBB138_92:
	v_add_co_u32_e32 v14, vcc, 0x1000, v0
	s_nop 1
	v_addc_co_u32_e32 v15, vcc, 0, v1, vcc
	s_waitcnt lgkmcnt(9)
	global_store_short v[14:15], v12, off offset:2560
	s_or_b64 exec, exec, s[0:1]
	s_and_saveexec_b64 s[0:1], s[28:29]
	s_cbranch_execz .LBB138_69
.LBB138_93:
	s_waitcnt lgkmcnt(9)
	v_add_co_u32_e32 v12, vcc, 0x1000, v0
	s_nop 1
	v_addc_co_u32_e32 v13, vcc, 0, v1, vcc
	s_waitcnt lgkmcnt(8)
	global_store_short v[12:13], v11, off offset:3072
	s_or_b64 exec, exec, s[0:1]
	s_and_saveexec_b64 s[0:1], s[30:31]
	s_cbranch_execz .LBB138_70
.LBB138_94:
	s_waitcnt lgkmcnt(9)
	v_add_co_u32_e32 v12, vcc, 0x1000, v0
	s_nop 1
	v_addc_co_u32_e32 v13, vcc, 0, v1, vcc
	s_waitcnt lgkmcnt(7)
	global_store_short v[12:13], v10, off offset:3584
	s_or_b64 exec, exec, s[0:1]
	s_and_saveexec_b64 s[0:1], s[34:35]
	s_cbranch_execz .LBB138_71
.LBB138_95:
	s_waitcnt lgkmcnt(7)
	v_add_co_u32_e32 v10, vcc, 0x2000, v0
	s_nop 1
	v_addc_co_u32_e32 v11, vcc, 0, v1, vcc
	global_store_short v[10:11], v9, off
	s_or_b64 exec, exec, s[0:1]
	s_and_saveexec_b64 s[0:1], s[36:37]
	s_cbranch_execz .LBB138_72
.LBB138_96:
	s_waitcnt lgkmcnt(7)
	v_add_co_u32_e32 v10, vcc, 0x2000, v0
	s_nop 1
	v_addc_co_u32_e32 v11, vcc, 0, v1, vcc
	s_waitcnt lgkmcnt(6)
	global_store_short v[10:11], v8, off offset:512
	s_or_b64 exec, exec, s[0:1]
	s_and_saveexec_b64 s[0:1], s[38:39]
	s_cbranch_execz .LBB138_73
.LBB138_97:
	s_waitcnt lgkmcnt(6)
	v_add_co_u32_e32 v8, vcc, 0x2000, v0
	s_nop 1
	v_addc_co_u32_e32 v9, vcc, 0, v1, vcc
	s_waitcnt lgkmcnt(5)
	global_store_short v[8:9], v7, off offset:1024
	s_or_b64 exec, exec, s[0:1]
	s_and_saveexec_b64 s[0:1], s[40:41]
	s_cbranch_execz .LBB138_74
.LBB138_98:
	s_waitcnt lgkmcnt(6)
	v_add_co_u32_e32 v8, vcc, 0x2000, v0
	s_nop 1
	v_addc_co_u32_e32 v9, vcc, 0, v1, vcc
	s_waitcnt lgkmcnt(4)
	global_store_short v[8:9], v6, off offset:1536
	s_or_b64 exec, exec, s[0:1]
	s_and_saveexec_b64 s[0:1], s[42:43]
	s_cbranch_execz .LBB138_75
.LBB138_99:
	s_waitcnt lgkmcnt(4)
	v_add_co_u32_e32 v6, vcc, 0x2000, v0
	s_nop 1
	v_addc_co_u32_e32 v7, vcc, 0, v1, vcc
	global_store_short v[6:7], v5, off offset:2048
	s_or_b64 exec, exec, s[0:1]
	s_and_saveexec_b64 s[0:1], s[44:45]
	s_cbranch_execz .LBB138_76
.LBB138_100:
	s_waitcnt lgkmcnt(4)
	v_add_co_u32_e32 v6, vcc, 0x2000, v0
	s_nop 1
	v_addc_co_u32_e32 v7, vcc, 0, v1, vcc
	s_waitcnt lgkmcnt(3)
	global_store_short v[6:7], v4, off offset:2560
	s_or_b64 exec, exec, s[0:1]
	s_and_saveexec_b64 s[0:1], s[46:47]
	s_cbranch_execz .LBB138_77
.LBB138_101:
	s_waitcnt lgkmcnt(3)
	v_add_co_u32_e32 v4, vcc, 0x2000, v0
	s_nop 1
	v_addc_co_u32_e32 v5, vcc, 0, v1, vcc
	s_waitcnt lgkmcnt(2)
	global_store_short v[4:5], v3, off offset:3072
	s_or_b64 exec, exec, s[0:1]
	s_and_saveexec_b64 s[0:1], s[48:49]
	s_cbranch_execz .LBB138_78
.LBB138_102:
	v_add_co_u32_e32 v0, vcc, 0x2000, v0
	s_nop 1
	v_addc_co_u32_e32 v1, vcc, 0, v1, vcc
	s_waitcnt lgkmcnt(0)
	global_store_short v[0:1], v2, off offset:3584
	s_endpgm
	.section	.rodata,"a",@progbits
	.p2align	6, 0x0
	.amdhsa_kernel _ZN7rocprim6detail18single_scan_kernelILb1ENS0_19wrapped_scan_configINS_14default_configE12hip_bfloat16EEN6hipcub22TransformInputIteratorIS4_NS6_6CastOpIS4_EEPS4_lEESA_NS6_3MaxENS_12future_valueIS4_SA_EES4_EEvT1_mT4_T2_T3_
		.amdhsa_group_segment_fixed_size 12288
		.amdhsa_private_segment_fixed_size 0
		.amdhsa_kernarg_size 44
		.amdhsa_user_sgpr_count 2
		.amdhsa_user_sgpr_dispatch_ptr 0
		.amdhsa_user_sgpr_queue_ptr 0
		.amdhsa_user_sgpr_kernarg_segment_ptr 1
		.amdhsa_user_sgpr_dispatch_id 0
		.amdhsa_user_sgpr_kernarg_preload_length 0
		.amdhsa_user_sgpr_kernarg_preload_offset 0
		.amdhsa_user_sgpr_private_segment_size 0
		.amdhsa_uses_dynamic_stack 0
		.amdhsa_enable_private_segment 0
		.amdhsa_system_sgpr_workgroup_id_x 1
		.amdhsa_system_sgpr_workgroup_id_y 0
		.amdhsa_system_sgpr_workgroup_id_z 0
		.amdhsa_system_sgpr_workgroup_info 0
		.amdhsa_system_vgpr_workitem_id 0
		.amdhsa_next_free_vgpr 59
		.amdhsa_next_free_sgpr 54
		.amdhsa_accum_offset 60
		.amdhsa_reserve_vcc 1
		.amdhsa_float_round_mode_32 0
		.amdhsa_float_round_mode_16_64 0
		.amdhsa_float_denorm_mode_32 3
		.amdhsa_float_denorm_mode_16_64 3
		.amdhsa_dx10_clamp 1
		.amdhsa_ieee_mode 1
		.amdhsa_fp16_overflow 0
		.amdhsa_tg_split 0
		.amdhsa_exception_fp_ieee_invalid_op 0
		.amdhsa_exception_fp_denorm_src 0
		.amdhsa_exception_fp_ieee_div_zero 0
		.amdhsa_exception_fp_ieee_overflow 0
		.amdhsa_exception_fp_ieee_underflow 0
		.amdhsa_exception_fp_ieee_inexact 0
		.amdhsa_exception_int_div_zero 0
	.end_amdhsa_kernel
	.section	.text._ZN7rocprim6detail18single_scan_kernelILb1ENS0_19wrapped_scan_configINS_14default_configE12hip_bfloat16EEN6hipcub22TransformInputIteratorIS4_NS6_6CastOpIS4_EEPS4_lEESA_NS6_3MaxENS_12future_valueIS4_SA_EES4_EEvT1_mT4_T2_T3_,"axG",@progbits,_ZN7rocprim6detail18single_scan_kernelILb1ENS0_19wrapped_scan_configINS_14default_configE12hip_bfloat16EEN6hipcub22TransformInputIteratorIS4_NS6_6CastOpIS4_EEPS4_lEESA_NS6_3MaxENS_12future_valueIS4_SA_EES4_EEvT1_mT4_T2_T3_,comdat
.Lfunc_end138:
	.size	_ZN7rocprim6detail18single_scan_kernelILb1ENS0_19wrapped_scan_configINS_14default_configE12hip_bfloat16EEN6hipcub22TransformInputIteratorIS4_NS6_6CastOpIS4_EEPS4_lEESA_NS6_3MaxENS_12future_valueIS4_SA_EES4_EEvT1_mT4_T2_T3_, .Lfunc_end138-_ZN7rocprim6detail18single_scan_kernelILb1ENS0_19wrapped_scan_configINS_14default_configE12hip_bfloat16EEN6hipcub22TransformInputIteratorIS4_NS6_6CastOpIS4_EEPS4_lEESA_NS6_3MaxENS_12future_valueIS4_SA_EES4_EEvT1_mT4_T2_T3_
                                        ; -- End function
	.section	.AMDGPU.csdata,"",@progbits
; Kernel info:
; codeLenInByte = 4580
; NumSgprs: 60
; NumVgprs: 59
; NumAgprs: 0
; TotalNumVgprs: 59
; ScratchSize: 0
; MemoryBound: 0
; FloatMode: 240
; IeeeMode: 1
; LDSByteSize: 12288 bytes/workgroup (compile time only)
; SGPRBlocks: 7
; VGPRBlocks: 7
; NumSGPRsForWavesPerEU: 60
; NumVGPRsForWavesPerEU: 59
; AccumOffset: 60
; Occupancy: 5
; WaveLimiterHint : 0
; COMPUTE_PGM_RSRC2:SCRATCH_EN: 0
; COMPUTE_PGM_RSRC2:USER_SGPR: 2
; COMPUTE_PGM_RSRC2:TRAP_HANDLER: 0
; COMPUTE_PGM_RSRC2:TGID_X_EN: 1
; COMPUTE_PGM_RSRC2:TGID_Y_EN: 0
; COMPUTE_PGM_RSRC2:TGID_Z_EN: 0
; COMPUTE_PGM_RSRC2:TIDIG_COMP_CNT: 0
; COMPUTE_PGM_RSRC3_GFX90A:ACCUM_OFFSET: 14
; COMPUTE_PGM_RSRC3_GFX90A:TG_SPLIT: 0
	.section	.text._ZL18fill_initial_valueI12hip_bfloat16EvPT_S1_,"axG",@progbits,_ZL18fill_initial_valueI12hip_bfloat16EvPT_S1_,comdat
	.globl	_ZL18fill_initial_valueI12hip_bfloat16EvPT_S1_ ; -- Begin function _ZL18fill_initial_valueI12hip_bfloat16EvPT_S1_
	.p2align	8
	.type	_ZL18fill_initial_valueI12hip_bfloat16EvPT_S1_,@function
_ZL18fill_initial_valueI12hip_bfloat16EvPT_S1_: ; @_ZL18fill_initial_valueI12hip_bfloat16EvPT_S1_
; %bb.0:
	s_load_dword s4, s[0:1], 0x8
	s_load_dwordx2 s[2:3], s[0:1], 0x0
	v_mov_b32_e32 v0, 0
	s_waitcnt lgkmcnt(0)
	v_mov_b32_e32 v1, s4
	global_store_short v0, v1, s[2:3]
	s_endpgm
	.section	.rodata,"a",@progbits
	.p2align	6, 0x0
	.amdhsa_kernel _ZL18fill_initial_valueI12hip_bfloat16EvPT_S1_
		.amdhsa_group_segment_fixed_size 0
		.amdhsa_private_segment_fixed_size 0
		.amdhsa_kernarg_size 12
		.amdhsa_user_sgpr_count 2
		.amdhsa_user_sgpr_dispatch_ptr 0
		.amdhsa_user_sgpr_queue_ptr 0
		.amdhsa_user_sgpr_kernarg_segment_ptr 1
		.amdhsa_user_sgpr_dispatch_id 0
		.amdhsa_user_sgpr_kernarg_preload_length 0
		.amdhsa_user_sgpr_kernarg_preload_offset 0
		.amdhsa_user_sgpr_private_segment_size 0
		.amdhsa_uses_dynamic_stack 0
		.amdhsa_enable_private_segment 0
		.amdhsa_system_sgpr_workgroup_id_x 1
		.amdhsa_system_sgpr_workgroup_id_y 0
		.amdhsa_system_sgpr_workgroup_id_z 0
		.amdhsa_system_sgpr_workgroup_info 0
		.amdhsa_system_vgpr_workitem_id 0
		.amdhsa_next_free_vgpr 2
		.amdhsa_next_free_sgpr 5
		.amdhsa_accum_offset 4
		.amdhsa_reserve_vcc 0
		.amdhsa_float_round_mode_32 0
		.amdhsa_float_round_mode_16_64 0
		.amdhsa_float_denorm_mode_32 3
		.amdhsa_float_denorm_mode_16_64 3
		.amdhsa_dx10_clamp 1
		.amdhsa_ieee_mode 1
		.amdhsa_fp16_overflow 0
		.amdhsa_tg_split 0
		.amdhsa_exception_fp_ieee_invalid_op 0
		.amdhsa_exception_fp_denorm_src 0
		.amdhsa_exception_fp_ieee_div_zero 0
		.amdhsa_exception_fp_ieee_overflow 0
		.amdhsa_exception_fp_ieee_underflow 0
		.amdhsa_exception_fp_ieee_inexact 0
		.amdhsa_exception_int_div_zero 0
	.end_amdhsa_kernel
	.section	.text._ZL18fill_initial_valueI12hip_bfloat16EvPT_S1_,"axG",@progbits,_ZL18fill_initial_valueI12hip_bfloat16EvPT_S1_,comdat
.Lfunc_end139:
	.size	_ZL18fill_initial_valueI12hip_bfloat16EvPT_S1_, .Lfunc_end139-_ZL18fill_initial_valueI12hip_bfloat16EvPT_S1_
                                        ; -- End function
	.section	.AMDGPU.csdata,"",@progbits
; Kernel info:
; codeLenInByte = 40
; NumSgprs: 11
; NumVgprs: 2
; NumAgprs: 0
; TotalNumVgprs: 2
; ScratchSize: 0
; MemoryBound: 0
; FloatMode: 240
; IeeeMode: 1
; LDSByteSize: 0 bytes/workgroup (compile time only)
; SGPRBlocks: 1
; VGPRBlocks: 0
; NumSGPRsForWavesPerEU: 11
; NumVGPRsForWavesPerEU: 2
; AccumOffset: 4
; Occupancy: 8
; WaveLimiterHint : 0
; COMPUTE_PGM_RSRC2:SCRATCH_EN: 0
; COMPUTE_PGM_RSRC2:USER_SGPR: 2
; COMPUTE_PGM_RSRC2:TRAP_HANDLER: 0
; COMPUTE_PGM_RSRC2:TGID_X_EN: 1
; COMPUTE_PGM_RSRC2:TGID_Y_EN: 0
; COMPUTE_PGM_RSRC2:TGID_Z_EN: 0
; COMPUTE_PGM_RSRC2:TIDIG_COMP_CNT: 0
; COMPUTE_PGM_RSRC3_GFX90A:ACCUM_OFFSET: 0
; COMPUTE_PGM_RSRC3_GFX90A:TG_SPLIT: 0
	.section	.text._ZN7rocprim6detail31init_lookback_scan_state_kernelINS0_19lookback_scan_stateIdLb1ELb1EEEEEvT_jjPNS4_10value_typeE,"axG",@progbits,_ZN7rocprim6detail31init_lookback_scan_state_kernelINS0_19lookback_scan_stateIdLb1ELb1EEEEEvT_jjPNS4_10value_typeE,comdat
	.protected	_ZN7rocprim6detail31init_lookback_scan_state_kernelINS0_19lookback_scan_stateIdLb1ELb1EEEEEvT_jjPNS4_10value_typeE ; -- Begin function _ZN7rocprim6detail31init_lookback_scan_state_kernelINS0_19lookback_scan_stateIdLb1ELb1EEEEEvT_jjPNS4_10value_typeE
	.globl	_ZN7rocprim6detail31init_lookback_scan_state_kernelINS0_19lookback_scan_stateIdLb1ELb1EEEEEvT_jjPNS4_10value_typeE
	.p2align	8
	.type	_ZN7rocprim6detail31init_lookback_scan_state_kernelINS0_19lookback_scan_stateIdLb1ELb1EEEEEvT_jjPNS4_10value_typeE,@function
_ZN7rocprim6detail31init_lookback_scan_state_kernelINS0_19lookback_scan_stateIdLb1ELb1EEEEEvT_jjPNS4_10value_typeE: ; @_ZN7rocprim6detail31init_lookback_scan_state_kernelINS0_19lookback_scan_stateIdLb1ELb1EEEEEvT_jjPNS4_10value_typeE
; %bb.0:
	s_load_dword s3, s[0:1], 0x24
	s_load_dwordx2 s[8:9], s[0:1], 0x10
	s_load_dwordx4 s[4:7], s[0:1], 0x0
	s_waitcnt lgkmcnt(0)
	s_and_b32 s0, s3, 0xffff
	s_mul_i32 s2, s2, s0
	s_cmp_eq_u64 s[8:9], 0
	v_add_u32_e32 v0, s2, v0
	s_cbranch_scc1 .LBB140_10
; %bb.1:
	s_cmp_lt_u32 s7, s6
	s_cselect_b32 s0, s7, 0
	s_mov_b32 s3, 0
	v_cmp_eq_u32_e32 vcc, s0, v0
	s_and_saveexec_b64 s[0:1], vcc
	s_cbranch_execz .LBB140_9
; %bb.2:
	s_add_i32 s2, s7, 64
	s_lshl_b64 s[2:3], s[2:3], 4
	s_add_u32 s12, s4, s2
	s_addc_u32 s13, s5, s3
	v_mov_b64_e32 v[2:3], s[12:13]
	;;#ASMSTART
	global_load_dwordx4 v[2:5], v[2:3] off sc1	
s_waitcnt vmcnt(0)
	;;#ASMEND
	v_mov_b32_e32 v7, 0
	v_and_b32_e32 v6, 0xff, v4
	s_mov_b64 s[10:11], 0
	v_cmp_eq_u64_e32 vcc, 0, v[6:7]
	s_and_saveexec_b64 s[2:3], vcc
	s_cbranch_execz .LBB140_8
; %bb.3:
	s_mov_b32 s7, 1
	v_mov_b64_e32 v[8:9], s[12:13]
.LBB140_4:                              ; =>This Loop Header: Depth=1
                                        ;     Child Loop BB140_5 Depth 2
	s_max_u32 s12, s7, 1
.LBB140_5:                              ;   Parent Loop BB140_4 Depth=1
                                        ; =>  This Inner Loop Header: Depth=2
	s_add_i32 s12, s12, -1
	s_cmp_eq_u32 s12, 0
	s_sleep 1
	s_cbranch_scc0 .LBB140_5
; %bb.6:                                ;   in Loop: Header=BB140_4 Depth=1
	s_cmp_lt_u32 s7, 32
	s_cselect_b64 s[12:13], -1, 0
	s_cmp_lg_u64 s[12:13], 0
	;;#ASMSTART
	global_load_dwordx4 v[2:5], v[8:9] off sc1	
s_waitcnt vmcnt(0)
	;;#ASMEND
	s_addc_u32 s7, s7, 0
	v_and_b32_e32 v6, 0xff, v4
	v_cmp_ne_u64_e32 vcc, 0, v[6:7]
	s_or_b64 s[10:11], vcc, s[10:11]
	s_andn2_b64 exec, exec, s[10:11]
	s_cbranch_execnz .LBB140_4
; %bb.7:
	s_or_b64 exec, exec, s[10:11]
.LBB140_8:
	s_or_b64 exec, exec, s[2:3]
	v_mov_b32_e32 v1, 0
	global_store_dwordx2 v1, v[2:3], s[8:9]
.LBB140_9:
	s_or_b64 exec, exec, s[0:1]
.LBB140_10:
	v_cmp_gt_u32_e32 vcc, s6, v0
	s_and_saveexec_b64 s[0:1], vcc
	s_cbranch_execnz .LBB140_13
; %bb.11:
	s_or_b64 exec, exec, s[0:1]
	v_cmp_gt_u32_e32 vcc, 64, v0
	s_and_saveexec_b64 s[0:1], vcc
	s_cbranch_execnz .LBB140_14
.LBB140_12:
	s_endpgm
.LBB140_13:
	v_add_u32_e32 v2, 64, v0
	v_mov_b32_e32 v3, 0
	v_lshl_add_u64 v[6:7], v[2:3], 4, s[4:5]
	v_mov_b32_e32 v2, v3
	v_mov_b32_e32 v4, v3
	;; [unrolled: 1-line block ×3, first 2 shown]
	global_store_dwordx4 v[6:7], v[2:5], off
	s_or_b64 exec, exec, s[0:1]
	v_cmp_gt_u32_e32 vcc, 64, v0
	s_and_saveexec_b64 s[0:1], vcc
	s_cbranch_execz .LBB140_12
.LBB140_14:
	v_mov_b32_e32 v1, 0
	v_lshl_add_u64 v[4:5], v[0:1], 4, s[4:5]
	v_mov_b32_e32 v2, 0xff
	v_mov_b32_e32 v0, v1
	;; [unrolled: 1-line block ×3, first 2 shown]
	global_store_dwordx4 v[4:5], v[0:3], off
	s_endpgm
	.section	.rodata,"a",@progbits
	.p2align	6, 0x0
	.amdhsa_kernel _ZN7rocprim6detail31init_lookback_scan_state_kernelINS0_19lookback_scan_stateIdLb1ELb1EEEEEvT_jjPNS4_10value_typeE
		.amdhsa_group_segment_fixed_size 0
		.amdhsa_private_segment_fixed_size 0
		.amdhsa_kernarg_size 280
		.amdhsa_user_sgpr_count 2
		.amdhsa_user_sgpr_dispatch_ptr 0
		.amdhsa_user_sgpr_queue_ptr 0
		.amdhsa_user_sgpr_kernarg_segment_ptr 1
		.amdhsa_user_sgpr_dispatch_id 0
		.amdhsa_user_sgpr_kernarg_preload_length 0
		.amdhsa_user_sgpr_kernarg_preload_offset 0
		.amdhsa_user_sgpr_private_segment_size 0
		.amdhsa_uses_dynamic_stack 0
		.amdhsa_enable_private_segment 0
		.amdhsa_system_sgpr_workgroup_id_x 1
		.amdhsa_system_sgpr_workgroup_id_y 0
		.amdhsa_system_sgpr_workgroup_id_z 0
		.amdhsa_system_sgpr_workgroup_info 0
		.amdhsa_system_vgpr_workitem_id 0
		.amdhsa_next_free_vgpr 10
		.amdhsa_next_free_sgpr 14
		.amdhsa_accum_offset 12
		.amdhsa_reserve_vcc 1
		.amdhsa_float_round_mode_32 0
		.amdhsa_float_round_mode_16_64 0
		.amdhsa_float_denorm_mode_32 3
		.amdhsa_float_denorm_mode_16_64 3
		.amdhsa_dx10_clamp 1
		.amdhsa_ieee_mode 1
		.amdhsa_fp16_overflow 0
		.amdhsa_tg_split 0
		.amdhsa_exception_fp_ieee_invalid_op 0
		.amdhsa_exception_fp_denorm_src 0
		.amdhsa_exception_fp_ieee_div_zero 0
		.amdhsa_exception_fp_ieee_overflow 0
		.amdhsa_exception_fp_ieee_underflow 0
		.amdhsa_exception_fp_ieee_inexact 0
		.amdhsa_exception_int_div_zero 0
	.end_amdhsa_kernel
	.section	.text._ZN7rocprim6detail31init_lookback_scan_state_kernelINS0_19lookback_scan_stateIdLb1ELb1EEEEEvT_jjPNS4_10value_typeE,"axG",@progbits,_ZN7rocprim6detail31init_lookback_scan_state_kernelINS0_19lookback_scan_stateIdLb1ELb1EEEEEvT_jjPNS4_10value_typeE,comdat
.Lfunc_end140:
	.size	_ZN7rocprim6detail31init_lookback_scan_state_kernelINS0_19lookback_scan_stateIdLb1ELb1EEEEEvT_jjPNS4_10value_typeE, .Lfunc_end140-_ZN7rocprim6detail31init_lookback_scan_state_kernelINS0_19lookback_scan_stateIdLb1ELb1EEEEEvT_jjPNS4_10value_typeE
                                        ; -- End function
	.section	.AMDGPU.csdata,"",@progbits
; Kernel info:
; codeLenInByte = 372
; NumSgprs: 20
; NumVgprs: 10
; NumAgprs: 0
; TotalNumVgprs: 10
; ScratchSize: 0
; MemoryBound: 0
; FloatMode: 240
; IeeeMode: 1
; LDSByteSize: 0 bytes/workgroup (compile time only)
; SGPRBlocks: 2
; VGPRBlocks: 1
; NumSGPRsForWavesPerEU: 20
; NumVGPRsForWavesPerEU: 10
; AccumOffset: 12
; Occupancy: 8
; WaveLimiterHint : 0
; COMPUTE_PGM_RSRC2:SCRATCH_EN: 0
; COMPUTE_PGM_RSRC2:USER_SGPR: 2
; COMPUTE_PGM_RSRC2:TRAP_HANDLER: 0
; COMPUTE_PGM_RSRC2:TGID_X_EN: 1
; COMPUTE_PGM_RSRC2:TGID_Y_EN: 0
; COMPUTE_PGM_RSRC2:TGID_Z_EN: 0
; COMPUTE_PGM_RSRC2:TIDIG_COMP_CNT: 0
; COMPUTE_PGM_RSRC3_GFX90A:ACCUM_OFFSET: 2
; COMPUTE_PGM_RSRC3_GFX90A:TG_SPLIT: 0
	.section	.text._ZN7rocprim6detail31init_lookback_scan_state_kernelINS0_19lookback_scan_stateIdLb0ELb1EEEEEvT_jjPNS4_10value_typeE,"axG",@progbits,_ZN7rocprim6detail31init_lookback_scan_state_kernelINS0_19lookback_scan_stateIdLb0ELb1EEEEEvT_jjPNS4_10value_typeE,comdat
	.protected	_ZN7rocprim6detail31init_lookback_scan_state_kernelINS0_19lookback_scan_stateIdLb0ELb1EEEEEvT_jjPNS4_10value_typeE ; -- Begin function _ZN7rocprim6detail31init_lookback_scan_state_kernelINS0_19lookback_scan_stateIdLb0ELb1EEEEEvT_jjPNS4_10value_typeE
	.globl	_ZN7rocprim6detail31init_lookback_scan_state_kernelINS0_19lookback_scan_stateIdLb0ELb1EEEEEvT_jjPNS4_10value_typeE
	.p2align	8
	.type	_ZN7rocprim6detail31init_lookback_scan_state_kernelINS0_19lookback_scan_stateIdLb0ELb1EEEEEvT_jjPNS4_10value_typeE,@function
_ZN7rocprim6detail31init_lookback_scan_state_kernelINS0_19lookback_scan_stateIdLb0ELb1EEEEEvT_jjPNS4_10value_typeE: ; @_ZN7rocprim6detail31init_lookback_scan_state_kernelINS0_19lookback_scan_stateIdLb0ELb1EEEEEvT_jjPNS4_10value_typeE
; %bb.0:
	s_load_dword s3, s[0:1], 0x24
	s_load_dwordx2 s[8:9], s[0:1], 0x10
	s_load_dwordx4 s[4:7], s[0:1], 0x0
	s_waitcnt lgkmcnt(0)
	s_and_b32 s0, s3, 0xffff
	s_mul_i32 s2, s2, s0
	s_cmp_eq_u64 s[8:9], 0
	v_add_u32_e32 v0, s2, v0
	s_cbranch_scc1 .LBB141_8
; %bb.1:
	s_cmp_lt_u32 s7, s6
	s_cselect_b32 s0, s7, 0
	s_mov_b32 s3, 0
	v_cmp_eq_u32_e32 vcc, s0, v0
	s_and_saveexec_b64 s[0:1], vcc
	s_cbranch_execz .LBB141_7
; %bb.2:
	s_add_i32 s2, s7, 64
	s_lshl_b64 s[2:3], s[2:3], 4
	s_add_u32 s12, s4, s2
	s_addc_u32 s13, s5, s3
	v_mov_b64_e32 v[2:3], s[12:13]
	;;#ASMSTART
	global_load_dwordx4 v[2:5], v[2:3] off sc1	
s_waitcnt vmcnt(0)
	;;#ASMEND
	v_mov_b32_e32 v7, 0
	v_and_b32_e32 v6, 0xff, v4
	s_mov_b64 s[10:11], 0
	v_cmp_eq_u64_e32 vcc, 0, v[6:7]
	s_and_saveexec_b64 s[2:3], vcc
	s_cbranch_execz .LBB141_6
; %bb.3:
	v_mov_b64_e32 v[8:9], s[12:13]
.LBB141_4:                              ; =>This Inner Loop Header: Depth=1
	;;#ASMSTART
	global_load_dwordx4 v[2:5], v[8:9] off sc1	
s_waitcnt vmcnt(0)
	;;#ASMEND
	s_nop 0
	v_and_b32_e32 v6, 0xff, v4
	v_cmp_ne_u64_e32 vcc, 0, v[6:7]
	s_or_b64 s[10:11], vcc, s[10:11]
	s_andn2_b64 exec, exec, s[10:11]
	s_cbranch_execnz .LBB141_4
; %bb.5:
	s_or_b64 exec, exec, s[10:11]
.LBB141_6:
	s_or_b64 exec, exec, s[2:3]
	v_mov_b32_e32 v1, 0
	global_store_dwordx2 v1, v[2:3], s[8:9]
.LBB141_7:
	s_or_b64 exec, exec, s[0:1]
.LBB141_8:
	v_cmp_gt_u32_e32 vcc, s6, v0
	s_and_saveexec_b64 s[0:1], vcc
	s_cbranch_execnz .LBB141_11
; %bb.9:
	s_or_b64 exec, exec, s[0:1]
	v_cmp_gt_u32_e32 vcc, 64, v0
	s_and_saveexec_b64 s[0:1], vcc
	s_cbranch_execnz .LBB141_12
.LBB141_10:
	s_endpgm
.LBB141_11:
	v_add_u32_e32 v2, 64, v0
	v_mov_b32_e32 v3, 0
	v_lshl_add_u64 v[6:7], v[2:3], 4, s[4:5]
	v_mov_b32_e32 v2, v3
	v_mov_b32_e32 v4, v3
	;; [unrolled: 1-line block ×3, first 2 shown]
	global_store_dwordx4 v[6:7], v[2:5], off
	s_or_b64 exec, exec, s[0:1]
	v_cmp_gt_u32_e32 vcc, 64, v0
	s_and_saveexec_b64 s[0:1], vcc
	s_cbranch_execz .LBB141_10
.LBB141_12:
	v_mov_b32_e32 v1, 0
	v_lshl_add_u64 v[4:5], v[0:1], 4, s[4:5]
	v_mov_b32_e32 v2, 0xff
	v_mov_b32_e32 v0, v1
	;; [unrolled: 1-line block ×3, first 2 shown]
	global_store_dwordx4 v[4:5], v[0:3], off
	s_endpgm
	.section	.rodata,"a",@progbits
	.p2align	6, 0x0
	.amdhsa_kernel _ZN7rocprim6detail31init_lookback_scan_state_kernelINS0_19lookback_scan_stateIdLb0ELb1EEEEEvT_jjPNS4_10value_typeE
		.amdhsa_group_segment_fixed_size 0
		.amdhsa_private_segment_fixed_size 0
		.amdhsa_kernarg_size 280
		.amdhsa_user_sgpr_count 2
		.amdhsa_user_sgpr_dispatch_ptr 0
		.amdhsa_user_sgpr_queue_ptr 0
		.amdhsa_user_sgpr_kernarg_segment_ptr 1
		.amdhsa_user_sgpr_dispatch_id 0
		.amdhsa_user_sgpr_kernarg_preload_length 0
		.amdhsa_user_sgpr_kernarg_preload_offset 0
		.amdhsa_user_sgpr_private_segment_size 0
		.amdhsa_uses_dynamic_stack 0
		.amdhsa_enable_private_segment 0
		.amdhsa_system_sgpr_workgroup_id_x 1
		.amdhsa_system_sgpr_workgroup_id_y 0
		.amdhsa_system_sgpr_workgroup_id_z 0
		.amdhsa_system_sgpr_workgroup_info 0
		.amdhsa_system_vgpr_workitem_id 0
		.amdhsa_next_free_vgpr 10
		.amdhsa_next_free_sgpr 14
		.amdhsa_accum_offset 12
		.amdhsa_reserve_vcc 1
		.amdhsa_float_round_mode_32 0
		.amdhsa_float_round_mode_16_64 0
		.amdhsa_float_denorm_mode_32 3
		.amdhsa_float_denorm_mode_16_64 3
		.amdhsa_dx10_clamp 1
		.amdhsa_ieee_mode 1
		.amdhsa_fp16_overflow 0
		.amdhsa_tg_split 0
		.amdhsa_exception_fp_ieee_invalid_op 0
		.amdhsa_exception_fp_denorm_src 0
		.amdhsa_exception_fp_ieee_div_zero 0
		.amdhsa_exception_fp_ieee_overflow 0
		.amdhsa_exception_fp_ieee_underflow 0
		.amdhsa_exception_fp_ieee_inexact 0
		.amdhsa_exception_int_div_zero 0
	.end_amdhsa_kernel
	.section	.text._ZN7rocprim6detail31init_lookback_scan_state_kernelINS0_19lookback_scan_stateIdLb0ELb1EEEEEvT_jjPNS4_10value_typeE,"axG",@progbits,_ZN7rocprim6detail31init_lookback_scan_state_kernelINS0_19lookback_scan_stateIdLb0ELb1EEEEEvT_jjPNS4_10value_typeE,comdat
.Lfunc_end141:
	.size	_ZN7rocprim6detail31init_lookback_scan_state_kernelINS0_19lookback_scan_stateIdLb0ELb1EEEEEvT_jjPNS4_10value_typeE, .Lfunc_end141-_ZN7rocprim6detail31init_lookback_scan_state_kernelINS0_19lookback_scan_stateIdLb0ELb1EEEEEvT_jjPNS4_10value_typeE
                                        ; -- End function
	.section	.AMDGPU.csdata,"",@progbits
; Kernel info:
; codeLenInByte = 336
; NumSgprs: 20
; NumVgprs: 10
; NumAgprs: 0
; TotalNumVgprs: 10
; ScratchSize: 0
; MemoryBound: 0
; FloatMode: 240
; IeeeMode: 1
; LDSByteSize: 0 bytes/workgroup (compile time only)
; SGPRBlocks: 2
; VGPRBlocks: 1
; NumSGPRsForWavesPerEU: 20
; NumVGPRsForWavesPerEU: 10
; AccumOffset: 12
; Occupancy: 8
; WaveLimiterHint : 0
; COMPUTE_PGM_RSRC2:SCRATCH_EN: 0
; COMPUTE_PGM_RSRC2:USER_SGPR: 2
; COMPUTE_PGM_RSRC2:TRAP_HANDLER: 0
; COMPUTE_PGM_RSRC2:TGID_X_EN: 1
; COMPUTE_PGM_RSRC2:TGID_Y_EN: 0
; COMPUTE_PGM_RSRC2:TGID_Z_EN: 0
; COMPUTE_PGM_RSRC2:TIDIG_COMP_CNT: 0
; COMPUTE_PGM_RSRC3_GFX90A:ACCUM_OFFSET: 2
; COMPUTE_PGM_RSRC3_GFX90A:TG_SPLIT: 0
	.section	.text._ZN7rocprim6detail20lookback_scan_kernelILNS0_25lookback_scan_determinismE0ELb1ENS0_19wrapped_scan_configINS_14default_configEdEEN6hipcub22TransformInputIteratorIiNS6_6CastOpIiEEPilEEPdNS6_3SumENS_12future_valueIdSC_EEdNS0_19lookback_scan_stateIdLb1ELb1EEEEEvT2_T3_mT5_T4_T7_jPT6_SO_bb,"axG",@progbits,_ZN7rocprim6detail20lookback_scan_kernelILNS0_25lookback_scan_determinismE0ELb1ENS0_19wrapped_scan_configINS_14default_configEdEEN6hipcub22TransformInputIteratorIiNS6_6CastOpIiEEPilEEPdNS6_3SumENS_12future_valueIdSC_EEdNS0_19lookback_scan_stateIdLb1ELb1EEEEEvT2_T3_mT5_T4_T7_jPT6_SO_bb,comdat
	.protected	_ZN7rocprim6detail20lookback_scan_kernelILNS0_25lookback_scan_determinismE0ELb1ENS0_19wrapped_scan_configINS_14default_configEdEEN6hipcub22TransformInputIteratorIiNS6_6CastOpIiEEPilEEPdNS6_3SumENS_12future_valueIdSC_EEdNS0_19lookback_scan_stateIdLb1ELb1EEEEEvT2_T3_mT5_T4_T7_jPT6_SO_bb ; -- Begin function _ZN7rocprim6detail20lookback_scan_kernelILNS0_25lookback_scan_determinismE0ELb1ENS0_19wrapped_scan_configINS_14default_configEdEEN6hipcub22TransformInputIteratorIiNS6_6CastOpIiEEPilEEPdNS6_3SumENS_12future_valueIdSC_EEdNS0_19lookback_scan_stateIdLb1ELb1EEEEEvT2_T3_mT5_T4_T7_jPT6_SO_bb
	.globl	_ZN7rocprim6detail20lookback_scan_kernelILNS0_25lookback_scan_determinismE0ELb1ENS0_19wrapped_scan_configINS_14default_configEdEEN6hipcub22TransformInputIteratorIiNS6_6CastOpIiEEPilEEPdNS6_3SumENS_12future_valueIdSC_EEdNS0_19lookback_scan_stateIdLb1ELb1EEEEEvT2_T3_mT5_T4_T7_jPT6_SO_bb
	.p2align	8
	.type	_ZN7rocprim6detail20lookback_scan_kernelILNS0_25lookback_scan_determinismE0ELb1ENS0_19wrapped_scan_configINS_14default_configEdEEN6hipcub22TransformInputIteratorIiNS6_6CastOpIiEEPilEEPdNS6_3SumENS_12future_valueIdSC_EEdNS0_19lookback_scan_stateIdLb1ELb1EEEEEvT2_T3_mT5_T4_T7_jPT6_SO_bb,@function
_ZN7rocprim6detail20lookback_scan_kernelILNS0_25lookback_scan_determinismE0ELb1ENS0_19wrapped_scan_configINS_14default_configEdEEN6hipcub22TransformInputIteratorIiNS6_6CastOpIiEEPilEEPdNS6_3SumENS_12future_valueIdSC_EEdNS0_19lookback_scan_stateIdLb1ELb1EEEEEvT2_T3_mT5_T4_T7_jPT6_SO_bb: ; @_ZN7rocprim6detail20lookback_scan_kernelILNS0_25lookback_scan_determinismE0ELb1ENS0_19wrapped_scan_configINS_14default_configEdEEN6hipcub22TransformInputIteratorIiNS6_6CastOpIiEEPilEEPdNS6_3SumENS_12future_valueIdSC_EEdNS0_19lookback_scan_stateIdLb1ELb1EEEEEvT2_T3_mT5_T4_T7_jPT6_SO_bb
; %bb.0:
	s_endpgm
	.section	.rodata,"a",@progbits
	.p2align	6, 0x0
	.amdhsa_kernel _ZN7rocprim6detail20lookback_scan_kernelILNS0_25lookback_scan_determinismE0ELb1ENS0_19wrapped_scan_configINS_14default_configEdEEN6hipcub22TransformInputIteratorIiNS6_6CastOpIiEEPilEEPdNS6_3SumENS_12future_valueIdSC_EEdNS0_19lookback_scan_stateIdLb1ELb1EEEEEvT2_T3_mT5_T4_T7_jPT6_SO_bb
		.amdhsa_group_segment_fixed_size 0
		.amdhsa_private_segment_fixed_size 0
		.amdhsa_kernarg_size 84
		.amdhsa_user_sgpr_count 2
		.amdhsa_user_sgpr_dispatch_ptr 0
		.amdhsa_user_sgpr_queue_ptr 0
		.amdhsa_user_sgpr_kernarg_segment_ptr 1
		.amdhsa_user_sgpr_dispatch_id 0
		.amdhsa_user_sgpr_kernarg_preload_length 0
		.amdhsa_user_sgpr_kernarg_preload_offset 0
		.amdhsa_user_sgpr_private_segment_size 0
		.amdhsa_uses_dynamic_stack 0
		.amdhsa_enable_private_segment 0
		.amdhsa_system_sgpr_workgroup_id_x 1
		.amdhsa_system_sgpr_workgroup_id_y 0
		.amdhsa_system_sgpr_workgroup_id_z 0
		.amdhsa_system_sgpr_workgroup_info 0
		.amdhsa_system_vgpr_workitem_id 0
		.amdhsa_next_free_vgpr 1
		.amdhsa_next_free_sgpr 0
		.amdhsa_accum_offset 4
		.amdhsa_reserve_vcc 0
		.amdhsa_float_round_mode_32 0
		.amdhsa_float_round_mode_16_64 0
		.amdhsa_float_denorm_mode_32 3
		.amdhsa_float_denorm_mode_16_64 3
		.amdhsa_dx10_clamp 1
		.amdhsa_ieee_mode 1
		.amdhsa_fp16_overflow 0
		.amdhsa_tg_split 0
		.amdhsa_exception_fp_ieee_invalid_op 0
		.amdhsa_exception_fp_denorm_src 0
		.amdhsa_exception_fp_ieee_div_zero 0
		.amdhsa_exception_fp_ieee_overflow 0
		.amdhsa_exception_fp_ieee_underflow 0
		.amdhsa_exception_fp_ieee_inexact 0
		.amdhsa_exception_int_div_zero 0
	.end_amdhsa_kernel
	.section	.text._ZN7rocprim6detail20lookback_scan_kernelILNS0_25lookback_scan_determinismE0ELb1ENS0_19wrapped_scan_configINS_14default_configEdEEN6hipcub22TransformInputIteratorIiNS6_6CastOpIiEEPilEEPdNS6_3SumENS_12future_valueIdSC_EEdNS0_19lookback_scan_stateIdLb1ELb1EEEEEvT2_T3_mT5_T4_T7_jPT6_SO_bb,"axG",@progbits,_ZN7rocprim6detail20lookback_scan_kernelILNS0_25lookback_scan_determinismE0ELb1ENS0_19wrapped_scan_configINS_14default_configEdEEN6hipcub22TransformInputIteratorIiNS6_6CastOpIiEEPilEEPdNS6_3SumENS_12future_valueIdSC_EEdNS0_19lookback_scan_stateIdLb1ELb1EEEEEvT2_T3_mT5_T4_T7_jPT6_SO_bb,comdat
.Lfunc_end142:
	.size	_ZN7rocprim6detail20lookback_scan_kernelILNS0_25lookback_scan_determinismE0ELb1ENS0_19wrapped_scan_configINS_14default_configEdEEN6hipcub22TransformInputIteratorIiNS6_6CastOpIiEEPilEEPdNS6_3SumENS_12future_valueIdSC_EEdNS0_19lookback_scan_stateIdLb1ELb1EEEEEvT2_T3_mT5_T4_T7_jPT6_SO_bb, .Lfunc_end142-_ZN7rocprim6detail20lookback_scan_kernelILNS0_25lookback_scan_determinismE0ELb1ENS0_19wrapped_scan_configINS_14default_configEdEEN6hipcub22TransformInputIteratorIiNS6_6CastOpIiEEPilEEPdNS6_3SumENS_12future_valueIdSC_EEdNS0_19lookback_scan_stateIdLb1ELb1EEEEEvT2_T3_mT5_T4_T7_jPT6_SO_bb
                                        ; -- End function
	.section	.AMDGPU.csdata,"",@progbits
; Kernel info:
; codeLenInByte = 4
; NumSgprs: 6
; NumVgprs: 0
; NumAgprs: 0
; TotalNumVgprs: 0
; ScratchSize: 0
; MemoryBound: 0
; FloatMode: 240
; IeeeMode: 1
; LDSByteSize: 0 bytes/workgroup (compile time only)
; SGPRBlocks: 0
; VGPRBlocks: 0
; NumSGPRsForWavesPerEU: 6
; NumVGPRsForWavesPerEU: 1
; AccumOffset: 4
; Occupancy: 8
; WaveLimiterHint : 0
; COMPUTE_PGM_RSRC2:SCRATCH_EN: 0
; COMPUTE_PGM_RSRC2:USER_SGPR: 2
; COMPUTE_PGM_RSRC2:TRAP_HANDLER: 0
; COMPUTE_PGM_RSRC2:TGID_X_EN: 1
; COMPUTE_PGM_RSRC2:TGID_Y_EN: 0
; COMPUTE_PGM_RSRC2:TGID_Z_EN: 0
; COMPUTE_PGM_RSRC2:TIDIG_COMP_CNT: 0
; COMPUTE_PGM_RSRC3_GFX90A:ACCUM_OFFSET: 0
; COMPUTE_PGM_RSRC3_GFX90A:TG_SPLIT: 0
	.section	.text._ZN7rocprim6detail20lookback_scan_kernelILNS0_25lookback_scan_determinismE0ELb1ENS0_19wrapped_scan_configINS_14default_configEdEEN6hipcub22TransformInputIteratorIiNS6_6CastOpIiEEPilEEPdNS6_3SumENS_12future_valueIdSC_EEdNS0_19lookback_scan_stateIdLb0ELb1EEEEEvT2_T3_mT5_T4_T7_jPT6_SO_bb,"axG",@progbits,_ZN7rocprim6detail20lookback_scan_kernelILNS0_25lookback_scan_determinismE0ELb1ENS0_19wrapped_scan_configINS_14default_configEdEEN6hipcub22TransformInputIteratorIiNS6_6CastOpIiEEPilEEPdNS6_3SumENS_12future_valueIdSC_EEdNS0_19lookback_scan_stateIdLb0ELb1EEEEEvT2_T3_mT5_T4_T7_jPT6_SO_bb,comdat
	.protected	_ZN7rocprim6detail20lookback_scan_kernelILNS0_25lookback_scan_determinismE0ELb1ENS0_19wrapped_scan_configINS_14default_configEdEEN6hipcub22TransformInputIteratorIiNS6_6CastOpIiEEPilEEPdNS6_3SumENS_12future_valueIdSC_EEdNS0_19lookback_scan_stateIdLb0ELb1EEEEEvT2_T3_mT5_T4_T7_jPT6_SO_bb ; -- Begin function _ZN7rocprim6detail20lookback_scan_kernelILNS0_25lookback_scan_determinismE0ELb1ENS0_19wrapped_scan_configINS_14default_configEdEEN6hipcub22TransformInputIteratorIiNS6_6CastOpIiEEPilEEPdNS6_3SumENS_12future_valueIdSC_EEdNS0_19lookback_scan_stateIdLb0ELb1EEEEEvT2_T3_mT5_T4_T7_jPT6_SO_bb
	.globl	_ZN7rocprim6detail20lookback_scan_kernelILNS0_25lookback_scan_determinismE0ELb1ENS0_19wrapped_scan_configINS_14default_configEdEEN6hipcub22TransformInputIteratorIiNS6_6CastOpIiEEPilEEPdNS6_3SumENS_12future_valueIdSC_EEdNS0_19lookback_scan_stateIdLb0ELb1EEEEEvT2_T3_mT5_T4_T7_jPT6_SO_bb
	.p2align	8
	.type	_ZN7rocprim6detail20lookback_scan_kernelILNS0_25lookback_scan_determinismE0ELb1ENS0_19wrapped_scan_configINS_14default_configEdEEN6hipcub22TransformInputIteratorIiNS6_6CastOpIiEEPilEEPdNS6_3SumENS_12future_valueIdSC_EEdNS0_19lookback_scan_stateIdLb0ELb1EEEEEvT2_T3_mT5_T4_T7_jPT6_SO_bb,@function
_ZN7rocprim6detail20lookback_scan_kernelILNS0_25lookback_scan_determinismE0ELb1ENS0_19wrapped_scan_configINS_14default_configEdEEN6hipcub22TransformInputIteratorIiNS6_6CastOpIiEEPilEEPdNS6_3SumENS_12future_valueIdSC_EEdNS0_19lookback_scan_stateIdLb0ELb1EEEEEvT2_T3_mT5_T4_T7_jPT6_SO_bb: ; @_ZN7rocprim6detail20lookback_scan_kernelILNS0_25lookback_scan_determinismE0ELb1ENS0_19wrapped_scan_configINS_14default_configEdEEN6hipcub22TransformInputIteratorIiNS6_6CastOpIiEEPilEEPdNS6_3SumENS_12future_valueIdSC_EEdNS0_19lookback_scan_stateIdLb0ELb1EEEEEvT2_T3_mT5_T4_T7_jPT6_SO_bb
; %bb.0:
	s_load_dwordx2 s[4:5], s[0:1], 0x20
	s_load_dword s3, s[0:1], 0x38
	s_load_dwordx2 s[16:17], s[0:1], 0x0
	s_load_dwordx4 s[12:15], s[0:1], 0x10
	s_mul_i32 s10, s2, 0xf00
	s_waitcnt lgkmcnt(0)
	s_load_dwordx2 s[18:19], s[4:5], 0x0
	s_add_i32 s3, s3, -1
	s_mul_i32 s4, s3, 0xf00
	s_sub_u32 s26, s14, s4
	s_subb_u32 s27, s15, 0
	s_mov_b32 s11, 0
	s_cmp_lg_u32 s2, s3
	s_cselect_b64 s[14:15], -1, 0
	s_lshl_b64 s[4:5], s[10:11], 2
	s_add_u32 s6, s16, s4
	s_addc_u32 s7, s17, s5
	s_mov_b64 s[4:5], -1
	s_and_b64 vcc, exec, s[14:15]
	v_lshlrev_b32_e32 v62, 3, v0
	s_cbranch_vccz .LBB143_2
; %bb.1:
	v_lshlrev_b32_e32 v2, 2, v0
	v_mov_b32_e32 v3, 0
	v_lshl_add_u64 v[4:5], s[6:7], 0, v[2:3]
	global_load_dword v1, v2, s[6:7]
	global_load_dword v8, v2, s[6:7] offset:1024
	global_load_dword v9, v2, s[6:7] offset:2048
	;; [unrolled: 1-line block ×3, first 2 shown]
	v_add_co_u32_e32 v2, vcc, 0x1000, v4
	s_mov_b64 s[4:5], 0
	s_nop 0
	v_addc_co_u32_e32 v3, vcc, 0, v5, vcc
	v_add_co_u32_e32 v6, vcc, 0x2000, v4
	s_nop 1
	v_addc_co_u32_e32 v7, vcc, 0, v5, vcc
	global_load_dword v11, v[2:3], off
	global_load_dword v12, v[2:3], off offset:1024
	global_load_dword v13, v[2:3], off offset:2048
	global_load_dword v14, v[2:3], off offset:3072
	global_load_dword v15, v[6:7], off
	global_load_dword v16, v[6:7], off offset:1024
	global_load_dword v17, v[6:7], off offset:2048
	global_load_dword v18, v[6:7], off offset:3072
	v_add_co_u32_e32 v2, vcc, 0x3000, v4
	s_waitcnt vmcnt(9)
	v_cvt_f64_i32_e32 v[6:7], v9
	v_addc_co_u32_e32 v3, vcc, 0, v5, vcc
	global_load_dword v19, v[2:3], off
	global_load_dword v20, v[2:3], off offset:1024
	global_load_dword v21, v[2:3], off offset:2048
	v_cvt_f64_i32_e32 v[2:3], v1
	v_cvt_f64_i32_e32 v[4:5], v8
	s_waitcnt vmcnt(11)
	v_cvt_f64_i32_e32 v[8:9], v10
	ds_write2st64_b64 v62, v[2:3], v[4:5] offset1:4
	ds_write2st64_b64 v62, v[6:7], v[8:9] offset0:8 offset1:12
	s_waitcnt vmcnt(10)
	v_cvt_f64_i32_e32 v[2:3], v11
	s_waitcnt vmcnt(9)
	v_cvt_f64_i32_e32 v[4:5], v12
	s_waitcnt vmcnt(8)
	v_cvt_f64_i32_e32 v[6:7], v13
	s_waitcnt vmcnt(6)
	v_cvt_f64_i32_e32 v[10:11], v15
	s_waitcnt vmcnt(5)
	v_cvt_f64_i32_e32 v[12:13], v16
	v_cvt_f64_i32_e32 v[8:9], v14
	s_waitcnt vmcnt(4)
	v_cvt_f64_i32_e32 v[14:15], v17
	s_waitcnt vmcnt(3)
	v_cvt_f64_i32_e32 v[16:17], v18
	ds_write2st64_b64 v62, v[2:3], v[4:5] offset0:16 offset1:20
	ds_write2st64_b64 v62, v[6:7], v[8:9] offset0:24 offset1:28
	s_waitcnt vmcnt(2)
	v_cvt_f64_i32_e32 v[2:3], v19
	s_waitcnt vmcnt(1)
	v_cvt_f64_i32_e32 v[4:5], v20
	s_waitcnt vmcnt(0)
	v_cvt_f64_i32_e32 v[6:7], v21
	ds_write2st64_b64 v62, v[10:11], v[12:13] offset0:32 offset1:36
	ds_write2st64_b64 v62, v[14:15], v[16:17] offset0:40 offset1:44
	;; [unrolled: 1-line block ×3, first 2 shown]
	ds_write_b64 v62, v[6:7] offset:28672
	s_waitcnt lgkmcnt(0)
	s_barrier
.LBB143_2:
	s_andn2_b64 vcc, exec, s[4:5]
	v_cmp_gt_u32_e64 s[4:5], s26, v0
	s_cbranch_vccnz .LBB143_34
; %bb.3:
	s_load_dword s3, s[6:7], 0x0
	v_lshlrev_b32_e32 v30, 2, v0
	v_mov_b32_e32 v31, 0
	v_lshl_add_u64 v[36:37], s[6:7], 0, v[30:31]
	s_waitcnt lgkmcnt(0)
	v_cvt_f64_i32_e32 v[2:3], s3
	v_mov_b32_e32 v4, v2
	v_mov_b32_e32 v5, v3
	;; [unrolled: 1-line block ×26, first 2 shown]
	v_mov_b64_e32 v[34:35], v[30:31]
	v_mov_b64_e32 v[32:33], v[28:29]
	;; [unrolled: 1-line block ×16, first 2 shown]
	s_and_saveexec_b64 s[6:7], s[4:5]
	s_cbranch_execz .LBB143_5
; %bb.4:
	global_load_dword v1, v[36:37], off
	v_mov_b32_e32 v4, v2
	v_mov_b32_e32 v5, v3
	;; [unrolled: 1-line block ×26, first 2 shown]
	s_waitcnt vmcnt(0)
	v_mov_b64_e32 v[34:35], v[30:31]
	v_mov_b64_e32 v[32:33], v[28:29]
	;; [unrolled: 1-line block ×15, first 2 shown]
	v_cvt_f64_i32_e32 v[38:39], v1
	v_mov_b64_e32 v[4:5], v[0:1]
	v_mov_b64_e32 v[2:3], v[38:39]
.LBB143_5:
	s_or_b64 exec, exec, s[6:7]
	v_or_b32_e32 v1, 0x100, v0
	v_cmp_gt_u32_e32 vcc, s26, v1
	s_and_saveexec_b64 s[4:5], vcc
	s_cbranch_execz .LBB143_7
; %bb.6:
	global_load_dword v1, v[36:37], off offset:1024
	s_waitcnt vmcnt(0)
	v_cvt_f64_i32_e32 v[6:7], v1
.LBB143_7:
	s_or_b64 exec, exec, s[4:5]
	v_or_b32_e32 v1, 0x200, v0
	v_cmp_gt_u32_e32 vcc, s26, v1
	s_and_saveexec_b64 s[4:5], vcc
	s_cbranch_execz .LBB143_9
; %bb.8:
	global_load_dword v1, v[36:37], off offset:2048
	s_waitcnt vmcnt(0)
	v_cvt_f64_i32_e32 v[8:9], v1
.LBB143_9:
	;; [unrolled: 10-line block ×3, first 2 shown]
	s_or_b64 exec, exec, s[4:5]
	v_or_b32_e32 v1, 0x400, v0
	v_cmp_gt_u32_e32 vcc, s26, v1
	s_and_saveexec_b64 s[4:5], vcc
	s_cbranch_execz .LBB143_13
; %bb.12:
	v_add_co_u32_e32 v4, vcc, 0x1000, v36
	s_nop 1
	v_addc_co_u32_e32 v5, vcc, 0, v37, vcc
	global_load_dword v1, v[4:5], off
	s_waitcnt vmcnt(0)
	v_cvt_f64_i32_e32 v[12:13], v1
.LBB143_13:
	s_or_b64 exec, exec, s[4:5]
	v_or_b32_e32 v1, 0x500, v0
	v_cmp_gt_u32_e32 vcc, s26, v1
	s_and_saveexec_b64 s[4:5], vcc
	s_cbranch_execz .LBB143_15
; %bb.14:
	v_add_co_u32_e32 v4, vcc, 0x1000, v36
	s_nop 1
	v_addc_co_u32_e32 v5, vcc, 0, v37, vcc
	global_load_dword v1, v[4:5], off offset:1024
	s_waitcnt vmcnt(0)
	v_cvt_f64_i32_e32 v[14:15], v1
.LBB143_15:
	s_or_b64 exec, exec, s[4:5]
	v_or_b32_e32 v1, 0x600, v0
	v_cmp_gt_u32_e32 vcc, s26, v1
	s_and_saveexec_b64 s[4:5], vcc
	s_cbranch_execz .LBB143_17
; %bb.16:
	v_add_co_u32_e32 v4, vcc, 0x1000, v36
	s_nop 1
	v_addc_co_u32_e32 v5, vcc, 0, v37, vcc
	global_load_dword v1, v[4:5], off offset:2048
	s_waitcnt vmcnt(0)
	v_cvt_f64_i32_e32 v[16:17], v1
.LBB143_17:
	;; [unrolled: 13-line block ×3, first 2 shown]
	s_or_b64 exec, exec, s[4:5]
	v_or_b32_e32 v1, 0x800, v0
	v_cmp_gt_u32_e32 vcc, s26, v1
	s_and_saveexec_b64 s[4:5], vcc
	s_cbranch_execz .LBB143_21
; %bb.20:
	v_add_co_u32_e32 v4, vcc, 0x2000, v36
	s_nop 1
	v_addc_co_u32_e32 v5, vcc, 0, v37, vcc
	global_load_dword v1, v[4:5], off
	s_waitcnt vmcnt(0)
	v_cvt_f64_i32_e32 v[20:21], v1
.LBB143_21:
	s_or_b64 exec, exec, s[4:5]
	v_or_b32_e32 v1, 0x900, v0
	v_cmp_gt_u32_e32 vcc, s26, v1
	s_and_saveexec_b64 s[4:5], vcc
	s_cbranch_execz .LBB143_23
; %bb.22:
	v_add_co_u32_e32 v4, vcc, 0x2000, v36
	s_nop 1
	v_addc_co_u32_e32 v5, vcc, 0, v37, vcc
	global_load_dword v1, v[4:5], off offset:1024
	s_waitcnt vmcnt(0)
	v_cvt_f64_i32_e32 v[22:23], v1
.LBB143_23:
	s_or_b64 exec, exec, s[4:5]
	v_or_b32_e32 v1, 0xa00, v0
	v_cmp_gt_u32_e32 vcc, s26, v1
	s_and_saveexec_b64 s[4:5], vcc
	s_cbranch_execz .LBB143_25
; %bb.24:
	v_add_co_u32_e32 v4, vcc, 0x2000, v36
	s_nop 1
	v_addc_co_u32_e32 v5, vcc, 0, v37, vcc
	global_load_dword v1, v[4:5], off offset:2048
	s_waitcnt vmcnt(0)
	v_cvt_f64_i32_e32 v[24:25], v1
.LBB143_25:
	;; [unrolled: 13-line block ×3, first 2 shown]
	s_or_b64 exec, exec, s[4:5]
	v_or_b32_e32 v1, 0xc00, v0
	v_cmp_gt_u32_e32 vcc, s26, v1
	s_and_saveexec_b64 s[4:5], vcc
	s_cbranch_execz .LBB143_29
; %bb.28:
	v_add_co_u32_e32 v4, vcc, 0x3000, v36
	s_nop 1
	v_addc_co_u32_e32 v5, vcc, 0, v37, vcc
	global_load_dword v1, v[4:5], off
	s_waitcnt vmcnt(0)
	v_cvt_f64_i32_e32 v[28:29], v1
.LBB143_29:
	s_or_b64 exec, exec, s[4:5]
	v_or_b32_e32 v1, 0xd00, v0
	v_cmp_gt_u32_e32 vcc, s26, v1
	s_and_saveexec_b64 s[4:5], vcc
	s_cbranch_execz .LBB143_31
; %bb.30:
	v_add_co_u32_e32 v4, vcc, 0x3000, v36
	s_nop 1
	v_addc_co_u32_e32 v5, vcc, 0, v37, vcc
	global_load_dword v1, v[4:5], off offset:1024
	s_waitcnt vmcnt(0)
	v_cvt_f64_i32_e32 v[30:31], v1
.LBB143_31:
	s_or_b64 exec, exec, s[4:5]
	v_or_b32_e32 v1, 0xe00, v0
	v_cmp_gt_u32_e32 vcc, s26, v1
	s_and_saveexec_b64 s[4:5], vcc
	s_cbranch_execz .LBB143_33
; %bb.32:
	v_add_co_u32_e32 v4, vcc, 0x3000, v36
	s_nop 1
	v_addc_co_u32_e32 v5, vcc, 0, v37, vcc
	global_load_dword v1, v[4:5], off offset:2048
	s_waitcnt vmcnt(0)
	v_cvt_f64_i32_e32 v[32:33], v1
.LBB143_33:
	s_or_b64 exec, exec, s[4:5]
	ds_write2st64_b64 v62, v[2:3], v[6:7] offset1:4
	ds_write2st64_b64 v62, v[8:9], v[10:11] offset0:8 offset1:12
	ds_write2st64_b64 v62, v[12:13], v[14:15] offset0:16 offset1:20
	;; [unrolled: 1-line block ×6, first 2 shown]
	ds_write_b64 v62, v[32:33] offset:28672
	s_waitcnt lgkmcnt(0)
	s_barrier
.LBB143_34:
	s_load_dwordx2 s[20:21], s[0:1], 0x30
	v_mul_u32_u24_e32 v68, 15, v0
	v_lshlrev_b32_e32 v1, 3, v68
	s_waitcnt lgkmcnt(0)
	ds_read2_b64 v[34:37], v1 offset1:1
	ds_read2_b64 v[38:41], v1 offset0:2 offset1:3
	ds_read2_b64 v[42:45], v1 offset0:4 offset1:5
	;; [unrolled: 1-line block ×6, first 2 shown]
	ds_read_b64 v[64:65], v1 offset:112
	s_waitcnt lgkmcnt(7)
	v_add_f64 v[2:3], v[34:35], v[36:37]
	s_cmp_lg_u32 s2, 0
	s_waitcnt lgkmcnt(6)
	v_add_f64 v[66:67], v[38:39], v[2:3]
	v_lshrrev_b32_e32 v63, 5, v0
	v_cmp_gt_u32_e32 vcc, 64, v0
	s_waitcnt lgkmcnt(0)
	s_barrier
	s_cbranch_scc0 .LBB143_59
; %bb.35:
	v_add_f64 v[2:3], v[40:41], v[66:67]
	v_add_f64 v[2:3], v[42:43], v[2:3]
	;; [unrolled: 1-line block ×12, first 2 shown]
	v_add_lshl_u32 v2, v63, v0, 3
	ds_write_b64 v2, v[10:11]
	s_waitcnt lgkmcnt(0)
	s_barrier
	s_and_saveexec_b64 s[6:7], vcc
	s_cbranch_execz .LBB143_37
; %bb.36:
	v_lshlrev_b32_e32 v2, 2, v0
	v_lshrrev_b32_e32 v3, 3, v0
	v_add_lshl_u32 v16, v3, v2, 3
	ds_read2_b64 v[2:5], v16 offset1:1
	ds_read2_b64 v[6:9], v16 offset0:2 offset1:3
	v_mbcnt_lo_u32_b32 v12, -1, 0
	v_mbcnt_hi_u32_b32 v17, -1, v12
	v_and_b32_e32 v18, 15, v17
	s_waitcnt lgkmcnt(1)
	v_add_f64 v[12:13], v[2:3], v[4:5]
	s_waitcnt lgkmcnt(0)
	v_add_f64 v[12:13], v[12:13], v[6:7]
	v_add_f64 v[12:13], v[12:13], v[8:9]
	v_cmp_eq_u32_e64 s[4:5], 0, v18
	s_nop 0
	v_mov_b32_dpp v14, v12 row_shr:1 row_mask:0xf bank_mask:0xf
	v_mov_b32_dpp v15, v13 row_shr:1 row_mask:0xf bank_mask:0xf
	v_add_f64 v[14:15], v[12:13], v[14:15]
	v_cndmask_b32_e64 v13, v15, v13, s[4:5]
	v_cndmask_b32_e64 v12, v14, v12, s[4:5]
	v_cmp_lt_u32_e64 s[4:5], 1, v18
	v_mov_b32_dpp v15, v13 row_shr:2 row_mask:0xf bank_mask:0xf
	v_mov_b32_dpp v14, v12 row_shr:2 row_mask:0xf bank_mask:0xf
	v_add_f64 v[14:15], v[12:13], v[14:15]
	v_cndmask_b32_e64 v12, v12, v14, s[4:5]
	v_cndmask_b32_e64 v13, v13, v15, s[4:5]
	v_cmp_lt_u32_e64 s[4:5], 3, v18
	;; [unrolled: 6-line block ×3, first 2 shown]
	v_mov_b32_dpp v14, v12 row_shr:8 row_mask:0xf bank_mask:0xf
	v_mov_b32_dpp v15, v13 row_shr:8 row_mask:0xf bank_mask:0xf
	v_add_f64 v[14:15], v[12:13], v[14:15]
	v_cndmask_b32_e64 v12, v12, v14, s[4:5]
	v_cndmask_b32_e64 v13, v13, v15, s[4:5]
	v_and_b32_e32 v18, 16, v17
	v_mov_b32_dpp v14, v12 row_bcast:15 row_mask:0xf bank_mask:0xf
	v_mov_b32_dpp v15, v13 row_bcast:15 row_mask:0xf bank_mask:0xf
	v_add_f64 v[14:15], v[12:13], v[14:15]
	v_cmp_eq_u32_e64 s[4:5], 0, v18
	s_nop 1
	v_cndmask_b32_e64 v13, v15, v13, s[4:5]
	v_cndmask_b32_e64 v12, v14, v12, s[4:5]
	v_cmp_lt_u32_e64 s[4:5], 31, v17
	v_mov_b32_dpp v15, v13 row_bcast:31 row_mask:0xf bank_mask:0xf
	v_mov_b32_dpp v14, v12 row_bcast:31 row_mask:0xf bank_mask:0xf
	v_add_f64 v[14:15], v[12:13], v[14:15]
	v_cndmask_b32_e64 v13, v13, v15, s[4:5]
	v_cndmask_b32_e64 v12, v12, v14, s[4:5]
	v_add_u32_e32 v14, -1, v17
	v_and_b32_e32 v15, 64, v17
	v_cmp_lt_i32_e64 s[4:5], v14, v15
	s_nop 1
	v_cndmask_b32_e64 v14, v14, v17, s[4:5]
	v_lshlrev_b32_e32 v14, 2, v14
	ds_bpermute_b32 v12, v14, v12
	ds_bpermute_b32 v13, v14, v13
	v_cmp_eq_u32_e64 s[4:5], 0, v0
	s_waitcnt lgkmcnt(0)
	v_add_f64 v[2:3], v[2:3], v[12:13]
	v_cndmask_b32_e64 v3, v3, v11, s[4:5]
	v_cndmask_b32_e64 v2, v2, v10, s[4:5]
	v_add_f64 v[4:5], v[4:5], v[2:3]
	ds_write2_b64 v16, v[2:3], v[4:5] offset1:1
	v_add_f64 v[2:3], v[6:7], v[4:5]
	v_add_f64 v[4:5], v[8:9], v[2:3]
	ds_write2_b64 v16, v[2:3], v[4:5] offset0:2 offset1:3
.LBB143_37:
	s_or_b64 exec, exec, s[6:7]
	v_cmp_eq_u32_e64 s[6:7], 0, v0
	v_cmp_ne_u32_e64 s[4:5], 0, v0
	s_waitcnt lgkmcnt(0)
	s_barrier
	s_and_saveexec_b64 s[8:9], s[4:5]
	s_cbranch_execz .LBB143_39
; %bb.38:
	v_add_u32_e32 v2, -1, v0
	v_lshrrev_b32_e32 v3, 5, v2
	v_add_lshl_u32 v2, v3, v2, 3
	ds_read_b64 v[10:11], v2
.LBB143_39:
	s_or_b64 exec, exec, s[8:9]
	s_and_saveexec_b64 s[22:23], vcc
	s_cbranch_execz .LBB143_58
; %bb.40:
	v_mov_b32_e32 v5, 0
	ds_read_b64 v[2:3], v5 offset:2096
	v_mbcnt_lo_u32_b32 v4, -1, 0
	v_mbcnt_hi_u32_b32 v13, -1, v4
	s_mov_b32 s25, 0
	v_cmp_eq_u32_e64 s[4:5], 0, v13
	s_and_saveexec_b64 s[8:9], s[4:5]
	s_cbranch_execz .LBB143_42
; %bb.41:
	s_add_i32 s24, s2, 64
	s_lshl_b64 s[24:25], s[24:25], 4
	s_add_u32 s24, s20, s24
	s_addc_u32 s25, s21, s25
	v_mov_b32_e32 v4, 1
	v_mov_b64_e32 v[6:7], s[24:25]
	s_waitcnt lgkmcnt(0)
	;;#ASMSTART
	global_store_dwordx4 v[6:7], v[2:5] off sc1	
s_waitcnt vmcnt(0)
	;;#ASMEND
.LBB143_42:
	s_or_b64 exec, exec, s[8:9]
	v_xad_u32 v12, v13, -1, s2
	v_add_u32_e32 v4, 64, v12
	v_lshl_add_u64 v[14:15], v[4:5], 4, s[20:21]
	;;#ASMSTART
	global_load_dwordx4 v[6:9], v[14:15] off sc1	
s_waitcnt vmcnt(0)
	;;#ASMEND
	s_nop 0
	v_cmp_eq_u16_sdwa s[24:25], v8, v5 src0_sel:BYTE_0 src1_sel:DWORD
	s_and_saveexec_b64 s[8:9], s[24:25]
	s_cbranch_execz .LBB143_46
; %bb.43:
	s_mov_b64 s[24:25], 0
	v_mov_b32_e32 v4, 0
.LBB143_44:                             ; =>This Inner Loop Header: Depth=1
	;;#ASMSTART
	global_load_dwordx4 v[6:9], v[14:15] off sc1	
s_waitcnt vmcnt(0)
	;;#ASMEND
	s_nop 0
	v_cmp_ne_u16_sdwa s[28:29], v8, v4 src0_sel:BYTE_0 src1_sel:DWORD
	s_or_b64 s[24:25], s[28:29], s[24:25]
	s_andn2_b64 exec, exec, s[24:25]
	s_cbranch_execnz .LBB143_44
; %bb.45:
	s_or_b64 exec, exec, s[24:25]
.LBB143_46:
	s_or_b64 exec, exec, s[8:9]
	v_and_b32_e32 v17, 63, v13
	v_cmp_ne_u32_e32 vcc, 63, v17
	v_mov_b32_e32 v18, 2
	v_cmp_eq_u16_sdwa s[8:9], v8, v18 src0_sel:BYTE_0 src1_sel:DWORD
	v_addc_co_u32_e32 v14, vcc, 0, v13, vcc
	v_lshlrev_b64 v[4:5], v13, -1
	v_lshlrev_b32_e32 v19, 2, v14
	v_and_b32_e32 v9, s9, v5
	ds_bpermute_b32 v14, v19, v6
	ds_bpermute_b32 v15, v19, v7
	v_or_b32_e32 v9, 0x80000000, v9
	v_and_b32_e32 v16, s8, v4
	v_ffbl_b32_e32 v9, v9
	v_add_u32_e32 v9, 32, v9
	v_ffbl_b32_e32 v16, v16
	v_min_u32_e32 v9, v16, v9
	v_add_u32_e32 v20, 1, v13
	s_waitcnt lgkmcnt(0)
	v_add_f64 v[14:15], v[6:7], v[14:15]
	v_cmp_gt_u32_e32 vcc, v20, v9
	v_add_u32_e32 v22, 2, v13
	v_add_u32_e32 v24, 4, v13
	v_cndmask_b32_e32 v6, v14, v6, vcc
	v_cndmask_b32_e32 v7, v15, v7, vcc
	v_cmp_gt_u32_e32 vcc, 62, v17
	v_add_u32_e32 v26, 8, v13
	v_add_u32_e32 v28, 16, v13
	v_cndmask_b32_e64 v14, 0, 1, vcc
	v_lshlrev_b32_e32 v14, 1, v14
	v_add_lshl_u32 v21, v14, v13, 2
	ds_bpermute_b32 v14, v21, v6
	ds_bpermute_b32 v15, v21, v7
	v_cmp_gt_u32_e32 vcc, v22, v9
	v_cmp_gt_u32_e64 s[8:9], 32, v17
	v_add_u32_e32 v30, 32, v13
	s_waitcnt lgkmcnt(0)
	v_add_f64 v[14:15], v[6:7], v[14:15]
	v_cndmask_b32_e32 v6, v14, v6, vcc
	v_cndmask_b32_e32 v7, v15, v7, vcc
	v_cmp_gt_u32_e32 vcc, 60, v17
	s_nop 1
	v_cndmask_b32_e64 v14, 0, 1, vcc
	v_lshlrev_b32_e32 v14, 2, v14
	v_add_lshl_u32 v23, v14, v13, 2
	ds_bpermute_b32 v14, v23, v6
	ds_bpermute_b32 v15, v23, v7
	v_cmp_gt_u32_e32 vcc, v24, v9
	s_waitcnt lgkmcnt(0)
	v_add_f64 v[14:15], v[6:7], v[14:15]
	v_cndmask_b32_e32 v6, v14, v6, vcc
	v_cndmask_b32_e32 v7, v15, v7, vcc
	v_cmp_gt_u32_e32 vcc, 56, v17
	s_nop 1
	v_cndmask_b32_e64 v14, 0, 1, vcc
	v_lshlrev_b32_e32 v14, 3, v14
	v_add_lshl_u32 v25, v14, v13, 2
	ds_bpermute_b32 v14, v25, v6
	ds_bpermute_b32 v15, v25, v7
	v_cmp_gt_u32_e32 vcc, v26, v9
	;; [unrolled: 12-line block ×3, first 2 shown]
	s_waitcnt lgkmcnt(0)
	v_add_f64 v[14:15], v[6:7], v[14:15]
	v_cndmask_b32_e32 v6, v14, v6, vcc
	v_cndmask_b32_e64 v14, 0, 1, s[8:9]
	v_lshlrev_b32_e32 v14, 5, v14
	v_add_lshl_u32 v29, v14, v13, 2
	v_cndmask_b32_e32 v7, v15, v7, vcc
	ds_bpermute_b32 v14, v29, v6
	ds_bpermute_b32 v15, v29, v7
	v_cmp_gt_u32_e32 vcc, v30, v9
	v_mov_b32_e32 v13, 0
	s_waitcnt lgkmcnt(0)
	v_add_f64 v[14:15], v[6:7], v[14:15]
	v_cndmask_b32_e32 v7, v15, v7, vcc
	v_cndmask_b32_e32 v6, v14, v6, vcc
	s_branch .LBB143_48
.LBB143_47:                             ;   in Loop: Header=BB143_48 Depth=1
	s_or_b64 exec, exec, s[8:9]
	v_cmp_eq_u16_sdwa s[8:9], v8, v18 src0_sel:BYTE_0 src1_sel:DWORD
	ds_bpermute_b32 v16, v19, v6
	ds_bpermute_b32 v17, v19, v7
	v_and_b32_e32 v9, s9, v5
	v_or_b32_e32 v9, 0x80000000, v9
	v_and_b32_e32 v31, s8, v4
	v_ffbl_b32_e32 v9, v9
	v_add_u32_e32 v9, 32, v9
	v_ffbl_b32_e32 v31, v31
	v_min_u32_e32 v9, v31, v9
	s_waitcnt lgkmcnt(0)
	v_add_f64 v[16:17], v[6:7], v[16:17]
	v_cmp_gt_u32_e32 vcc, v20, v9
	v_subrev_u32_e32 v12, 64, v12
	s_nop 0
	v_cndmask_b32_e32 v6, v16, v6, vcc
	v_cndmask_b32_e32 v7, v17, v7, vcc
	ds_bpermute_b32 v16, v21, v6
	ds_bpermute_b32 v17, v21, v7
	v_cmp_gt_u32_e32 vcc, v22, v9
	s_waitcnt lgkmcnt(0)
	v_add_f64 v[16:17], v[6:7], v[16:17]
	v_cndmask_b32_e32 v6, v16, v6, vcc
	v_cndmask_b32_e32 v7, v17, v7, vcc
	ds_bpermute_b32 v16, v23, v6
	ds_bpermute_b32 v17, v23, v7
	v_cmp_gt_u32_e32 vcc, v24, v9
	s_waitcnt lgkmcnt(0)
	v_add_f64 v[16:17], v[6:7], v[16:17]
	;; [unrolled: 7-line block ×5, first 2 shown]
	v_cndmask_b32_e32 v7, v17, v7, vcc
	v_cndmask_b32_e32 v6, v16, v6, vcc
	v_add_f64 v[6:7], v[14:15], v[6:7]
.LBB143_48:                             ; =>This Loop Header: Depth=1
                                        ;     Child Loop BB143_51 Depth 2
	v_cmp_ne_u16_sdwa s[8:9], v8, v18 src0_sel:BYTE_0 src1_sel:DWORD
	v_mov_b64_e32 v[14:15], v[6:7]
	s_nop 0
	v_cndmask_b32_e64 v8, 0, 1, s[8:9]
	;;#ASMSTART
	;;#ASMEND
	s_nop 0
	v_cmp_ne_u32_e32 vcc, 0, v8
	s_cmp_lg_u64 vcc, exec
	s_cbranch_scc1 .LBB143_53
; %bb.49:                               ;   in Loop: Header=BB143_48 Depth=1
	v_lshl_add_u64 v[16:17], v[12:13], 4, s[20:21]
	;;#ASMSTART
	global_load_dwordx4 v[6:9], v[16:17] off sc1	
s_waitcnt vmcnt(0)
	;;#ASMEND
	s_nop 0
	v_cmp_eq_u16_sdwa s[24:25], v8, v13 src0_sel:BYTE_0 src1_sel:DWORD
	s_and_saveexec_b64 s[8:9], s[24:25]
	s_cbranch_execz .LBB143_47
; %bb.50:                               ;   in Loop: Header=BB143_48 Depth=1
	s_mov_b64 s[24:25], 0
.LBB143_51:                             ;   Parent Loop BB143_48 Depth=1
                                        ; =>  This Inner Loop Header: Depth=2
	;;#ASMSTART
	global_load_dwordx4 v[6:9], v[16:17] off sc1	
s_waitcnt vmcnt(0)
	;;#ASMEND
	s_nop 0
	v_cmp_ne_u16_sdwa s[28:29], v8, v13 src0_sel:BYTE_0 src1_sel:DWORD
	s_or_b64 s[24:25], s[28:29], s[24:25]
	s_andn2_b64 exec, exec, s[24:25]
	s_cbranch_execnz .LBB143_51
; %bb.52:                               ;   in Loop: Header=BB143_48 Depth=1
	s_or_b64 exec, exec, s[24:25]
	s_branch .LBB143_47
.LBB143_53:                             ;   in Loop: Header=BB143_48 Depth=1
                                        ; implicit-def: $vgpr6_vgpr7
                                        ; implicit-def: $vgpr8
	s_cbranch_execz .LBB143_48
; %bb.54:
	s_and_saveexec_b64 s[8:9], s[4:5]
	s_cbranch_execz .LBB143_56
; %bb.55:
	s_add_i32 s2, s2, 64
	s_mov_b32 s3, 0
	s_lshl_b64 s[2:3], s[2:3], 4
	s_add_u32 s2, s20, s2
	s_addc_u32 s3, s21, s3
	v_add_f64 v[2:3], v[2:3], v[14:15]
	v_mov_b32_e32 v4, 2
	v_mov_b32_e32 v5, 0
	v_mov_b64_e32 v[6:7], s[2:3]
	;;#ASMSTART
	global_store_dwordx4 v[6:7], v[2:5] off sc1	
s_waitcnt vmcnt(0)
	;;#ASMEND
.LBB143_56:
	s_or_b64 exec, exec, s[8:9]
	s_and_b64 exec, exec, s[6:7]
	s_cbranch_execz .LBB143_58
; %bb.57:
	v_mov_b32_e32 v2, 0
	ds_write_b64 v2, v[14:15]
.LBB143_58:
	s_or_b64 exec, exec, s[22:23]
	v_mov_b32_e32 v2, 0
	s_waitcnt lgkmcnt(0)
	s_barrier
	ds_read_b64 v[2:3], v2
	s_waitcnt lgkmcnt(0)
	v_add_f64 v[4:5], v[10:11], v[2:3]
	v_cndmask_b32_e64 v3, v5, v3, s[6:7]
	v_cndmask_b32_e64 v2, v4, v2, s[6:7]
	v_add_f64 v[4:5], v[34:35], v[2:3]
	v_add_f64 v[6:7], v[36:37], v[4:5]
	;; [unrolled: 1-line block ×14, first 2 shown]
	s_load_dwordx4 s[4:7], s[0:1], 0x40
	s_branch .LBB143_69
.LBB143_59:
                                        ; implicit-def: $vgpr2_vgpr3_vgpr4_vgpr5_vgpr6_vgpr7_vgpr8_vgpr9_vgpr10_vgpr11_vgpr12_vgpr13_vgpr14_vgpr15_vgpr16_vgpr17_vgpr18_vgpr19_vgpr20_vgpr21_vgpr22_vgpr23_vgpr24_vgpr25_vgpr26_vgpr27_vgpr28_vgpr29_vgpr30_vgpr31_vgpr32_vgpr33
	s_load_dwordx4 s[4:7], s[0:1], 0x40
	s_cbranch_execz .LBB143_69
; %bb.60:
	s_load_dword s2, s[0:1], 0x50
	v_mov_b64_e32 v[32:33], s[18:19]
	s_waitcnt lgkmcnt(0)
	s_bitcmp0_b32 s2, 0
	s_cbranch_scc1 .LBB143_62
; %bb.61:
	v_mov_b32_e32 v2, 0
	global_load_dword v2, v2, s[16:17] offset:-4
	s_load_dwordx2 s[2:3], s[4:5], 0x0
	s_waitcnt vmcnt(0)
	v_cvt_f64_i32_e32 v[2:3], v2
	s_waitcnt lgkmcnt(0)
	v_add_f64 v[32:33], s[2:3], v[2:3]
.LBB143_62:
	v_add_f64 v[2:3], v[40:41], v[66:67]
	v_add_f64 v[2:3], v[42:43], v[2:3]
	;; [unrolled: 1-line block ×12, first 2 shown]
	v_add_lshl_u32 v4, v63, v0, 3
	v_cmp_gt_u32_e32 vcc, 64, v0
	ds_write_b64 v4, v[2:3]
	s_waitcnt lgkmcnt(0)
	s_barrier
	s_and_saveexec_b64 s[2:3], vcc
	s_cbranch_execz .LBB143_64
; %bb.63:
	v_lshlrev_b32_e32 v4, 2, v0
	v_lshrrev_b32_e32 v5, 3, v0
	v_add_lshl_u32 v16, v5, v4, 3
	ds_read2_b64 v[4:7], v16 offset1:1
	ds_read2_b64 v[8:11], v16 offset0:2 offset1:3
	v_mbcnt_lo_u32_b32 v12, -1, 0
	v_mbcnt_hi_u32_b32 v17, -1, v12
	v_and_b32_e32 v18, 15, v17
	s_waitcnt lgkmcnt(1)
	v_add_f64 v[12:13], v[4:5], v[6:7]
	s_waitcnt lgkmcnt(0)
	v_add_f64 v[12:13], v[12:13], v[8:9]
	v_add_f64 v[12:13], v[12:13], v[10:11]
	v_cmp_eq_u32_e32 vcc, 0, v18
	s_nop 0
	v_mov_b32_dpp v14, v12 row_shr:1 row_mask:0xf bank_mask:0xf
	v_mov_b32_dpp v15, v13 row_shr:1 row_mask:0xf bank_mask:0xf
	v_add_f64 v[14:15], v[12:13], v[14:15]
	v_cndmask_b32_e32 v13, v15, v13, vcc
	v_cndmask_b32_e32 v12, v14, v12, vcc
	v_cmp_lt_u32_e32 vcc, 1, v18
	v_mov_b32_dpp v15, v13 row_shr:2 row_mask:0xf bank_mask:0xf
	v_mov_b32_dpp v14, v12 row_shr:2 row_mask:0xf bank_mask:0xf
	v_add_f64 v[14:15], v[12:13], v[14:15]
	v_cndmask_b32_e32 v12, v12, v14, vcc
	v_cndmask_b32_e32 v13, v13, v15, vcc
	v_cmp_lt_u32_e32 vcc, 3, v18
	;; [unrolled: 6-line block ×3, first 2 shown]
	v_mov_b32_dpp v14, v12 row_shr:8 row_mask:0xf bank_mask:0xf
	v_mov_b32_dpp v15, v13 row_shr:8 row_mask:0xf bank_mask:0xf
	v_add_f64 v[14:15], v[12:13], v[14:15]
	v_cndmask_b32_e32 v12, v12, v14, vcc
	v_cndmask_b32_e32 v13, v13, v15, vcc
	v_and_b32_e32 v18, 16, v17
	v_mov_b32_dpp v14, v12 row_bcast:15 row_mask:0xf bank_mask:0xf
	v_mov_b32_dpp v15, v13 row_bcast:15 row_mask:0xf bank_mask:0xf
	v_add_f64 v[14:15], v[12:13], v[14:15]
	v_cmp_eq_u32_e32 vcc, 0, v18
	s_nop 1
	v_cndmask_b32_e32 v13, v15, v13, vcc
	v_cndmask_b32_e32 v12, v14, v12, vcc
	v_cmp_lt_u32_e32 vcc, 31, v17
	v_mov_b32_dpp v15, v13 row_bcast:31 row_mask:0xf bank_mask:0xf
	v_mov_b32_dpp v14, v12 row_bcast:31 row_mask:0xf bank_mask:0xf
	v_add_f64 v[14:15], v[12:13], v[14:15]
	v_cndmask_b32_e32 v13, v13, v15, vcc
	v_cndmask_b32_e32 v12, v12, v14, vcc
	v_add_u32_e32 v14, -1, v17
	v_and_b32_e32 v15, 64, v17
	v_cmp_lt_i32_e32 vcc, v14, v15
	s_nop 1
	v_cndmask_b32_e32 v14, v14, v17, vcc
	v_lshlrev_b32_e32 v14, 2, v14
	ds_bpermute_b32 v12, v14, v12
	ds_bpermute_b32 v13, v14, v13
	v_cmp_eq_u32_e32 vcc, 0, v0
	s_waitcnt lgkmcnt(0)
	v_add_f64 v[4:5], v[4:5], v[12:13]
	v_cndmask_b32_e32 v3, v5, v3, vcc
	v_cndmask_b32_e32 v2, v4, v2, vcc
	v_add_f64 v[4:5], v[6:7], v[2:3]
	ds_write2_b64 v16, v[2:3], v[4:5] offset1:1
	v_add_f64 v[2:3], v[8:9], v[4:5]
	v_add_f64 v[4:5], v[10:11], v[2:3]
	ds_write2_b64 v16, v[2:3], v[4:5] offset0:2 offset1:3
.LBB143_64:
	s_or_b64 exec, exec, s[2:3]
	v_cmp_eq_u32_e32 vcc, 0, v0
	v_cmp_ne_u32_e64 s[2:3], 0, v0
	v_mov_b64_e32 v[2:3], v[32:33]
	s_waitcnt lgkmcnt(0)
	s_barrier
	s_and_saveexec_b64 s[4:5], s[2:3]
	s_cbranch_execz .LBB143_66
; %bb.65:
	v_add_u32_e32 v2, -1, v0
	v_lshrrev_b32_e32 v3, 5, v2
	v_add_lshl_u32 v2, v3, v2, 3
	ds_read_b64 v[2:3], v2
	s_waitcnt lgkmcnt(0)
	v_add_f64 v[2:3], v[32:33], v[2:3]
.LBB143_66:
	s_or_b64 exec, exec, s[4:5]
	v_add_f64 v[4:5], v[34:35], v[2:3]
	v_add_f64 v[6:7], v[36:37], v[4:5]
	;; [unrolled: 1-line block ×14, first 2 shown]
	s_and_saveexec_b64 s[2:3], vcc
	s_cbranch_execz .LBB143_68
; %bb.67:
	v_mov_b32_e32 v35, 0
	ds_read_b64 v[36:37], v35 offset:2096
	s_add_u32 s4, s20, 0x400
	s_addc_u32 s5, s21, 0
	v_mov_b32_e32 v34, 2
	s_waitcnt lgkmcnt(0)
	v_add_f64 v[32:33], v[32:33], v[36:37]
	v_mov_b64_e32 v[36:37], s[4:5]
	;;#ASMSTART
	global_store_dwordx4 v[36:37], v[32:35] off sc1	
s_waitcnt vmcnt(0)
	;;#ASMEND
.LBB143_68:
	s_or_b64 exec, exec, s[2:3]
.LBB143_69:
	s_lshl_b64 s[2:3], s[10:11], 3
	s_add_u32 s2, s12, s2
	s_addc_u32 s3, s13, s3
	s_waitcnt lgkmcnt(0)
	s_mov_b64 s[4:5], -1
	s_and_b64 vcc, exec, s[14:15]
	s_barrier
	s_cbranch_vccz .LBB143_71
; %bb.70:
	v_mul_u32_u24_e32 v32, 0x78, v0
	s_movk_i32 s4, 0x78
	ds_write2_b64 v32, v[2:3], v[4:5] offset1:1
	ds_write2_b64 v32, v[6:7], v[8:9] offset0:2 offset1:3
	ds_write2_b64 v32, v[10:11], v[12:13] offset0:4 offset1:5
	;; [unrolled: 1-line block ×6, first 2 shown]
	ds_write_b64 v32, v[30:31] offset:112
	v_mul_i32_i24_e32 v32, 0xffffff90, v0
	v_mad_u32_u24 v60, v0, s4, v32
	v_mov_b32_e32 v63, 0
	s_waitcnt lgkmcnt(0)
	s_barrier
	ds_read2st64_b64 v[32:35], v60 offset1:4
	ds_read2st64_b64 v[36:39], v60 offset0:8 offset1:12
	ds_read2st64_b64 v[40:43], v60 offset0:16 offset1:20
	;; [unrolled: 1-line block ×6, first 2 shown]
	ds_read_b64 v[60:61], v60 offset:28672
	v_lshl_add_u64 v[64:65], s[2:3], 0, v[62:63]
	s_movk_i32 s4, 0x1000
	s_waitcnt lgkmcnt(7)
	global_store_dwordx2 v62, v[32:33], s[2:3]
	global_store_dwordx2 v62, v[34:35], s[2:3] offset:2048
	v_add_co_u32_e32 v32, vcc, s4, v64
	s_movk_i32 s4, 0x2000
	s_nop 0
	v_addc_co_u32_e32 v33, vcc, 0, v65, vcc
	v_add_co_u32_e32 v34, vcc, s4, v64
	s_movk_i32 s4, 0x3000
	s_nop 0
	v_addc_co_u32_e32 v35, vcc, 0, v65, vcc
	s_waitcnt lgkmcnt(6)
	global_store_dwordx2 v[34:35], v[36:37], off offset:-4096
	global_store_dwordx2 v[32:33], v[38:39], off offset:2048
	s_waitcnt lgkmcnt(5)
	global_store_dwordx2 v[34:35], v[40:41], off
	global_store_dwordx2 v[34:35], v[42:43], off offset:2048
	v_add_co_u32_e32 v32, vcc, s4, v64
	s_movk_i32 s4, 0x4000
	s_nop 0
	v_addc_co_u32_e32 v33, vcc, 0, v65, vcc
	v_add_co_u32_e32 v34, vcc, s4, v64
	s_movk_i32 s4, 0x5000
	s_nop 0
	v_addc_co_u32_e32 v35, vcc, 0, v65, vcc
	s_waitcnt lgkmcnt(4)
	global_store_dwordx2 v[34:35], v[44:45], off offset:-4096
	global_store_dwordx2 v[32:33], v[46:47], off offset:2048
	s_waitcnt lgkmcnt(3)
	global_store_dwordx2 v[34:35], v[48:49], off
	global_store_dwordx2 v[34:35], v[50:51], off offset:2048
	v_add_co_u32_e32 v32, vcc, s4, v64
	s_mov_b64 s[4:5], 0
	s_nop 0
	v_addc_co_u32_e32 v33, vcc, 0, v65, vcc
	s_waitcnt lgkmcnt(2)
	global_store_dwordx2 v[32:33], v[52:53], off
	global_store_dwordx2 v[32:33], v[54:55], off offset:2048
	v_add_co_u32_e32 v32, vcc, 0x6000, v64
	s_nop 1
	v_addc_co_u32_e32 v33, vcc, 0, v65, vcc
	s_waitcnt lgkmcnt(1)
	global_store_dwordx2 v[32:33], v[56:57], off
	global_store_dwordx2 v[32:33], v[58:59], off offset:2048
	v_add_co_u32_e32 v32, vcc, 0x7000, v64
	s_nop 1
	v_addc_co_u32_e32 v33, vcc, 0, v65, vcc
	s_waitcnt lgkmcnt(0)
	global_store_dwordx2 v[32:33], v[60:61], off
.LBB143_71:
	s_andn2_b64 vcc, exec, s[4:5]
	s_cbranch_vccnz .LBB143_157
; %bb.72:
	s_movk_i32 s4, 0xff90
	ds_write2_b64 v1, v[2:3], v[4:5] offset1:1
	ds_write2_b64 v1, v[6:7], v[8:9] offset0:2 offset1:3
	ds_write2_b64 v1, v[10:11], v[12:13] offset0:4 offset1:5
	;; [unrolled: 1-line block ×6, first 2 shown]
	ds_write_b64 v1, v[30:31] offset:112
	v_mad_i32_i24 v1, v0, s4, v1
	s_waitcnt lgkmcnt(0)
	s_barrier
	ds_read2st64_b64 v[6:9], v1 offset1:4
	ds_read2st64_b64 v[14:17], v1 offset0:8 offset1:12
	ds_read2st64_b64 v[10:13], v1 offset0:16 offset1:20
	;; [unrolled: 1-line block ×6, first 2 shown]
	ds_read_b64 v[30:31], v1 offset:28672
	v_mov_b32_e32 v63, 0
	v_lshl_add_u64 v[32:33], s[2:3], 0, v[62:63]
	v_cmp_gt_u32_e32 vcc, s26, v0
	s_and_saveexec_b64 s[2:3], vcc
	s_cbranch_execz .LBB143_74
; %bb.73:
	s_waitcnt lgkmcnt(7)
	global_store_dwordx2 v[32:33], v[6:7], off
.LBB143_74:
	s_or_b64 exec, exec, s[2:3]
	v_or_b32_e32 v1, 0x100, v0
	v_cmp_gt_u32_e32 vcc, s26, v1
	s_and_saveexec_b64 s[2:3], vcc
	s_cbranch_execz .LBB143_76
; %bb.75:
	s_waitcnt lgkmcnt(7)
	global_store_dwordx2 v[32:33], v[8:9], off offset:2048
.LBB143_76:
	s_or_b64 exec, exec, s[2:3]
	v_or_b32_e32 v1, 0x200, v0
	v_cmp_gt_u32_e32 vcc, s26, v1
	s_and_saveexec_b64 s[2:3], vcc
	s_cbranch_execz .LBB143_78
; %bb.77:
	v_add_co_u32_e32 v34, vcc, 0x1000, v32
	s_nop 1
	v_addc_co_u32_e32 v35, vcc, 0, v33, vcc
	s_waitcnt lgkmcnt(6)
	global_store_dwordx2 v[34:35], v[14:15], off
.LBB143_78:
	s_or_b64 exec, exec, s[2:3]
	v_or_b32_e32 v1, 0x300, v0
	v_cmp_gt_u32_e32 vcc, s26, v1
	s_and_saveexec_b64 s[2:3], vcc
	s_cbranch_execz .LBB143_80
; %bb.79:
	v_add_co_u32_e32 v34, vcc, 0x1000, v32
	s_nop 1
	v_addc_co_u32_e32 v35, vcc, 0, v33, vcc
	s_waitcnt lgkmcnt(6)
	global_store_dwordx2 v[34:35], v[16:17], off offset:2048
.LBB143_80:
	s_or_b64 exec, exec, s[2:3]
	v_or_b32_e32 v1, 0x400, v0
	v_cmp_gt_u32_e32 vcc, s26, v1
	s_and_saveexec_b64 s[2:3], vcc
	s_cbranch_execz .LBB143_82
; %bb.81:
	v_add_co_u32_e32 v34, vcc, 0x2000, v32
	s_nop 1
	v_addc_co_u32_e32 v35, vcc, 0, v33, vcc
	s_waitcnt lgkmcnt(5)
	global_store_dwordx2 v[34:35], v[10:11], off
.LBB143_82:
	s_or_b64 exec, exec, s[2:3]
	v_or_b32_e32 v1, 0x500, v0
	v_cmp_gt_u32_e32 vcc, s26, v1
	s_and_saveexec_b64 s[2:3], vcc
	s_cbranch_execz .LBB143_84
; %bb.83:
	v_add_co_u32_e32 v34, vcc, 0x2000, v32
	s_nop 1
	v_addc_co_u32_e32 v35, vcc, 0, v33, vcc
	s_waitcnt lgkmcnt(5)
	global_store_dwordx2 v[34:35], v[12:13], off offset:2048
.LBB143_84:
	;; [unrolled: 24-line block ×6, first 2 shown]
	s_or_b64 exec, exec, s[2:3]
	v_or_b32_e32 v1, 0xe00, v0
	v_cmp_gt_u32_e32 vcc, s26, v1
	s_and_saveexec_b64 s[2:3], vcc
	s_cbranch_execz .LBB143_102
; %bb.101:
	v_add_co_u32_e32 v32, vcc, 0x7000, v32
	s_nop 1
	v_addc_co_u32_e32 v33, vcc, 0, v33, vcc
	s_waitcnt lgkmcnt(0)
	global_store_dwordx2 v[32:33], v[30:31], off
.LBB143_102:
	s_or_b64 exec, exec, s[2:3]
	s_load_dword s0, s[0:1], 0x50
	s_waitcnt lgkmcnt(0)
	s_bfe_u32 s0, s0, 0x10008
	s_cmp_eq_u32 s0, 0
	s_cbranch_scc1 .LBB143_157
; %bb.103:
	s_add_u32 s0, s26, -1
	s_addc_u32 s1, s27, -1
	s_add_u32 s2, 0, 0x11108400
	s_addc_u32 s3, 0, 49
	s_add_i32 s3, s3, 0x111110e0
	s_mul_hi_u32 s9, s2, -15
	s_sub_i32 s9, s9, s2
	s_mul_i32 s10, s3, -15
	s_mul_i32 s4, s2, -15
	s_add_i32 s9, s9, s10
	s_mul_hi_u32 s5, s3, s4
	s_mul_i32 s8, s3, s4
	s_mul_i32 s11, s2, s9
	s_mul_hi_u32 s4, s2, s4
	s_mul_hi_u32 s10, s2, s9
	s_add_u32 s4, s4, s11
	s_addc_u32 s10, 0, s10
	s_add_u32 s4, s4, s8
	s_mul_hi_u32 s11, s3, s9
	s_addc_u32 s4, s10, s5
	s_addc_u32 s5, s11, 0
	s_mul_i32 s8, s3, s9
	s_add_u32 s4, s4, s8
	v_mov_b32_e32 v32, s4
	s_addc_u32 s5, 0, s5
	v_add_co_u32_e32 v32, vcc, s2, v32
	s_cmp_lg_u64 vcc, 0
	s_addc_u32 s2, s3, s5
	v_readfirstlane_b32 s5, v32
	s_mul_i32 s4, s0, s2
	s_mul_hi_u32 s8, s0, s5
	s_mul_hi_u32 s3, s0, s2
	s_add_u32 s4, s8, s4
	s_addc_u32 s3, 0, s3
	s_mul_hi_u32 s9, s1, s5
	s_mul_i32 s5, s1, s5
	s_add_u32 s4, s4, s5
	s_mul_hi_u32 s8, s1, s2
	s_addc_u32 s3, s3, s9
	s_addc_u32 s4, s8, 0
	s_mul_i32 s2, s1, s2
	s_add_u32 s2, s3, s2
	s_addc_u32 s3, 0, s4
	s_add_u32 s4, s2, 1
	s_addc_u32 s5, s3, 0
	s_add_u32 s8, s2, 2
	s_mul_i32 s10, s3, 15
	s_mul_hi_u32 s11, s2, 15
	s_addc_u32 s9, s3, 0
	s_add_i32 s11, s11, s10
	s_mul_i32 s10, s2, 15
	v_mov_b32_e32 v32, s10
	v_sub_co_u32_e32 v32, vcc, s0, v32
	s_cmp_lg_u64 vcc, 0
	s_subb_u32 s10, s1, s11
	v_subrev_co_u32_e32 v33, vcc, 15, v32
	s_cmp_lg_u64 vcc, 0
	s_subb_u32 s11, s10, 0
	v_readfirstlane_b32 s12, v33
	s_cmp_gt_u32 s12, 14
	s_cselect_b32 s12, -1, 0
	s_cmp_eq_u32 s11, 0
	s_cselect_b32 s11, s12, -1
	s_cmp_lg_u32 s11, 0
	s_cselect_b32 s4, s8, s4
	v_readfirstlane_b32 s8, v32
	s_cselect_b32 s5, s9, s5
	s_cmp_gt_u32 s8, 14
	s_cselect_b32 s8, -1, 0
	s_cmp_eq_u32 s10, 0
	s_cselect_b32 s8, s8, -1
	s_cmp_lg_u32 s8, 0
	v_mov_b32_e32 v1, v63
	s_cselect_b32 s3, s5, s3
	s_cselect_b32 s2, s4, s2
	v_cmp_eq_u64_e32 vcc, s[2:3], v[0:1]
	s_and_saveexec_b64 s[2:3], vcc
	s_cbranch_execz .LBB143_157
; %bb.104:
	v_mul_hi_u32_u24_e32 v1, 15, v0
	v_mov_b32_e32 v32, s1
	v_sub_co_u32_e32 v0, vcc, s0, v68
	s_nop 1
	v_subb_co_u32_e32 v1, vcc, v32, v1, vcc
	v_cmp_lt_i64_e32 vcc, 7, v[0:1]
	s_and_saveexec_b64 s[0:1], vcc
	s_xor_b64 s[0:1], exec, s[0:1]
	s_cbranch_execz .LBB143_130
; %bb.105:
	v_cmp_lt_i64_e32 vcc, 10, v[0:1]
	s_and_saveexec_b64 s[2:3], vcc
	s_xor_b64 s[2:3], exec, s[2:3]
	s_cbranch_execz .LBB143_119
; %bb.106:
	;; [unrolled: 5-line block ×4, first 2 shown]
	v_mov_b32_e32 v0, 0
	global_store_dwordx2 v0, v[30:31], s[6:7]
                                        ; implicit-def: $vgpr22_vgpr23_vgpr24_vgpr25
.LBB143_109:
	s_andn2_saveexec_b64 s[8:9], s[8:9]
	s_cbranch_execz .LBB143_111
; %bb.110:
	v_mov_b32_e32 v0, 0
	global_store_dwordx2 v0, v[24:25], s[6:7]
.LBB143_111:
	s_or_b64 exec, exec, s[8:9]
                                        ; implicit-def: $vgpr2_vgpr3_vgpr4_vgpr5
                                        ; implicit-def: $vgpr0_vgpr1
                                        ; implicit-def: $vgpr22_vgpr23_vgpr24_vgpr25
.LBB143_112:
	s_andn2_saveexec_b64 s[4:5], s[4:5]
	s_cbranch_execz .LBB143_118
; %bb.113:
	v_cmp_lt_i64_e32 vcc, 11, v[0:1]
	s_and_saveexec_b64 s[8:9], vcc
	s_xor_b64 s[8:9], exec, s[8:9]
	s_cbranch_execz .LBB143_115
; %bb.114:
	v_mov_b32_e32 v0, 0
	global_store_dwordx2 v0, v[22:23], s[6:7]
                                        ; implicit-def: $vgpr2_vgpr3_vgpr4_vgpr5
.LBB143_115:
	s_andn2_saveexec_b64 s[8:9], s[8:9]
	s_cbranch_execz .LBB143_117
; %bb.116:
	v_mov_b32_e32 v0, 0
	global_store_dwordx2 v0, v[4:5], s[6:7]
.LBB143_117:
	s_or_b64 exec, exec, s[8:9]
.LBB143_118:
	s_or_b64 exec, exec, s[4:5]
                                        ; implicit-def: $vgpr18_vgpr19_vgpr20_vgpr21
                                        ; implicit-def: $vgpr0_vgpr1
                                        ; implicit-def: $vgpr2_vgpr3_vgpr4_vgpr5
.LBB143_119:
	s_andn2_saveexec_b64 s[2:3], s[2:3]
	s_cbranch_execz .LBB143_129
; %bb.120:
	v_cmp_lt_i64_e32 vcc, 8, v[0:1]
	s_and_saveexec_b64 s[4:5], vcc
	s_xor_b64 s[4:5], exec, s[4:5]
	s_cbranch_execz .LBB143_126
; %bb.121:
	v_cmp_lt_i64_e32 vcc, 9, v[0:1]
	s_and_saveexec_b64 s[8:9], vcc
	s_xor_b64 s[8:9], exec, s[8:9]
	s_cbranch_execz .LBB143_123
; %bb.122:
	v_mov_b32_e32 v0, 0
	global_store_dwordx2 v0, v[2:3], s[6:7]
                                        ; implicit-def: $vgpr18_vgpr19_vgpr20_vgpr21
.LBB143_123:
	s_andn2_saveexec_b64 s[8:9], s[8:9]
	s_cbranch_execz .LBB143_125
; %bb.124:
	v_mov_b32_e32 v0, 0
	global_store_dwordx2 v0, v[20:21], s[6:7]
.LBB143_125:
	s_or_b64 exec, exec, s[8:9]
                                        ; implicit-def: $vgpr18_vgpr19_vgpr20_vgpr21
.LBB143_126:
	s_andn2_saveexec_b64 s[4:5], s[4:5]
	s_cbranch_execz .LBB143_128
; %bb.127:
	v_mov_b32_e32 v0, 0
	global_store_dwordx2 v0, v[18:19], s[6:7]
.LBB143_128:
	s_or_b64 exec, exec, s[4:5]
.LBB143_129:
	s_or_b64 exec, exec, s[2:3]
                                        ; implicit-def: $vgpr0_vgpr1
                                        ; implicit-def: $vgpr6_vgpr7_vgpr8_vgpr9
                                        ; implicit-def: $vgpr10_vgpr11_vgpr12_vgpr13
                                        ; implicit-def: $vgpr14_vgpr15_vgpr16_vgpr17
                                        ; implicit-def: $vgpr26_vgpr27_vgpr28_vgpr29
.LBB143_130:
	s_andn2_saveexec_b64 s[0:1], s[0:1]
	s_cbranch_execz .LBB143_157
; %bb.131:
	v_cmp_lt_i64_e32 vcc, 3, v[0:1]
	s_and_saveexec_b64 s[0:1], vcc
	s_xor_b64 s[0:1], exec, s[0:1]
	s_cbranch_execz .LBB143_145
; %bb.132:
	v_cmp_lt_i64_e32 vcc, 5, v[0:1]
	s_and_saveexec_b64 s[2:3], vcc
	s_xor_b64 s[2:3], exec, s[2:3]
	;; [unrolled: 5-line block ×3, first 2 shown]
	s_cbranch_execz .LBB143_135
; %bb.134:
	v_mov_b32_e32 v0, 0
	global_store_dwordx2 v0, v[28:29], s[6:7]
                                        ; implicit-def: $vgpr26_vgpr27_vgpr28_vgpr29
.LBB143_135:
	s_andn2_saveexec_b64 s[4:5], s[4:5]
	s_cbranch_execz .LBB143_137
; %bb.136:
	v_mov_b32_e32 v0, 0
	global_store_dwordx2 v0, v[26:27], s[6:7]
.LBB143_137:
	s_or_b64 exec, exec, s[4:5]
                                        ; implicit-def: $vgpr10_vgpr11_vgpr12_vgpr13
                                        ; implicit-def: $vgpr0_vgpr1
.LBB143_138:
	s_andn2_saveexec_b64 s[2:3], s[2:3]
	s_cbranch_execz .LBB143_144
; %bb.139:
	v_cmp_lt_i64_e32 vcc, 4, v[0:1]
	s_and_saveexec_b64 s[4:5], vcc
	s_xor_b64 s[4:5], exec, s[4:5]
	s_cbranch_execz .LBB143_141
; %bb.140:
	v_mov_b32_e32 v0, 0
	global_store_dwordx2 v0, v[12:13], s[6:7]
                                        ; implicit-def: $vgpr10_vgpr11_vgpr12_vgpr13
.LBB143_141:
	s_andn2_saveexec_b64 s[4:5], s[4:5]
	s_cbranch_execz .LBB143_143
; %bb.142:
	v_mov_b32_e32 v0, 0
	global_store_dwordx2 v0, v[10:11], s[6:7]
.LBB143_143:
	s_or_b64 exec, exec, s[4:5]
.LBB143_144:
	s_or_b64 exec, exec, s[2:3]
                                        ; implicit-def: $vgpr0_vgpr1
                                        ; implicit-def: $vgpr6_vgpr7_vgpr8_vgpr9
                                        ; implicit-def: $vgpr14_vgpr15_vgpr16_vgpr17
.LBB143_145:
	s_andn2_saveexec_b64 s[0:1], s[0:1]
	s_cbranch_execz .LBB143_157
; %bb.146:
	v_cmp_lt_i64_e32 vcc, 1, v[0:1]
	s_and_saveexec_b64 s[0:1], vcc
	s_xor_b64 s[0:1], exec, s[0:1]
	s_cbranch_execz .LBB143_152
; %bb.147:
	v_cmp_lt_i64_e32 vcc, 2, v[0:1]
	s_and_saveexec_b64 s[2:3], vcc
	s_xor_b64 s[2:3], exec, s[2:3]
	s_cbranch_execz .LBB143_149
; %bb.148:
	v_mov_b32_e32 v0, 0
	global_store_dwordx2 v0, v[16:17], s[6:7]
                                        ; implicit-def: $vgpr14_vgpr15_vgpr16_vgpr17
.LBB143_149:
	s_andn2_saveexec_b64 s[2:3], s[2:3]
	s_cbranch_execz .LBB143_151
; %bb.150:
	v_mov_b32_e32 v0, 0
	global_store_dwordx2 v0, v[14:15], s[6:7]
.LBB143_151:
	s_or_b64 exec, exec, s[2:3]
                                        ; implicit-def: $vgpr6_vgpr7_vgpr8_vgpr9
                                        ; implicit-def: $vgpr0_vgpr1
.LBB143_152:
	s_andn2_saveexec_b64 s[0:1], s[0:1]
	s_cbranch_execz .LBB143_157
; %bb.153:
	v_cmp_ne_u64_e32 vcc, 1, v[0:1]
	s_and_saveexec_b64 s[0:1], vcc
	s_xor_b64 s[0:1], exec, s[0:1]
	s_cbranch_execz .LBB143_155
; %bb.154:
	v_mov_b32_e32 v0, 0
	global_store_dwordx2 v0, v[6:7], s[6:7]
                                        ; implicit-def: $vgpr6_vgpr7_vgpr8_vgpr9
.LBB143_155:
	s_andn2_saveexec_b64 s[0:1], s[0:1]
	s_cbranch_execz .LBB143_157
; %bb.156:
	v_mov_b32_e32 v0, 0
	global_store_dwordx2 v0, v[8:9], s[6:7]
.LBB143_157:
	s_endpgm
	.section	.rodata,"a",@progbits
	.p2align	6, 0x0
	.amdhsa_kernel _ZN7rocprim6detail20lookback_scan_kernelILNS0_25lookback_scan_determinismE0ELb1ENS0_19wrapped_scan_configINS_14default_configEdEEN6hipcub22TransformInputIteratorIiNS6_6CastOpIiEEPilEEPdNS6_3SumENS_12future_valueIdSC_EEdNS0_19lookback_scan_stateIdLb0ELb1EEEEEvT2_T3_mT5_T4_T7_jPT6_SO_bb
		.amdhsa_group_segment_fixed_size 30720
		.amdhsa_private_segment_fixed_size 0
		.amdhsa_kernarg_size 84
		.amdhsa_user_sgpr_count 2
		.amdhsa_user_sgpr_dispatch_ptr 0
		.amdhsa_user_sgpr_queue_ptr 0
		.amdhsa_user_sgpr_kernarg_segment_ptr 1
		.amdhsa_user_sgpr_dispatch_id 0
		.amdhsa_user_sgpr_kernarg_preload_length 0
		.amdhsa_user_sgpr_kernarg_preload_offset 0
		.amdhsa_user_sgpr_private_segment_size 0
		.amdhsa_uses_dynamic_stack 0
		.amdhsa_enable_private_segment 0
		.amdhsa_system_sgpr_workgroup_id_x 1
		.amdhsa_system_sgpr_workgroup_id_y 0
		.amdhsa_system_sgpr_workgroup_id_z 0
		.amdhsa_system_sgpr_workgroup_info 0
		.amdhsa_system_vgpr_workitem_id 0
		.amdhsa_next_free_vgpr 69
		.amdhsa_next_free_sgpr 30
		.amdhsa_accum_offset 72
		.amdhsa_reserve_vcc 1
		.amdhsa_float_round_mode_32 0
		.amdhsa_float_round_mode_16_64 0
		.amdhsa_float_denorm_mode_32 3
		.amdhsa_float_denorm_mode_16_64 3
		.amdhsa_dx10_clamp 1
		.amdhsa_ieee_mode 1
		.amdhsa_fp16_overflow 0
		.amdhsa_tg_split 0
		.amdhsa_exception_fp_ieee_invalid_op 0
		.amdhsa_exception_fp_denorm_src 0
		.amdhsa_exception_fp_ieee_div_zero 0
		.amdhsa_exception_fp_ieee_overflow 0
		.amdhsa_exception_fp_ieee_underflow 0
		.amdhsa_exception_fp_ieee_inexact 0
		.amdhsa_exception_int_div_zero 0
	.end_amdhsa_kernel
	.section	.text._ZN7rocprim6detail20lookback_scan_kernelILNS0_25lookback_scan_determinismE0ELb1ENS0_19wrapped_scan_configINS_14default_configEdEEN6hipcub22TransformInputIteratorIiNS6_6CastOpIiEEPilEEPdNS6_3SumENS_12future_valueIdSC_EEdNS0_19lookback_scan_stateIdLb0ELb1EEEEEvT2_T3_mT5_T4_T7_jPT6_SO_bb,"axG",@progbits,_ZN7rocprim6detail20lookback_scan_kernelILNS0_25lookback_scan_determinismE0ELb1ENS0_19wrapped_scan_configINS_14default_configEdEEN6hipcub22TransformInputIteratorIiNS6_6CastOpIiEEPilEEPdNS6_3SumENS_12future_valueIdSC_EEdNS0_19lookback_scan_stateIdLb0ELb1EEEEEvT2_T3_mT5_T4_T7_jPT6_SO_bb,comdat
.Lfunc_end143:
	.size	_ZN7rocprim6detail20lookback_scan_kernelILNS0_25lookback_scan_determinismE0ELb1ENS0_19wrapped_scan_configINS_14default_configEdEEN6hipcub22TransformInputIteratorIiNS6_6CastOpIiEEPilEEPdNS6_3SumENS_12future_valueIdSC_EEdNS0_19lookback_scan_stateIdLb0ELb1EEEEEvT2_T3_mT5_T4_T7_jPT6_SO_bb, .Lfunc_end143-_ZN7rocprim6detail20lookback_scan_kernelILNS0_25lookback_scan_determinismE0ELb1ENS0_19wrapped_scan_configINS_14default_configEdEEN6hipcub22TransformInputIteratorIiNS6_6CastOpIiEEPilEEPdNS6_3SumENS_12future_valueIdSC_EEdNS0_19lookback_scan_stateIdLb0ELb1EEEEEvT2_T3_mT5_T4_T7_jPT6_SO_bb
                                        ; -- End function
	.section	.AMDGPU.csdata,"",@progbits
; Kernel info:
; codeLenInByte = 7124
; NumSgprs: 36
; NumVgprs: 69
; NumAgprs: 0
; TotalNumVgprs: 69
; ScratchSize: 0
; MemoryBound: 0
; FloatMode: 240
; IeeeMode: 1
; LDSByteSize: 30720 bytes/workgroup (compile time only)
; SGPRBlocks: 4
; VGPRBlocks: 8
; NumSGPRsForWavesPerEU: 36
; NumVGPRsForWavesPerEU: 69
; AccumOffset: 72
; Occupancy: 2
; WaveLimiterHint : 1
; COMPUTE_PGM_RSRC2:SCRATCH_EN: 0
; COMPUTE_PGM_RSRC2:USER_SGPR: 2
; COMPUTE_PGM_RSRC2:TRAP_HANDLER: 0
; COMPUTE_PGM_RSRC2:TGID_X_EN: 1
; COMPUTE_PGM_RSRC2:TGID_Y_EN: 0
; COMPUTE_PGM_RSRC2:TGID_Z_EN: 0
; COMPUTE_PGM_RSRC2:TIDIG_COMP_CNT: 0
; COMPUTE_PGM_RSRC3_GFX90A:ACCUM_OFFSET: 17
; COMPUTE_PGM_RSRC3_GFX90A:TG_SPLIT: 0
	.section	.text._ZN7rocprim6detail16transform_kernelINS0_24wrapped_transform_configINS_14default_configEdEEdPdS5_NS_8identityIdEEEEvT1_mT2_T3_,"axG",@progbits,_ZN7rocprim6detail16transform_kernelINS0_24wrapped_transform_configINS_14default_configEdEEdPdS5_NS_8identityIdEEEEvT1_mT2_T3_,comdat
	.protected	_ZN7rocprim6detail16transform_kernelINS0_24wrapped_transform_configINS_14default_configEdEEdPdS5_NS_8identityIdEEEEvT1_mT2_T3_ ; -- Begin function _ZN7rocprim6detail16transform_kernelINS0_24wrapped_transform_configINS_14default_configEdEEdPdS5_NS_8identityIdEEEEvT1_mT2_T3_
	.globl	_ZN7rocprim6detail16transform_kernelINS0_24wrapped_transform_configINS_14default_configEdEEdPdS5_NS_8identityIdEEEEvT1_mT2_T3_
	.p2align	8
	.type	_ZN7rocprim6detail16transform_kernelINS0_24wrapped_transform_configINS_14default_configEdEEdPdS5_NS_8identityIdEEEEvT1_mT2_T3_,@function
_ZN7rocprim6detail16transform_kernelINS0_24wrapped_transform_configINS_14default_configEdEEdPdS5_NS_8identityIdEEEEvT1_mT2_T3_: ; @_ZN7rocprim6detail16transform_kernelINS0_24wrapped_transform_configINS_14default_configEdEEdPdS5_NS_8identityIdEEEEvT1_mT2_T3_
; %bb.0:
	s_load_dword s3, s[0:1], 0x20
	s_load_dwordx4 s[4:7], s[0:1], 0x0
	s_load_dwordx2 s[8:9], s[0:1], 0x10
	s_lshl_b32 s0, s2, 12
	s_mov_b32 s1, 0
	s_waitcnt lgkmcnt(0)
	s_add_i32 s3, s3, -1
	s_lshl_b64 s[10:11], s[0:1], 3
	s_add_u32 s4, s4, s10
	s_addc_u32 s5, s5, s11
	v_mov_b32_e32 v11, 0
	v_lshlrev_b32_e32 v10, 3, v0
	s_cmp_lg_u32 s2, s3
	v_lshl_add_u64 v[12:13], s[4:5], 0, v[10:11]
	s_cbranch_scc0 .LBB144_2
; %bb.1:
	v_add_co_u32_e32 v2, vcc, 0x2000, v12
	s_add_u32 s4, s8, s10
	s_nop 0
	v_addc_co_u32_e32 v3, vcc, 0, v13, vcc
	v_add_co_u32_e32 v4, vcc, 0x4000, v12
	s_addc_u32 s5, s9, s11
	s_nop 0
	v_addc_co_u32_e32 v5, vcc, 0, v13, vcc
	global_load_dwordx2 v[6:7], v[12:13], off
	global_load_dwordx2 v[14:15], v[2:3], off
	;; [unrolled: 1-line block ×3, first 2 shown]
	v_add_co_u32_e32 v2, vcc, 0x6000, v12
	s_nop 1
	v_addc_co_u32_e32 v3, vcc, 0, v13, vcc
	global_load_dwordx2 v[8:9], v[2:3], off
	v_lshl_add_u64 v[2:3], s[4:5], 0, v[10:11]
	v_add_co_u32_e32 v4, vcc, 0x2000, v2
	s_mov_b64 s[12:13], -1
	s_nop 0
	v_addc_co_u32_e32 v5, vcc, 0, v3, vcc
	v_add_co_u32_e32 v2, vcc, 0x4000, v2
	s_nop 1
	v_addc_co_u32_e32 v3, vcc, 0, v3, vcc
	s_waitcnt vmcnt(3)
	global_store_dwordx2 v10, v[6:7], s[4:5]
	s_waitcnt vmcnt(3)
	global_store_dwordx2 v[4:5], v[14:15], off
	s_waitcnt vmcnt(3)
	global_store_dwordx2 v[2:3], v[16:17], off
	s_cbranch_execz .LBB144_3
	s_branch .LBB144_16
.LBB144_2:
	s_mov_b64 s[12:13], 0
                                        ; implicit-def: $vgpr8_vgpr9
.LBB144_3:
	s_sub_i32 s12, s6, s0
	v_cmp_gt_u32_e64 s[0:1], s12, v0
                                        ; implicit-def: $vgpr2_vgpr3_vgpr4_vgpr5_vgpr6_vgpr7_vgpr8_vgpr9
	s_and_saveexec_b64 s[2:3], s[0:1]
	s_cbranch_execz .LBB144_5
; %bb.4:
	global_load_dwordx2 v[2:3], v[12:13], off
.LBB144_5:
	s_or_b64 exec, exec, s[2:3]
	v_or_b32_e32 v1, 0x400, v0
	v_cmp_gt_u32_e64 s[2:3], s12, v1
	s_and_saveexec_b64 s[4:5], s[2:3]
	s_cbranch_execz .LBB144_7
; %bb.6:
	v_add_co_u32_e32 v4, vcc, 0x2000, v12
	s_nop 1
	v_addc_co_u32_e32 v5, vcc, 0, v13, vcc
	global_load_dwordx2 v[4:5], v[4:5], off
.LBB144_7:
	s_or_b64 exec, exec, s[4:5]
	v_or_b32_e32 v1, 0x800, v0
	v_cmp_gt_u32_e64 s[4:5], s12, v1
	s_and_saveexec_b64 s[6:7], s[4:5]
	s_cbranch_execz .LBB144_9
; %bb.8:
	v_add_co_u32_e32 v6, vcc, 0x4000, v12
	s_nop 1
	v_addc_co_u32_e32 v7, vcc, 0, v13, vcc
	global_load_dwordx2 v[6:7], v[6:7], off
.LBB144_9:
	;; [unrolled: 11-line block ×3, first 2 shown]
	s_or_b64 exec, exec, s[6:7]
	s_add_u32 s6, s8, s10
	s_addc_u32 s7, s9, s11
	v_mov_b32_e32 v11, 0
	v_lshl_add_u64 v[0:1], s[6:7], 0, v[10:11]
	s_and_saveexec_b64 s[6:7], s[0:1]
	s_cbranch_execnz .LBB144_19
; %bb.12:
	s_or_b64 exec, exec, s[6:7]
	s_and_saveexec_b64 s[0:1], s[2:3]
	s_cbranch_execnz .LBB144_20
.LBB144_13:
	s_or_b64 exec, exec, s[0:1]
	s_and_saveexec_b64 s[0:1], s[4:5]
	s_cbranch_execz .LBB144_15
.LBB144_14:
	v_add_co_u32_e32 v0, vcc, 0x4000, v0
	s_nop 1
	v_addc_co_u32_e32 v1, vcc, 0, v1, vcc
	s_waitcnt vmcnt(0)
	global_store_dwordx2 v[0:1], v[6:7], off
.LBB144_15:
	s_or_b64 exec, exec, s[0:1]
.LBB144_16:
	s_and_saveexec_b64 s[0:1], s[12:13]
	s_cbranch_execnz .LBB144_18
; %bb.17:
	s_endpgm
.LBB144_18:
	s_add_u32 s0, s8, s10
	s_addc_u32 s1, s9, s11
	v_mov_b32_e32 v11, 0
	v_lshl_add_u64 v[0:1], s[0:1], 0, v[10:11]
	v_add_co_u32_e32 v0, vcc, 0x6000, v0
	s_nop 1
	v_addc_co_u32_e32 v1, vcc, 0, v1, vcc
	s_waitcnt vmcnt(0)
	global_store_dwordx2 v[0:1], v[8:9], off
	s_endpgm
.LBB144_19:
	s_waitcnt vmcnt(0)
	global_store_dwordx2 v[0:1], v[2:3], off
	s_or_b64 exec, exec, s[6:7]
	s_and_saveexec_b64 s[0:1], s[2:3]
	s_cbranch_execz .LBB144_13
.LBB144_20:
	s_waitcnt vmcnt(0)
	v_add_co_u32_e32 v2, vcc, 0x2000, v0
	s_nop 1
	v_addc_co_u32_e32 v3, vcc, 0, v1, vcc
	global_store_dwordx2 v[2:3], v[4:5], off
	s_or_b64 exec, exec, s[0:1]
	s_and_saveexec_b64 s[0:1], s[4:5]
	s_cbranch_execnz .LBB144_14
	s_branch .LBB144_15
	.section	.rodata,"a",@progbits
	.p2align	6, 0x0
	.amdhsa_kernel _ZN7rocprim6detail16transform_kernelINS0_24wrapped_transform_configINS_14default_configEdEEdPdS5_NS_8identityIdEEEEvT1_mT2_T3_
		.amdhsa_group_segment_fixed_size 0
		.amdhsa_private_segment_fixed_size 0
		.amdhsa_kernarg_size 288
		.amdhsa_user_sgpr_count 2
		.amdhsa_user_sgpr_dispatch_ptr 0
		.amdhsa_user_sgpr_queue_ptr 0
		.amdhsa_user_sgpr_kernarg_segment_ptr 1
		.amdhsa_user_sgpr_dispatch_id 0
		.amdhsa_user_sgpr_kernarg_preload_length 0
		.amdhsa_user_sgpr_kernarg_preload_offset 0
		.amdhsa_user_sgpr_private_segment_size 0
		.amdhsa_uses_dynamic_stack 0
		.amdhsa_enable_private_segment 0
		.amdhsa_system_sgpr_workgroup_id_x 1
		.amdhsa_system_sgpr_workgroup_id_y 0
		.amdhsa_system_sgpr_workgroup_id_z 0
		.amdhsa_system_sgpr_workgroup_info 0
		.amdhsa_system_vgpr_workitem_id 0
		.amdhsa_next_free_vgpr 18
		.amdhsa_next_free_sgpr 14
		.amdhsa_accum_offset 20
		.amdhsa_reserve_vcc 1
		.amdhsa_float_round_mode_32 0
		.amdhsa_float_round_mode_16_64 0
		.amdhsa_float_denorm_mode_32 3
		.amdhsa_float_denorm_mode_16_64 3
		.amdhsa_dx10_clamp 1
		.amdhsa_ieee_mode 1
		.amdhsa_fp16_overflow 0
		.amdhsa_tg_split 0
		.amdhsa_exception_fp_ieee_invalid_op 0
		.amdhsa_exception_fp_denorm_src 0
		.amdhsa_exception_fp_ieee_div_zero 0
		.amdhsa_exception_fp_ieee_overflow 0
		.amdhsa_exception_fp_ieee_underflow 0
		.amdhsa_exception_fp_ieee_inexact 0
		.amdhsa_exception_int_div_zero 0
	.end_amdhsa_kernel
	.section	.text._ZN7rocprim6detail16transform_kernelINS0_24wrapped_transform_configINS_14default_configEdEEdPdS5_NS_8identityIdEEEEvT1_mT2_T3_,"axG",@progbits,_ZN7rocprim6detail16transform_kernelINS0_24wrapped_transform_configINS_14default_configEdEEdPdS5_NS_8identityIdEEEEvT1_mT2_T3_,comdat
.Lfunc_end144:
	.size	_ZN7rocprim6detail16transform_kernelINS0_24wrapped_transform_configINS_14default_configEdEEdPdS5_NS_8identityIdEEEEvT1_mT2_T3_, .Lfunc_end144-_ZN7rocprim6detail16transform_kernelINS0_24wrapped_transform_configINS_14default_configEdEEdPdS5_NS_8identityIdEEEEvT1_mT2_T3_
                                        ; -- End function
	.section	.AMDGPU.csdata,"",@progbits
; Kernel info:
; codeLenInByte = 660
; NumSgprs: 20
; NumVgprs: 18
; NumAgprs: 0
; TotalNumVgprs: 18
; ScratchSize: 0
; MemoryBound: 1
; FloatMode: 240
; IeeeMode: 1
; LDSByteSize: 0 bytes/workgroup (compile time only)
; SGPRBlocks: 2
; VGPRBlocks: 2
; NumSGPRsForWavesPerEU: 20
; NumVGPRsForWavesPerEU: 18
; AccumOffset: 20
; Occupancy: 8
; WaveLimiterHint : 1
; COMPUTE_PGM_RSRC2:SCRATCH_EN: 0
; COMPUTE_PGM_RSRC2:USER_SGPR: 2
; COMPUTE_PGM_RSRC2:TRAP_HANDLER: 0
; COMPUTE_PGM_RSRC2:TGID_X_EN: 1
; COMPUTE_PGM_RSRC2:TGID_Y_EN: 0
; COMPUTE_PGM_RSRC2:TGID_Z_EN: 0
; COMPUTE_PGM_RSRC2:TIDIG_COMP_CNT: 0
; COMPUTE_PGM_RSRC3_GFX90A:ACCUM_OFFSET: 4
; COMPUTE_PGM_RSRC3_GFX90A:TG_SPLIT: 0
	.section	.text._ZN7rocprim6detail18single_scan_kernelILb1ENS0_19wrapped_scan_configINS_14default_configEdEEN6hipcub22TransformInputIteratorIiNS5_6CastOpIiEEPilEEPdNS5_3SumENS_12future_valueIdSB_EEdEEvT1_mT4_T2_T3_,"axG",@progbits,_ZN7rocprim6detail18single_scan_kernelILb1ENS0_19wrapped_scan_configINS_14default_configEdEEN6hipcub22TransformInputIteratorIiNS5_6CastOpIiEEPilEEPdNS5_3SumENS_12future_valueIdSB_EEdEEvT1_mT4_T2_T3_,comdat
	.protected	_ZN7rocprim6detail18single_scan_kernelILb1ENS0_19wrapped_scan_configINS_14default_configEdEEN6hipcub22TransformInputIteratorIiNS5_6CastOpIiEEPilEEPdNS5_3SumENS_12future_valueIdSB_EEdEEvT1_mT4_T2_T3_ ; -- Begin function _ZN7rocprim6detail18single_scan_kernelILb1ENS0_19wrapped_scan_configINS_14default_configEdEEN6hipcub22TransformInputIteratorIiNS5_6CastOpIiEEPilEEPdNS5_3SumENS_12future_valueIdSB_EEdEEvT1_mT4_T2_T3_
	.globl	_ZN7rocprim6detail18single_scan_kernelILb1ENS0_19wrapped_scan_configINS_14default_configEdEEN6hipcub22TransformInputIteratorIiNS5_6CastOpIiEEPilEEPdNS5_3SumENS_12future_valueIdSB_EEdEEvT1_mT4_T2_T3_
	.p2align	8
	.type	_ZN7rocprim6detail18single_scan_kernelILb1ENS0_19wrapped_scan_configINS_14default_configEdEEN6hipcub22TransformInputIteratorIiNS5_6CastOpIiEEPilEEPdNS5_3SumENS_12future_valueIdSB_EEdEEvT1_mT4_T2_T3_,@function
_ZN7rocprim6detail18single_scan_kernelILb1ENS0_19wrapped_scan_configINS_14default_configEdEEN6hipcub22TransformInputIteratorIiNS5_6CastOpIiEEPilEEPdNS5_3SumENS_12future_valueIdSB_EEdEEvT1_mT4_T2_T3_: ; @_ZN7rocprim6detail18single_scan_kernelILb1ENS0_19wrapped_scan_configINS_14default_configEdEEN6hipcub22TransformInputIteratorIiNS5_6CastOpIiEEPilEEPdNS5_3SumENS_12future_valueIdSB_EEdEEvT1_mT4_T2_T3_
; %bb.0:
	s_load_dwordx2 s[2:3], s[0:1], 0x0
	s_load_dwordx4 s[36:39], s[0:1], 0x10
	v_mov_b32_e32 v37, 0
	v_lshlrev_b32_e32 v36, 2, v0
	s_waitcnt lgkmcnt(0)
	s_load_dword s4, s[2:3], 0x0
	v_lshl_add_u64 v[38:39], s[2:3], 0, v[36:37]
	v_cmp_gt_u32_e64 s[24:25], s36, v0
	s_waitcnt lgkmcnt(0)
	v_cvt_f64_i32_e32 v[2:3], s4
	v_mov_b32_e32 v4, v2
	v_mov_b32_e32 v5, v3
	;; [unrolled: 1-line block ×26, first 2 shown]
	v_mov_b64_e32 v[34:35], v[30:31]
	v_mov_b64_e32 v[32:33], v[28:29]
	;; [unrolled: 1-line block ×16, first 2 shown]
	s_and_saveexec_b64 s[2:3], s[24:25]
	s_cbranch_execz .LBB145_2
; %bb.1:
	global_load_dword v1, v[38:39], off
	v_mov_b32_e32 v4, v2
	v_mov_b32_e32 v5, v3
	;; [unrolled: 1-line block ×26, first 2 shown]
	s_waitcnt vmcnt(0)
	v_mov_b64_e32 v[34:35], v[30:31]
	v_mov_b64_e32 v[32:33], v[28:29]
	;; [unrolled: 1-line block ×15, first 2 shown]
	v_cvt_f64_i32_e32 v[40:41], v1
	v_mov_b64_e32 v[4:5], v[0:1]
	v_mov_b64_e32 v[2:3], v[40:41]
.LBB145_2:
	s_or_b64 exec, exec, s[2:3]
	v_or_b32_e32 v1, 0x100, v0
	v_cmp_gt_u32_e64 s[2:3], s36, v1
	s_and_saveexec_b64 s[4:5], s[2:3]
	s_cbranch_execz .LBB145_4
; %bb.3:
	global_load_dword v1, v[38:39], off offset:1024
	s_waitcnt vmcnt(0)
	v_cvt_f64_i32_e32 v[6:7], v1
.LBB145_4:
	s_or_b64 exec, exec, s[4:5]
	v_or_b32_e32 v1, 0x200, v0
	v_cmp_gt_u32_e64 s[4:5], s36, v1
	s_and_saveexec_b64 s[6:7], s[4:5]
	s_cbranch_execz .LBB145_6
; %bb.5:
	global_load_dword v1, v[38:39], off offset:2048
	s_waitcnt vmcnt(0)
	v_cvt_f64_i32_e32 v[8:9], v1
.LBB145_6:
	;; [unrolled: 10-line block ×3, first 2 shown]
	s_or_b64 exec, exec, s[8:9]
	v_or_b32_e32 v1, 0x400, v0
	v_cmp_gt_u32_e64 s[8:9], s36, v1
	s_and_saveexec_b64 s[10:11], s[8:9]
	s_cbranch_execz .LBB145_10
; %bb.9:
	v_add_co_u32_e32 v4, vcc, 0x1000, v38
	s_nop 1
	v_addc_co_u32_e32 v5, vcc, 0, v39, vcc
	global_load_dword v1, v[4:5], off
	s_waitcnt vmcnt(0)
	v_cvt_f64_i32_e32 v[12:13], v1
.LBB145_10:
	s_or_b64 exec, exec, s[10:11]
	v_or_b32_e32 v1, 0x500, v0
	v_cmp_gt_u32_e64 s[10:11], s36, v1
	s_and_saveexec_b64 s[12:13], s[10:11]
	s_cbranch_execz .LBB145_12
; %bb.11:
	v_add_co_u32_e32 v4, vcc, 0x1000, v38
	s_nop 1
	v_addc_co_u32_e32 v5, vcc, 0, v39, vcc
	global_load_dword v1, v[4:5], off offset:1024
	s_waitcnt vmcnt(0)
	v_cvt_f64_i32_e32 v[14:15], v1
.LBB145_12:
	s_or_b64 exec, exec, s[12:13]
	v_or_b32_e32 v1, 0x600, v0
	v_cmp_gt_u32_e64 s[12:13], s36, v1
	s_and_saveexec_b64 s[14:15], s[12:13]
	s_cbranch_execz .LBB145_14
; %bb.13:
	v_add_co_u32_e32 v4, vcc, 0x1000, v38
	s_nop 1
	v_addc_co_u32_e32 v5, vcc, 0, v39, vcc
	global_load_dword v1, v[4:5], off offset:2048
	s_waitcnt vmcnt(0)
	v_cvt_f64_i32_e32 v[16:17], v1
.LBB145_14:
	;; [unrolled: 13-line block ×3, first 2 shown]
	s_or_b64 exec, exec, s[16:17]
	v_or_b32_e32 v1, 0x800, v0
	v_cmp_gt_u32_e64 s[16:17], s36, v1
	s_and_saveexec_b64 s[18:19], s[16:17]
	s_cbranch_execz .LBB145_18
; %bb.17:
	v_add_co_u32_e32 v4, vcc, 0x2000, v38
	s_nop 1
	v_addc_co_u32_e32 v5, vcc, 0, v39, vcc
	global_load_dword v1, v[4:5], off
	s_waitcnt vmcnt(0)
	v_cvt_f64_i32_e32 v[20:21], v1
.LBB145_18:
	s_or_b64 exec, exec, s[18:19]
	v_or_b32_e32 v1, 0x900, v0
	v_cmp_gt_u32_e64 s[18:19], s36, v1
	s_and_saveexec_b64 s[20:21], s[18:19]
	s_cbranch_execz .LBB145_20
; %bb.19:
	v_add_co_u32_e32 v4, vcc, 0x2000, v38
	s_nop 1
	v_addc_co_u32_e32 v5, vcc, 0, v39, vcc
	global_load_dword v1, v[4:5], off offset:1024
	s_waitcnt vmcnt(0)
	v_cvt_f64_i32_e32 v[22:23], v1
.LBB145_20:
	s_or_b64 exec, exec, s[20:21]
	v_or_b32_e32 v1, 0xa00, v0
	v_cmp_gt_u32_e64 s[20:21], s36, v1
	s_and_saveexec_b64 s[22:23], s[20:21]
	s_cbranch_execz .LBB145_22
; %bb.21:
	v_add_co_u32_e32 v4, vcc, 0x2000, v38
	s_nop 1
	v_addc_co_u32_e32 v5, vcc, 0, v39, vcc
	global_load_dword v1, v[4:5], off offset:2048
	s_waitcnt vmcnt(0)
	v_cvt_f64_i32_e32 v[24:25], v1
.LBB145_22:
	;; [unrolled: 13-line block ×3, first 2 shown]
	s_or_b64 exec, exec, s[26:27]
	v_or_b32_e32 v1, 0xc00, v0
	v_cmp_gt_u32_e64 s[26:27], s36, v1
	s_and_saveexec_b64 s[28:29], s[26:27]
	s_cbranch_execz .LBB145_26
; %bb.25:
	v_add_co_u32_e32 v4, vcc, 0x3000, v38
	s_nop 1
	v_addc_co_u32_e32 v5, vcc, 0, v39, vcc
	global_load_dword v1, v[4:5], off
	s_waitcnt vmcnt(0)
	v_cvt_f64_i32_e32 v[28:29], v1
.LBB145_26:
	s_or_b64 exec, exec, s[28:29]
	v_or_b32_e32 v1, 0xd00, v0
	v_cmp_gt_u32_e64 s[28:29], s36, v1
	s_and_saveexec_b64 s[30:31], s[28:29]
	s_cbranch_execz .LBB145_28
; %bb.27:
	v_add_co_u32_e32 v4, vcc, 0x3000, v38
	s_nop 1
	v_addc_co_u32_e32 v5, vcc, 0, v39, vcc
	global_load_dword v1, v[4:5], off offset:1024
	s_waitcnt vmcnt(0)
	v_cvt_f64_i32_e32 v[30:31], v1
.LBB145_28:
	s_or_b64 exec, exec, s[30:31]
	s_load_dwordx2 s[30:31], s[0:1], 0x20
	s_load_dwordx2 s[34:35], s[38:39], 0x0
	v_or_b32_e32 v1, 0xe00, v0
	v_cmp_gt_u32_e64 s[0:1], s36, v1
	s_and_saveexec_b64 s[36:37], s[0:1]
	s_cbranch_execz .LBB145_30
; %bb.29:
	v_add_co_u32_e32 v4, vcc, 0x3000, v38
	s_nop 1
	v_addc_co_u32_e32 v5, vcc, 0, v39, vcc
	global_load_dword v1, v[4:5], off offset:2048
	s_waitcnt vmcnt(0)
	v_cvt_f64_i32_e32 v[32:33], v1
.LBB145_30:
	s_or_b64 exec, exec, s[36:37]
	v_lshlrev_b32_e32 v34, 3, v0
	s_movk_i32 s33, 0x70
	v_mad_u32_u24 v1, v0, s33, v34
	ds_write2st64_b64 v34, v[2:3], v[6:7] offset1:4
	ds_write2st64_b64 v34, v[8:9], v[10:11] offset0:8 offset1:12
	ds_write2st64_b64 v34, v[12:13], v[14:15] offset0:16 offset1:20
	;; [unrolled: 1-line block ×6, first 2 shown]
	ds_write_b64 v34, v[32:33] offset:28672
	s_waitcnt lgkmcnt(0)
	s_barrier
	ds_read2_b64 v[2:5], v1 offset1:1
	ds_read2_b64 v[6:9], v1 offset0:2 offset1:3
	ds_read2_b64 v[10:13], v1 offset0:4 offset1:5
	ds_read2_b64 v[14:17], v1 offset0:6 offset1:7
	ds_read2_b64 v[18:21], v1 offset0:8 offset1:9
	ds_read2_b64 v[22:25], v1 offset0:10 offset1:11
	ds_read2_b64 v[26:29], v1 offset0:12 offset1:13
	ds_read_b64 v[30:31], v1 offset:112
	s_waitcnt lgkmcnt(7)
	v_add_f64 v[32:33], v[2:3], v[4:5]
	s_waitcnt lgkmcnt(6)
	v_add_f64 v[32:33], v[32:33], v[6:7]
	v_add_f64 v[32:33], v[32:33], v[8:9]
	s_waitcnt lgkmcnt(5)
	v_add_f64 v[32:33], v[32:33], v[10:11]
	;; [unrolled: 3-line block ×7, first 2 shown]
	v_lshrrev_b32_e32 v32, 2, v0
	v_and_b32_e32 v32, 56, v32
	v_add_u32_e32 v32, v34, v32
	v_cmp_gt_u32_e32 vcc, 64, v0
	s_barrier
	ds_write_b64 v32, v[30:31]
	s_waitcnt lgkmcnt(0)
	s_barrier
	s_and_saveexec_b64 s[36:37], vcc
	s_cbranch_execz .LBB145_32
; %bb.31:
	v_lshrrev_b32_e32 v32, 3, v0
	v_add_lshl_u32 v35, v32, v36, 3
	ds_read2_b64 v[36:39], v35 offset1:1
	ds_read2_b64 v[40:43], v35 offset0:2 offset1:3
	v_mbcnt_lo_u32_b32 v32, -1, 0
	v_mbcnt_hi_u32_b32 v46, -1, v32
	v_and_b32_e32 v47, 15, v46
	s_waitcnt lgkmcnt(1)
	v_add_f64 v[32:33], v[36:37], v[38:39]
	s_waitcnt lgkmcnt(0)
	v_add_f64 v[32:33], v[32:33], v[40:41]
	v_add_f64 v[32:33], v[32:33], v[42:43]
	v_cmp_eq_u32_e32 vcc, 0, v47
	s_nop 0
	v_mov_b32_dpp v44, v32 row_shr:1 row_mask:0xf bank_mask:0xf
	v_mov_b32_dpp v45, v33 row_shr:1 row_mask:0xf bank_mask:0xf
	v_add_f64 v[44:45], v[32:33], v[44:45]
	v_cndmask_b32_e32 v33, v45, v33, vcc
	v_cndmask_b32_e32 v32, v44, v32, vcc
	v_cmp_lt_u32_e32 vcc, 1, v47
	v_mov_b32_dpp v45, v33 row_shr:2 row_mask:0xf bank_mask:0xf
	v_mov_b32_dpp v44, v32 row_shr:2 row_mask:0xf bank_mask:0xf
	v_add_f64 v[44:45], v[32:33], v[44:45]
	v_cndmask_b32_e32 v32, v32, v44, vcc
	v_cndmask_b32_e32 v33, v33, v45, vcc
	v_cmp_lt_u32_e32 vcc, 3, v47
	;; [unrolled: 6-line block ×3, first 2 shown]
	v_mov_b32_dpp v44, v32 row_shr:8 row_mask:0xf bank_mask:0xf
	v_mov_b32_dpp v45, v33 row_shr:8 row_mask:0xf bank_mask:0xf
	v_add_f64 v[44:45], v[32:33], v[44:45]
	v_cndmask_b32_e32 v32, v32, v44, vcc
	v_cndmask_b32_e32 v33, v33, v45, vcc
	v_and_b32_e32 v47, 16, v46
	v_mov_b32_dpp v44, v32 row_bcast:15 row_mask:0xf bank_mask:0xf
	v_mov_b32_dpp v45, v33 row_bcast:15 row_mask:0xf bank_mask:0xf
	v_add_f64 v[44:45], v[32:33], v[44:45]
	v_cmp_eq_u32_e32 vcc, 0, v47
	s_nop 1
	v_cndmask_b32_e32 v33, v45, v33, vcc
	v_cndmask_b32_e32 v32, v44, v32, vcc
	v_cmp_lt_u32_e32 vcc, 31, v46
	v_mov_b32_dpp v45, v33 row_bcast:31 row_mask:0xf bank_mask:0xf
	v_mov_b32_dpp v44, v32 row_bcast:31 row_mask:0xf bank_mask:0xf
	v_add_f64 v[44:45], v[32:33], v[44:45]
	v_cndmask_b32_e32 v33, v33, v45, vcc
	v_cndmask_b32_e32 v32, v32, v44, vcc
	v_add_u32_e32 v44, -1, v46
	v_and_b32_e32 v45, 64, v46
	v_cmp_lt_i32_e32 vcc, v44, v45
	s_nop 1
	v_cndmask_b32_e32 v44, v44, v46, vcc
	v_lshlrev_b32_e32 v44, 2, v44
	ds_bpermute_b32 v32, v44, v32
	ds_bpermute_b32 v33, v44, v33
	v_cmp_eq_u32_e32 vcc, 0, v0
	s_waitcnt lgkmcnt(0)
	v_add_f64 v[32:33], v[36:37], v[32:33]
	v_cndmask_b32_e32 v31, v33, v31, vcc
	v_cndmask_b32_e32 v30, v32, v30, vcc
	v_add_f64 v[32:33], v[38:39], v[30:31]
	ds_write2_b64 v35, v[30:31], v[32:33] offset1:1
	v_add_f64 v[30:31], v[40:41], v[32:33]
	v_add_f64 v[32:33], v[42:43], v[30:31]
	ds_write2_b64 v35, v[30:31], v[32:33] offset0:2 offset1:3
.LBB145_32:
	s_or_b64 exec, exec, s[36:37]
	v_cmp_ne_u32_e32 vcc, 0, v0
	v_mov_b64_e32 v[30:31], s[34:35]
	s_waitcnt lgkmcnt(0)
	s_barrier
	s_and_saveexec_b64 s[36:37], vcc
	s_cbranch_execz .LBB145_34
; %bb.33:
	v_add_u32_e32 v30, -1, v0
	v_lshrrev_b32_e32 v31, 5, v30
	v_add_lshl_u32 v30, v31, v30, 3
	ds_read_b64 v[30:31], v30
	s_waitcnt lgkmcnt(0)
	v_add_f64 v[30:31], s[34:35], v[30:31]
.LBB145_34:
	s_or_b64 exec, exec, s[36:37]
	v_add_f64 v[2:3], v[2:3], v[30:31]
	v_add_f64 v[4:5], v[4:5], v[2:3]
	;; [unrolled: 1-line block ×13, first 2 shown]
	s_movk_i32 s33, 0xff90
	v_add_f64 v[28:29], v[28:29], v[26:27]
	s_barrier
	ds_write2_b64 v1, v[30:31], v[2:3] offset1:1
	ds_write2_b64 v1, v[4:5], v[6:7] offset0:2 offset1:3
	ds_write2_b64 v1, v[8:9], v[10:11] offset0:4 offset1:5
	;; [unrolled: 1-line block ×6, first 2 shown]
	ds_write_b64 v1, v[28:29] offset:112
	v_mad_i32_i24 v24, v0, s33, v1
	s_waitcnt lgkmcnt(0)
	s_barrier
	ds_read2st64_b64 v[20:23], v24 offset0:4 offset1:8
	ds_read2st64_b64 v[16:19], v24 offset0:12 offset1:20
	;; [unrolled: 1-line block ×6, first 2 shown]
	ds_read_b64 v[28:29], v34 offset:24576
	ds_read_b64 v[24:25], v24 offset:28672
	v_mov_b32_e32 v35, 0
	v_lshl_add_u64 v[26:27], s[30:31], 0, v[34:35]
	s_and_saveexec_b64 s[30:31], s[24:25]
	s_cbranch_execnz .LBB145_50
; %bb.35:
	s_or_b64 exec, exec, s[30:31]
	s_and_saveexec_b64 s[24:25], s[2:3]
	s_cbranch_execnz .LBB145_51
.LBB145_36:
	s_or_b64 exec, exec, s[24:25]
	s_and_saveexec_b64 s[2:3], s[4:5]
	s_cbranch_execnz .LBB145_52
.LBB145_37:
	s_or_b64 exec, exec, s[2:3]
	s_and_saveexec_b64 s[2:3], s[6:7]
	s_cbranch_execnz .LBB145_53
.LBB145_38:
	s_or_b64 exec, exec, s[2:3]
	s_and_saveexec_b64 s[2:3], s[8:9]
	s_cbranch_execnz .LBB145_54
.LBB145_39:
	s_or_b64 exec, exec, s[2:3]
	s_and_saveexec_b64 s[2:3], s[10:11]
	s_cbranch_execnz .LBB145_55
.LBB145_40:
	s_or_b64 exec, exec, s[2:3]
	s_and_saveexec_b64 s[2:3], s[12:13]
	s_cbranch_execnz .LBB145_56
.LBB145_41:
	s_or_b64 exec, exec, s[2:3]
	s_and_saveexec_b64 s[2:3], s[14:15]
	s_cbranch_execnz .LBB145_57
.LBB145_42:
	s_or_b64 exec, exec, s[2:3]
	s_and_saveexec_b64 s[2:3], s[16:17]
	s_cbranch_execnz .LBB145_58
.LBB145_43:
	s_or_b64 exec, exec, s[2:3]
	s_and_saveexec_b64 s[2:3], s[18:19]
	s_cbranch_execnz .LBB145_59
.LBB145_44:
	s_or_b64 exec, exec, s[2:3]
	s_and_saveexec_b64 s[2:3], s[20:21]
	s_cbranch_execnz .LBB145_60
.LBB145_45:
	s_or_b64 exec, exec, s[2:3]
	s_and_saveexec_b64 s[2:3], s[22:23]
	s_cbranch_execnz .LBB145_61
.LBB145_46:
	s_or_b64 exec, exec, s[2:3]
	s_and_saveexec_b64 s[2:3], s[26:27]
	s_cbranch_execnz .LBB145_62
.LBB145_47:
	s_or_b64 exec, exec, s[2:3]
	s_and_saveexec_b64 s[2:3], s[28:29]
	s_cbranch_execnz .LBB145_63
.LBB145_48:
	s_or_b64 exec, exec, s[2:3]
	s_and_saveexec_b64 s[2:3], s[0:1]
	s_cbranch_execnz .LBB145_64
.LBB145_49:
	s_endpgm
.LBB145_50:
	ds_read_b64 v[30:31], v34
	s_waitcnt lgkmcnt(0)
	global_store_dwordx2 v[26:27], v[30:31], off
	s_or_b64 exec, exec, s[30:31]
	s_and_saveexec_b64 s[24:25], s[2:3]
	s_cbranch_execz .LBB145_36
.LBB145_51:
	s_waitcnt lgkmcnt(7)
	global_store_dwordx2 v[26:27], v[20:21], off offset:2048
	s_or_b64 exec, exec, s[24:25]
	s_and_saveexec_b64 s[2:3], s[4:5]
	s_cbranch_execz .LBB145_37
.LBB145_52:
	s_waitcnt lgkmcnt(7)
	v_add_co_u32_e32 v20, vcc, 0x1000, v26
	s_nop 1
	v_addc_co_u32_e32 v21, vcc, 0, v27, vcc
	global_store_dwordx2 v[20:21], v[22:23], off
	s_or_b64 exec, exec, s[2:3]
	s_and_saveexec_b64 s[2:3], s[6:7]
	s_cbranch_execz .LBB145_38
.LBB145_53:
	s_waitcnt lgkmcnt(7)
	v_add_co_u32_e32 v20, vcc, 0x1000, v26
	s_nop 1
	v_addc_co_u32_e32 v21, vcc, 0, v27, vcc
	s_waitcnt lgkmcnt(6)
	global_store_dwordx2 v[20:21], v[16:17], off offset:2048
	s_or_b64 exec, exec, s[2:3]
	s_and_saveexec_b64 s[2:3], s[8:9]
	s_cbranch_execz .LBB145_39
.LBB145_54:
	s_waitcnt lgkmcnt(6)
	v_add_co_u32_e32 v16, vcc, 0x2000, v26
	s_nop 1
	v_addc_co_u32_e32 v17, vcc, 0, v27, vcc
	s_waitcnt lgkmcnt(5)
	global_store_dwordx2 v[16:17], v[8:9], off
	s_or_b64 exec, exec, s[2:3]
	s_and_saveexec_b64 s[2:3], s[10:11]
	s_cbranch_execz .LBB145_40
.LBB145_55:
	s_waitcnt lgkmcnt(5)
	v_add_co_u32_e32 v8, vcc, 0x2000, v26
	s_nop 1
	v_addc_co_u32_e32 v9, vcc, 0, v27, vcc
	global_store_dwordx2 v[8:9], v[18:19], off offset:2048
	s_or_b64 exec, exec, s[2:3]
	s_and_saveexec_b64 s[2:3], s[12:13]
	s_cbranch_execz .LBB145_41
.LBB145_56:
	s_waitcnt lgkmcnt(5)
	v_add_co_u32_e32 v8, vcc, 0x3000, v26
	s_nop 1
	v_addc_co_u32_e32 v9, vcc, 0, v27, vcc
	s_waitcnt lgkmcnt(4)
	global_store_dwordx2 v[8:9], v[12:13], off
	s_or_b64 exec, exec, s[2:3]
	s_and_saveexec_b64 s[2:3], s[14:15]
	s_cbranch_execz .LBB145_42
.LBB145_57:
	s_waitcnt lgkmcnt(5)
	v_add_co_u32_e32 v8, vcc, 0x3000, v26
	s_nop 1
	v_addc_co_u32_e32 v9, vcc, 0, v27, vcc
	s_waitcnt lgkmcnt(4)
	global_store_dwordx2 v[8:9], v[14:15], off offset:2048
	s_or_b64 exec, exec, s[2:3]
	s_and_saveexec_b64 s[2:3], s[16:17]
	s_cbranch_execz .LBB145_43
.LBB145_58:
	s_waitcnt lgkmcnt(5)
	v_add_co_u32_e32 v8, vcc, 0x4000, v26
	s_nop 1
	v_addc_co_u32_e32 v9, vcc, 0, v27, vcc
	global_store_dwordx2 v[8:9], v[10:11], off
	s_or_b64 exec, exec, s[2:3]
	s_and_saveexec_b64 s[2:3], s[18:19]
	s_cbranch_execz .LBB145_44
.LBB145_59:
	s_waitcnt lgkmcnt(5)
	v_add_co_u32_e32 v8, vcc, 0x4000, v26
	s_nop 1
	v_addc_co_u32_e32 v9, vcc, 0, v27, vcc
	s_waitcnt lgkmcnt(3)
	global_store_dwordx2 v[8:9], v[4:5], off offset:2048
	s_or_b64 exec, exec, s[2:3]
	s_and_saveexec_b64 s[2:3], s[20:21]
	s_cbranch_execz .LBB145_45
.LBB145_60:
	s_waitcnt lgkmcnt(3)
	v_add_co_u32_e32 v4, vcc, 0x5000, v26
	s_nop 1
	v_addc_co_u32_e32 v5, vcc, 0, v27, vcc
	global_store_dwordx2 v[4:5], v[6:7], off
	s_or_b64 exec, exec, s[2:3]
	s_and_saveexec_b64 s[2:3], s[22:23]
	s_cbranch_execz .LBB145_46
.LBB145_61:
	s_waitcnt lgkmcnt(3)
	v_add_co_u32_e32 v4, vcc, 0x5000, v26
	s_nop 1
	v_addc_co_u32_e32 v5, vcc, 0, v27, vcc
	s_waitcnt lgkmcnt(2)
	global_store_dwordx2 v[4:5], v[0:1], off offset:2048
	s_or_b64 exec, exec, s[2:3]
	s_and_saveexec_b64 s[2:3], s[26:27]
	s_cbranch_execz .LBB145_47
.LBB145_62:
	s_waitcnt lgkmcnt(2)
	v_add_co_u32_e32 v0, vcc, 0x6000, v26
	s_nop 1
	v_addc_co_u32_e32 v1, vcc, 0, v27, vcc
	s_waitcnt lgkmcnt(1)
	global_store_dwordx2 v[0:1], v[28:29], off
	s_or_b64 exec, exec, s[2:3]
	s_and_saveexec_b64 s[2:3], s[28:29]
	s_cbranch_execz .LBB145_48
.LBB145_63:
	s_waitcnt lgkmcnt(2)
	v_add_co_u32_e32 v0, vcc, 0x6000, v26
	s_nop 1
	v_addc_co_u32_e32 v1, vcc, 0, v27, vcc
	global_store_dwordx2 v[0:1], v[2:3], off offset:2048
	s_or_b64 exec, exec, s[2:3]
	s_and_saveexec_b64 s[2:3], s[0:1]
	s_cbranch_execz .LBB145_49
.LBB145_64:
	s_waitcnt lgkmcnt(2)
	v_add_co_u32_e32 v0, vcc, 0x7000, v26
	s_nop 1
	v_addc_co_u32_e32 v1, vcc, 0, v27, vcc
	s_waitcnt lgkmcnt(0)
	global_store_dwordx2 v[0:1], v[24:25], off
	s_endpgm
	.section	.rodata,"a",@progbits
	.p2align	6, 0x0
	.amdhsa_kernel _ZN7rocprim6detail18single_scan_kernelILb1ENS0_19wrapped_scan_configINS_14default_configEdEEN6hipcub22TransformInputIteratorIiNS5_6CastOpIiEEPilEEPdNS5_3SumENS_12future_valueIdSB_EEdEEvT1_mT4_T2_T3_
		.amdhsa_group_segment_fixed_size 30720
		.amdhsa_private_segment_fixed_size 0
		.amdhsa_kernarg_size 44
		.amdhsa_user_sgpr_count 2
		.amdhsa_user_sgpr_dispatch_ptr 0
		.amdhsa_user_sgpr_queue_ptr 0
		.amdhsa_user_sgpr_kernarg_segment_ptr 1
		.amdhsa_user_sgpr_dispatch_id 0
		.amdhsa_user_sgpr_kernarg_preload_length 0
		.amdhsa_user_sgpr_kernarg_preload_offset 0
		.amdhsa_user_sgpr_private_segment_size 0
		.amdhsa_uses_dynamic_stack 0
		.amdhsa_enable_private_segment 0
		.amdhsa_system_sgpr_workgroup_id_x 1
		.amdhsa_system_sgpr_workgroup_id_y 0
		.amdhsa_system_sgpr_workgroup_id_z 0
		.amdhsa_system_sgpr_workgroup_info 0
		.amdhsa_system_vgpr_workitem_id 0
		.amdhsa_next_free_vgpr 48
		.amdhsa_next_free_sgpr 40
		.amdhsa_accum_offset 48
		.amdhsa_reserve_vcc 1
		.amdhsa_float_round_mode_32 0
		.amdhsa_float_round_mode_16_64 0
		.amdhsa_float_denorm_mode_32 3
		.amdhsa_float_denorm_mode_16_64 3
		.amdhsa_dx10_clamp 1
		.amdhsa_ieee_mode 1
		.amdhsa_fp16_overflow 0
		.amdhsa_tg_split 0
		.amdhsa_exception_fp_ieee_invalid_op 0
		.amdhsa_exception_fp_denorm_src 0
		.amdhsa_exception_fp_ieee_div_zero 0
		.amdhsa_exception_fp_ieee_overflow 0
		.amdhsa_exception_fp_ieee_underflow 0
		.amdhsa_exception_fp_ieee_inexact 0
		.amdhsa_exception_int_div_zero 0
	.end_amdhsa_kernel
	.section	.text._ZN7rocprim6detail18single_scan_kernelILb1ENS0_19wrapped_scan_configINS_14default_configEdEEN6hipcub22TransformInputIteratorIiNS5_6CastOpIiEEPilEEPdNS5_3SumENS_12future_valueIdSB_EEdEEvT1_mT4_T2_T3_,"axG",@progbits,_ZN7rocprim6detail18single_scan_kernelILb1ENS0_19wrapped_scan_configINS_14default_configEdEEN6hipcub22TransformInputIteratorIiNS5_6CastOpIiEEPilEEPdNS5_3SumENS_12future_valueIdSB_EEdEEvT1_mT4_T2_T3_,comdat
.Lfunc_end145:
	.size	_ZN7rocprim6detail18single_scan_kernelILb1ENS0_19wrapped_scan_configINS_14default_configEdEEN6hipcub22TransformInputIteratorIiNS5_6CastOpIiEEPilEEPdNS5_3SumENS_12future_valueIdSB_EEdEEvT1_mT4_T2_T3_, .Lfunc_end145-_ZN7rocprim6detail18single_scan_kernelILb1ENS0_19wrapped_scan_configINS_14default_configEdEEN6hipcub22TransformInputIteratorIiNS5_6CastOpIiEEPilEEPdNS5_3SumENS_12future_valueIdSB_EEdEEvT1_mT4_T2_T3_
                                        ; -- End function
	.section	.AMDGPU.csdata,"",@progbits
; Kernel info:
; codeLenInByte = 3112
; NumSgprs: 46
; NumVgprs: 48
; NumAgprs: 0
; TotalNumVgprs: 48
; ScratchSize: 0
; MemoryBound: 0
; FloatMode: 240
; IeeeMode: 1
; LDSByteSize: 30720 bytes/workgroup (compile time only)
; SGPRBlocks: 5
; VGPRBlocks: 5
; NumSGPRsForWavesPerEU: 46
; NumVGPRsForWavesPerEU: 48
; AccumOffset: 48
; Occupancy: 2
; WaveLimiterHint : 0
; COMPUTE_PGM_RSRC2:SCRATCH_EN: 0
; COMPUTE_PGM_RSRC2:USER_SGPR: 2
; COMPUTE_PGM_RSRC2:TRAP_HANDLER: 0
; COMPUTE_PGM_RSRC2:TGID_X_EN: 1
; COMPUTE_PGM_RSRC2:TGID_Y_EN: 0
; COMPUTE_PGM_RSRC2:TGID_Z_EN: 0
; COMPUTE_PGM_RSRC2:TIDIG_COMP_CNT: 0
; COMPUTE_PGM_RSRC3_GFX90A:ACCUM_OFFSET: 11
; COMPUTE_PGM_RSRC3_GFX90A:TG_SPLIT: 0
	.section	.text._ZL18fill_initial_valueIdEvPT_S0_,"axG",@progbits,_ZL18fill_initial_valueIdEvPT_S0_,comdat
	.globl	_ZL18fill_initial_valueIdEvPT_S0_ ; -- Begin function _ZL18fill_initial_valueIdEvPT_S0_
	.p2align	8
	.type	_ZL18fill_initial_valueIdEvPT_S0_,@function
_ZL18fill_initial_valueIdEvPT_S0_:      ; @_ZL18fill_initial_valueIdEvPT_S0_
; %bb.0:
	s_load_dwordx4 s[0:3], s[0:1], 0x0
	v_mov_b32_e32 v2, 0
	s_waitcnt lgkmcnt(0)
	v_mov_b32_e32 v0, s2
	v_mov_b32_e32 v1, s3
	global_store_dwordx2 v2, v[0:1], s[0:1]
	s_endpgm
	.section	.rodata,"a",@progbits
	.p2align	6, 0x0
	.amdhsa_kernel _ZL18fill_initial_valueIdEvPT_S0_
		.amdhsa_group_segment_fixed_size 0
		.amdhsa_private_segment_fixed_size 0
		.amdhsa_kernarg_size 16
		.amdhsa_user_sgpr_count 2
		.amdhsa_user_sgpr_dispatch_ptr 0
		.amdhsa_user_sgpr_queue_ptr 0
		.amdhsa_user_sgpr_kernarg_segment_ptr 1
		.amdhsa_user_sgpr_dispatch_id 0
		.amdhsa_user_sgpr_kernarg_preload_length 0
		.amdhsa_user_sgpr_kernarg_preload_offset 0
		.amdhsa_user_sgpr_private_segment_size 0
		.amdhsa_uses_dynamic_stack 0
		.amdhsa_enable_private_segment 0
		.amdhsa_system_sgpr_workgroup_id_x 1
		.amdhsa_system_sgpr_workgroup_id_y 0
		.amdhsa_system_sgpr_workgroup_id_z 0
		.amdhsa_system_sgpr_workgroup_info 0
		.amdhsa_system_vgpr_workitem_id 0
		.amdhsa_next_free_vgpr 3
		.amdhsa_next_free_sgpr 4
		.amdhsa_accum_offset 4
		.amdhsa_reserve_vcc 0
		.amdhsa_float_round_mode_32 0
		.amdhsa_float_round_mode_16_64 0
		.amdhsa_float_denorm_mode_32 3
		.amdhsa_float_denorm_mode_16_64 3
		.amdhsa_dx10_clamp 1
		.amdhsa_ieee_mode 1
		.amdhsa_fp16_overflow 0
		.amdhsa_tg_split 0
		.amdhsa_exception_fp_ieee_invalid_op 0
		.amdhsa_exception_fp_denorm_src 0
		.amdhsa_exception_fp_ieee_div_zero 0
		.amdhsa_exception_fp_ieee_overflow 0
		.amdhsa_exception_fp_ieee_underflow 0
		.amdhsa_exception_fp_ieee_inexact 0
		.amdhsa_exception_int_div_zero 0
	.end_amdhsa_kernel
	.section	.text._ZL18fill_initial_valueIdEvPT_S0_,"axG",@progbits,_ZL18fill_initial_valueIdEvPT_S0_,comdat
.Lfunc_end146:
	.size	_ZL18fill_initial_valueIdEvPT_S0_, .Lfunc_end146-_ZL18fill_initial_valueIdEvPT_S0_
                                        ; -- End function
	.section	.AMDGPU.csdata,"",@progbits
; Kernel info:
; codeLenInByte = 36
; NumSgprs: 10
; NumVgprs: 3
; NumAgprs: 0
; TotalNumVgprs: 3
; ScratchSize: 0
; MemoryBound: 0
; FloatMode: 240
; IeeeMode: 1
; LDSByteSize: 0 bytes/workgroup (compile time only)
; SGPRBlocks: 1
; VGPRBlocks: 0
; NumSGPRsForWavesPerEU: 10
; NumVGPRsForWavesPerEU: 3
; AccumOffset: 4
; Occupancy: 8
; WaveLimiterHint : 0
; COMPUTE_PGM_RSRC2:SCRATCH_EN: 0
; COMPUTE_PGM_RSRC2:USER_SGPR: 2
; COMPUTE_PGM_RSRC2:TRAP_HANDLER: 0
; COMPUTE_PGM_RSRC2:TGID_X_EN: 1
; COMPUTE_PGM_RSRC2:TGID_Y_EN: 0
; COMPUTE_PGM_RSRC2:TGID_Z_EN: 0
; COMPUTE_PGM_RSRC2:TIDIG_COMP_CNT: 0
; COMPUTE_PGM_RSRC3_GFX90A:ACCUM_OFFSET: 0
; COMPUTE_PGM_RSRC3_GFX90A:TG_SPLIT: 0
	.section	.text._ZN7rocprim6detail31init_lookback_scan_state_kernelINS0_19lookback_scan_stateIfLb1ELb1EEEEEvT_jjPNS4_10value_typeE,"axG",@progbits,_ZN7rocprim6detail31init_lookback_scan_state_kernelINS0_19lookback_scan_stateIfLb1ELb1EEEEEvT_jjPNS4_10value_typeE,comdat
	.protected	_ZN7rocprim6detail31init_lookback_scan_state_kernelINS0_19lookback_scan_stateIfLb1ELb1EEEEEvT_jjPNS4_10value_typeE ; -- Begin function _ZN7rocprim6detail31init_lookback_scan_state_kernelINS0_19lookback_scan_stateIfLb1ELb1EEEEEvT_jjPNS4_10value_typeE
	.globl	_ZN7rocprim6detail31init_lookback_scan_state_kernelINS0_19lookback_scan_stateIfLb1ELb1EEEEEvT_jjPNS4_10value_typeE
	.p2align	8
	.type	_ZN7rocprim6detail31init_lookback_scan_state_kernelINS0_19lookback_scan_stateIfLb1ELb1EEEEEvT_jjPNS4_10value_typeE,@function
_ZN7rocprim6detail31init_lookback_scan_state_kernelINS0_19lookback_scan_stateIfLb1ELb1EEEEEvT_jjPNS4_10value_typeE: ; @_ZN7rocprim6detail31init_lookback_scan_state_kernelINS0_19lookback_scan_stateIfLb1ELb1EEEEEvT_jjPNS4_10value_typeE
; %bb.0:
	s_load_dword s3, s[0:1], 0x24
	s_load_dwordx2 s[8:9], s[0:1], 0x10
	s_load_dwordx4 s[4:7], s[0:1], 0x0
	s_waitcnt lgkmcnt(0)
	s_and_b32 s0, s3, 0xffff
	s_mul_i32 s2, s2, s0
	s_cmp_eq_u64 s[8:9], 0
	v_add_u32_e32 v0, s2, v0
	s_cbranch_scc1 .LBB147_9
; %bb.1:
	s_cmp_lt_u32 s7, s6
	s_cselect_b32 s0, s7, 0
	s_mov_b32 s3, 0
	v_cmp_eq_u32_e32 vcc, s0, v0
	s_and_saveexec_b64 s[0:1], vcc
	s_cbranch_execz .LBB147_8
; %bb.2:
	s_add_i32 s2, s7, 64
	s_lshl_b64 s[2:3], s[2:3], 3
	s_add_u32 s2, s4, s2
	s_addc_u32 s3, s5, s3
	v_mov_b32_e32 v2, 0
	global_load_dwordx2 v[4:5], v2, s[2:3] sc1
	s_waitcnt vmcnt(0)
	v_and_b32_e32 v3, 0xff, v5
	v_cmp_ne_u64_e32 vcc, 0, v[2:3]
	s_cbranch_vccnz .LBB147_7
; %bb.3:
	s_mov_b32 s7, 1
.LBB147_4:                              ; =>This Loop Header: Depth=1
                                        ;     Child Loop BB147_5 Depth 2
	s_max_u32 s10, s7, 1
.LBB147_5:                              ;   Parent Loop BB147_4 Depth=1
                                        ; =>  This Inner Loop Header: Depth=2
	s_add_i32 s10, s10, -1
	s_cmp_eq_u32 s10, 0
	s_sleep 1
	s_cbranch_scc0 .LBB147_5
; %bb.6:                                ;   in Loop: Header=BB147_4 Depth=1
	global_load_dwordx2 v[4:5], v2, s[2:3] sc1
	s_cmp_lt_u32 s7, 32
	s_cselect_b64 s[10:11], -1, 0
	s_cmp_lg_u64 s[10:11], 0
	s_addc_u32 s7, s7, 0
	s_waitcnt vmcnt(0)
	v_and_b32_e32 v3, 0xff, v5
	v_cmp_ne_u64_e32 vcc, 0, v[2:3]
	s_cbranch_vccz .LBB147_4
.LBB147_7:
	v_mov_b32_e32 v1, 0
	global_store_dword v1, v4, s[8:9]
.LBB147_8:
	s_or_b64 exec, exec, s[0:1]
.LBB147_9:
	v_cmp_gt_u32_e32 vcc, s6, v0
	s_and_saveexec_b64 s[0:1], vcc
	s_cbranch_execnz .LBB147_12
; %bb.10:
	s_or_b64 exec, exec, s[0:1]
	v_cmp_gt_u32_e32 vcc, 64, v0
	s_and_saveexec_b64 s[0:1], vcc
	s_cbranch_execnz .LBB147_13
.LBB147_11:
	s_endpgm
.LBB147_12:
	v_add_u32_e32 v2, 64, v0
	v_mov_b32_e32 v3, 0
	v_lshl_add_u64 v[4:5], v[2:3], 3, s[4:5]
	v_mov_b32_e32 v2, v3
	global_store_dwordx2 v[4:5], v[2:3], off
	s_or_b64 exec, exec, s[0:1]
	v_cmp_gt_u32_e32 vcc, 64, v0
	s_and_saveexec_b64 s[0:1], vcc
	s_cbranch_execz .LBB147_11
.LBB147_13:
	v_mov_b32_e32 v1, 0
	v_lshl_add_u64 v[2:3], v[0:1], 3, s[4:5]
	v_mov_b32_e32 v5, 0xff
	v_mov_b32_e32 v4, v1
	global_store_dwordx2 v[2:3], v[4:5], off
	s_endpgm
	.section	.rodata,"a",@progbits
	.p2align	6, 0x0
	.amdhsa_kernel _ZN7rocprim6detail31init_lookback_scan_state_kernelINS0_19lookback_scan_stateIfLb1ELb1EEEEEvT_jjPNS4_10value_typeE
		.amdhsa_group_segment_fixed_size 0
		.amdhsa_private_segment_fixed_size 0
		.amdhsa_kernarg_size 280
		.amdhsa_user_sgpr_count 2
		.amdhsa_user_sgpr_dispatch_ptr 0
		.amdhsa_user_sgpr_queue_ptr 0
		.amdhsa_user_sgpr_kernarg_segment_ptr 1
		.amdhsa_user_sgpr_dispatch_id 0
		.amdhsa_user_sgpr_kernarg_preload_length 0
		.amdhsa_user_sgpr_kernarg_preload_offset 0
		.amdhsa_user_sgpr_private_segment_size 0
		.amdhsa_uses_dynamic_stack 0
		.amdhsa_enable_private_segment 0
		.amdhsa_system_sgpr_workgroup_id_x 1
		.amdhsa_system_sgpr_workgroup_id_y 0
		.amdhsa_system_sgpr_workgroup_id_z 0
		.amdhsa_system_sgpr_workgroup_info 0
		.amdhsa_system_vgpr_workitem_id 0
		.amdhsa_next_free_vgpr 6
		.amdhsa_next_free_sgpr 12
		.amdhsa_accum_offset 8
		.amdhsa_reserve_vcc 1
		.amdhsa_float_round_mode_32 0
		.amdhsa_float_round_mode_16_64 0
		.amdhsa_float_denorm_mode_32 3
		.amdhsa_float_denorm_mode_16_64 3
		.amdhsa_dx10_clamp 1
		.amdhsa_ieee_mode 1
		.amdhsa_fp16_overflow 0
		.amdhsa_tg_split 0
		.amdhsa_exception_fp_ieee_invalid_op 0
		.amdhsa_exception_fp_denorm_src 0
		.amdhsa_exception_fp_ieee_div_zero 0
		.amdhsa_exception_fp_ieee_overflow 0
		.amdhsa_exception_fp_ieee_underflow 0
		.amdhsa_exception_fp_ieee_inexact 0
		.amdhsa_exception_int_div_zero 0
	.end_amdhsa_kernel
	.section	.text._ZN7rocprim6detail31init_lookback_scan_state_kernelINS0_19lookback_scan_stateIfLb1ELb1EEEEEvT_jjPNS4_10value_typeE,"axG",@progbits,_ZN7rocprim6detail31init_lookback_scan_state_kernelINS0_19lookback_scan_stateIfLb1ELb1EEEEEvT_jjPNS4_10value_typeE,comdat
.Lfunc_end147:
	.size	_ZN7rocprim6detail31init_lookback_scan_state_kernelINS0_19lookback_scan_stateIfLb1ELb1EEEEEvT_jjPNS4_10value_typeE, .Lfunc_end147-_ZN7rocprim6detail31init_lookback_scan_state_kernelINS0_19lookback_scan_stateIfLb1ELb1EEEEEvT_jjPNS4_10value_typeE
                                        ; -- End function
	.section	.AMDGPU.csdata,"",@progbits
; Kernel info:
; codeLenInByte = 320
; NumSgprs: 18
; NumVgprs: 6
; NumAgprs: 0
; TotalNumVgprs: 6
; ScratchSize: 0
; MemoryBound: 0
; FloatMode: 240
; IeeeMode: 1
; LDSByteSize: 0 bytes/workgroup (compile time only)
; SGPRBlocks: 2
; VGPRBlocks: 0
; NumSGPRsForWavesPerEU: 18
; NumVGPRsForWavesPerEU: 6
; AccumOffset: 8
; Occupancy: 8
; WaveLimiterHint : 0
; COMPUTE_PGM_RSRC2:SCRATCH_EN: 0
; COMPUTE_PGM_RSRC2:USER_SGPR: 2
; COMPUTE_PGM_RSRC2:TRAP_HANDLER: 0
; COMPUTE_PGM_RSRC2:TGID_X_EN: 1
; COMPUTE_PGM_RSRC2:TGID_Y_EN: 0
; COMPUTE_PGM_RSRC2:TGID_Z_EN: 0
; COMPUTE_PGM_RSRC2:TIDIG_COMP_CNT: 0
; COMPUTE_PGM_RSRC3_GFX90A:ACCUM_OFFSET: 1
; COMPUTE_PGM_RSRC3_GFX90A:TG_SPLIT: 0
	.section	.text._ZN7rocprim6detail31init_lookback_scan_state_kernelINS0_19lookback_scan_stateIfLb0ELb1EEEEEvT_jjPNS4_10value_typeE,"axG",@progbits,_ZN7rocprim6detail31init_lookback_scan_state_kernelINS0_19lookback_scan_stateIfLb0ELb1EEEEEvT_jjPNS4_10value_typeE,comdat
	.protected	_ZN7rocprim6detail31init_lookback_scan_state_kernelINS0_19lookback_scan_stateIfLb0ELb1EEEEEvT_jjPNS4_10value_typeE ; -- Begin function _ZN7rocprim6detail31init_lookback_scan_state_kernelINS0_19lookback_scan_stateIfLb0ELb1EEEEEvT_jjPNS4_10value_typeE
	.globl	_ZN7rocprim6detail31init_lookback_scan_state_kernelINS0_19lookback_scan_stateIfLb0ELb1EEEEEvT_jjPNS4_10value_typeE
	.p2align	8
	.type	_ZN7rocprim6detail31init_lookback_scan_state_kernelINS0_19lookback_scan_stateIfLb0ELb1EEEEEvT_jjPNS4_10value_typeE,@function
_ZN7rocprim6detail31init_lookback_scan_state_kernelINS0_19lookback_scan_stateIfLb0ELb1EEEEEvT_jjPNS4_10value_typeE: ; @_ZN7rocprim6detail31init_lookback_scan_state_kernelINS0_19lookback_scan_stateIfLb0ELb1EEEEEvT_jjPNS4_10value_typeE
; %bb.0:
	s_load_dword s3, s[0:1], 0x24
	s_load_dwordx2 s[8:9], s[0:1], 0x10
	s_load_dwordx4 s[4:7], s[0:1], 0x0
	s_waitcnt lgkmcnt(0)
	s_and_b32 s0, s3, 0xffff
	s_mul_i32 s2, s2, s0
	s_cmp_eq_u64 s[8:9], 0
	v_add_u32_e32 v0, s2, v0
	s_cbranch_scc1 .LBB148_6
; %bb.1:
	s_cmp_lt_u32 s7, s6
	s_cselect_b32 s0, s7, 0
	s_mov_b32 s3, 0
	v_cmp_eq_u32_e32 vcc, s0, v0
	s_and_saveexec_b64 s[0:1], vcc
	s_cbranch_execz .LBB148_5
; %bb.2:
	s_add_i32 s2, s7, 64
	s_lshl_b64 s[2:3], s[2:3], 3
	s_add_u32 s2, s4, s2
	s_addc_u32 s3, s5, s3
	v_mov_b32_e32 v4, 0
	global_load_dwordx2 v[2:3], v4, s[2:3] sc1
	s_waitcnt vmcnt(0)
	v_and_b32_e32 v5, 0xff, v3
	v_cmp_ne_u64_e32 vcc, 0, v[4:5]
	s_cbranch_vccnz .LBB148_4
.LBB148_3:                              ; =>This Inner Loop Header: Depth=1
	global_load_dwordx2 v[2:3], v4, s[2:3] sc1
	s_waitcnt vmcnt(0)
	v_and_b32_e32 v5, 0xff, v3
	v_cmp_eq_u64_e32 vcc, 0, v[4:5]
	s_cbranch_vccnz .LBB148_3
.LBB148_4:
	v_mov_b32_e32 v1, 0
	global_store_dword v1, v2, s[8:9]
.LBB148_5:
	s_or_b64 exec, exec, s[0:1]
.LBB148_6:
	v_cmp_gt_u32_e32 vcc, s6, v0
	s_and_saveexec_b64 s[0:1], vcc
	s_cbranch_execnz .LBB148_9
; %bb.7:
	s_or_b64 exec, exec, s[0:1]
	v_cmp_gt_u32_e32 vcc, 64, v0
	s_and_saveexec_b64 s[0:1], vcc
	s_cbranch_execnz .LBB148_10
.LBB148_8:
	s_endpgm
.LBB148_9:
	v_add_u32_e32 v2, 64, v0
	v_mov_b32_e32 v3, 0
	v_lshl_add_u64 v[4:5], v[2:3], 3, s[4:5]
	v_mov_b32_e32 v2, v3
	global_store_dwordx2 v[4:5], v[2:3], off
	s_or_b64 exec, exec, s[0:1]
	v_cmp_gt_u32_e32 vcc, 64, v0
	s_and_saveexec_b64 s[0:1], vcc
	s_cbranch_execz .LBB148_8
.LBB148_10:
	v_mov_b32_e32 v1, 0
	v_lshl_add_u64 v[2:3], v[0:1], 3, s[4:5]
	v_mov_b32_e32 v5, 0xff
	v_mov_b32_e32 v4, v1
	global_store_dwordx2 v[2:3], v[4:5], off
	s_endpgm
	.section	.rodata,"a",@progbits
	.p2align	6, 0x0
	.amdhsa_kernel _ZN7rocprim6detail31init_lookback_scan_state_kernelINS0_19lookback_scan_stateIfLb0ELb1EEEEEvT_jjPNS4_10value_typeE
		.amdhsa_group_segment_fixed_size 0
		.amdhsa_private_segment_fixed_size 0
		.amdhsa_kernarg_size 280
		.amdhsa_user_sgpr_count 2
		.amdhsa_user_sgpr_dispatch_ptr 0
		.amdhsa_user_sgpr_queue_ptr 0
		.amdhsa_user_sgpr_kernarg_segment_ptr 1
		.amdhsa_user_sgpr_dispatch_id 0
		.amdhsa_user_sgpr_kernarg_preload_length 0
		.amdhsa_user_sgpr_kernarg_preload_offset 0
		.amdhsa_user_sgpr_private_segment_size 0
		.amdhsa_uses_dynamic_stack 0
		.amdhsa_enable_private_segment 0
		.amdhsa_system_sgpr_workgroup_id_x 1
		.amdhsa_system_sgpr_workgroup_id_y 0
		.amdhsa_system_sgpr_workgroup_id_z 0
		.amdhsa_system_sgpr_workgroup_info 0
		.amdhsa_system_vgpr_workitem_id 0
		.amdhsa_next_free_vgpr 6
		.amdhsa_next_free_sgpr 10
		.amdhsa_accum_offset 8
		.amdhsa_reserve_vcc 1
		.amdhsa_float_round_mode_32 0
		.amdhsa_float_round_mode_16_64 0
		.amdhsa_float_denorm_mode_32 3
		.amdhsa_float_denorm_mode_16_64 3
		.amdhsa_dx10_clamp 1
		.amdhsa_ieee_mode 1
		.amdhsa_fp16_overflow 0
		.amdhsa_tg_split 0
		.amdhsa_exception_fp_ieee_invalid_op 0
		.amdhsa_exception_fp_denorm_src 0
		.amdhsa_exception_fp_ieee_div_zero 0
		.amdhsa_exception_fp_ieee_overflow 0
		.amdhsa_exception_fp_ieee_underflow 0
		.amdhsa_exception_fp_ieee_inexact 0
		.amdhsa_exception_int_div_zero 0
	.end_amdhsa_kernel
	.section	.text._ZN7rocprim6detail31init_lookback_scan_state_kernelINS0_19lookback_scan_stateIfLb0ELb1EEEEEvT_jjPNS4_10value_typeE,"axG",@progbits,_ZN7rocprim6detail31init_lookback_scan_state_kernelINS0_19lookback_scan_stateIfLb0ELb1EEEEEvT_jjPNS4_10value_typeE,comdat
.Lfunc_end148:
	.size	_ZN7rocprim6detail31init_lookback_scan_state_kernelINS0_19lookback_scan_stateIfLb0ELb1EEEEEvT_jjPNS4_10value_typeE, .Lfunc_end148-_ZN7rocprim6detail31init_lookback_scan_state_kernelINS0_19lookback_scan_stateIfLb0ELb1EEEEEvT_jjPNS4_10value_typeE
                                        ; -- End function
	.section	.AMDGPU.csdata,"",@progbits
; Kernel info:
; codeLenInByte = 280
; NumSgprs: 16
; NumVgprs: 6
; NumAgprs: 0
; TotalNumVgprs: 6
; ScratchSize: 0
; MemoryBound: 0
; FloatMode: 240
; IeeeMode: 1
; LDSByteSize: 0 bytes/workgroup (compile time only)
; SGPRBlocks: 1
; VGPRBlocks: 0
; NumSGPRsForWavesPerEU: 16
; NumVGPRsForWavesPerEU: 6
; AccumOffset: 8
; Occupancy: 8
; WaveLimiterHint : 0
; COMPUTE_PGM_RSRC2:SCRATCH_EN: 0
; COMPUTE_PGM_RSRC2:USER_SGPR: 2
; COMPUTE_PGM_RSRC2:TRAP_HANDLER: 0
; COMPUTE_PGM_RSRC2:TGID_X_EN: 1
; COMPUTE_PGM_RSRC2:TGID_Y_EN: 0
; COMPUTE_PGM_RSRC2:TGID_Z_EN: 0
; COMPUTE_PGM_RSRC2:TIDIG_COMP_CNT: 0
; COMPUTE_PGM_RSRC3_GFX90A:ACCUM_OFFSET: 1
; COMPUTE_PGM_RSRC3_GFX90A:TG_SPLIT: 0
	.section	.text._ZN7rocprim6detail20lookback_scan_kernelILNS0_25lookback_scan_determinismE0ELb1ENS0_19wrapped_scan_configINS_14default_configEfEEN6hipcub22TransformInputIteratorIsNS6_6CastOpIsEEPslEEPfNS6_3MaxENS_12future_valueIfSC_EEfNS0_19lookback_scan_stateIfLb1ELb1EEEEEvT2_T3_mT5_T4_T7_jPT6_SO_bb,"axG",@progbits,_ZN7rocprim6detail20lookback_scan_kernelILNS0_25lookback_scan_determinismE0ELb1ENS0_19wrapped_scan_configINS_14default_configEfEEN6hipcub22TransformInputIteratorIsNS6_6CastOpIsEEPslEEPfNS6_3MaxENS_12future_valueIfSC_EEfNS0_19lookback_scan_stateIfLb1ELb1EEEEEvT2_T3_mT5_T4_T7_jPT6_SO_bb,comdat
	.protected	_ZN7rocprim6detail20lookback_scan_kernelILNS0_25lookback_scan_determinismE0ELb1ENS0_19wrapped_scan_configINS_14default_configEfEEN6hipcub22TransformInputIteratorIsNS6_6CastOpIsEEPslEEPfNS6_3MaxENS_12future_valueIfSC_EEfNS0_19lookback_scan_stateIfLb1ELb1EEEEEvT2_T3_mT5_T4_T7_jPT6_SO_bb ; -- Begin function _ZN7rocprim6detail20lookback_scan_kernelILNS0_25lookback_scan_determinismE0ELb1ENS0_19wrapped_scan_configINS_14default_configEfEEN6hipcub22TransformInputIteratorIsNS6_6CastOpIsEEPslEEPfNS6_3MaxENS_12future_valueIfSC_EEfNS0_19lookback_scan_stateIfLb1ELb1EEEEEvT2_T3_mT5_T4_T7_jPT6_SO_bb
	.globl	_ZN7rocprim6detail20lookback_scan_kernelILNS0_25lookback_scan_determinismE0ELb1ENS0_19wrapped_scan_configINS_14default_configEfEEN6hipcub22TransformInputIteratorIsNS6_6CastOpIsEEPslEEPfNS6_3MaxENS_12future_valueIfSC_EEfNS0_19lookback_scan_stateIfLb1ELb1EEEEEvT2_T3_mT5_T4_T7_jPT6_SO_bb
	.p2align	8
	.type	_ZN7rocprim6detail20lookback_scan_kernelILNS0_25lookback_scan_determinismE0ELb1ENS0_19wrapped_scan_configINS_14default_configEfEEN6hipcub22TransformInputIteratorIsNS6_6CastOpIsEEPslEEPfNS6_3MaxENS_12future_valueIfSC_EEfNS0_19lookback_scan_stateIfLb1ELb1EEEEEvT2_T3_mT5_T4_T7_jPT6_SO_bb,@function
_ZN7rocprim6detail20lookback_scan_kernelILNS0_25lookback_scan_determinismE0ELb1ENS0_19wrapped_scan_configINS_14default_configEfEEN6hipcub22TransformInputIteratorIsNS6_6CastOpIsEEPslEEPfNS6_3MaxENS_12future_valueIfSC_EEfNS0_19lookback_scan_stateIfLb1ELb1EEEEEvT2_T3_mT5_T4_T7_jPT6_SO_bb: ; @_ZN7rocprim6detail20lookback_scan_kernelILNS0_25lookback_scan_determinismE0ELb1ENS0_19wrapped_scan_configINS_14default_configEfEEN6hipcub22TransformInputIteratorIsNS6_6CastOpIsEEPslEEPfNS6_3MaxENS_12future_valueIfSC_EEfNS0_19lookback_scan_stateIfLb1ELb1EEEEEvT2_T3_mT5_T4_T7_jPT6_SO_bb
; %bb.0:
	s_endpgm
	.section	.rodata,"a",@progbits
	.p2align	6, 0x0
	.amdhsa_kernel _ZN7rocprim6detail20lookback_scan_kernelILNS0_25lookback_scan_determinismE0ELb1ENS0_19wrapped_scan_configINS_14default_configEfEEN6hipcub22TransformInputIteratorIsNS6_6CastOpIsEEPslEEPfNS6_3MaxENS_12future_valueIfSC_EEfNS0_19lookback_scan_stateIfLb1ELb1EEEEEvT2_T3_mT5_T4_T7_jPT6_SO_bb
		.amdhsa_group_segment_fixed_size 0
		.amdhsa_private_segment_fixed_size 0
		.amdhsa_kernarg_size 84
		.amdhsa_user_sgpr_count 2
		.amdhsa_user_sgpr_dispatch_ptr 0
		.amdhsa_user_sgpr_queue_ptr 0
		.amdhsa_user_sgpr_kernarg_segment_ptr 1
		.amdhsa_user_sgpr_dispatch_id 0
		.amdhsa_user_sgpr_kernarg_preload_length 0
		.amdhsa_user_sgpr_kernarg_preload_offset 0
		.amdhsa_user_sgpr_private_segment_size 0
		.amdhsa_uses_dynamic_stack 0
		.amdhsa_enable_private_segment 0
		.amdhsa_system_sgpr_workgroup_id_x 1
		.amdhsa_system_sgpr_workgroup_id_y 0
		.amdhsa_system_sgpr_workgroup_id_z 0
		.amdhsa_system_sgpr_workgroup_info 0
		.amdhsa_system_vgpr_workitem_id 0
		.amdhsa_next_free_vgpr 1
		.amdhsa_next_free_sgpr 0
		.amdhsa_accum_offset 4
		.amdhsa_reserve_vcc 0
		.amdhsa_float_round_mode_32 0
		.amdhsa_float_round_mode_16_64 0
		.amdhsa_float_denorm_mode_32 3
		.amdhsa_float_denorm_mode_16_64 3
		.amdhsa_dx10_clamp 1
		.amdhsa_ieee_mode 1
		.amdhsa_fp16_overflow 0
		.amdhsa_tg_split 0
		.amdhsa_exception_fp_ieee_invalid_op 0
		.amdhsa_exception_fp_denorm_src 0
		.amdhsa_exception_fp_ieee_div_zero 0
		.amdhsa_exception_fp_ieee_overflow 0
		.amdhsa_exception_fp_ieee_underflow 0
		.amdhsa_exception_fp_ieee_inexact 0
		.amdhsa_exception_int_div_zero 0
	.end_amdhsa_kernel
	.section	.text._ZN7rocprim6detail20lookback_scan_kernelILNS0_25lookback_scan_determinismE0ELb1ENS0_19wrapped_scan_configINS_14default_configEfEEN6hipcub22TransformInputIteratorIsNS6_6CastOpIsEEPslEEPfNS6_3MaxENS_12future_valueIfSC_EEfNS0_19lookback_scan_stateIfLb1ELb1EEEEEvT2_T3_mT5_T4_T7_jPT6_SO_bb,"axG",@progbits,_ZN7rocprim6detail20lookback_scan_kernelILNS0_25lookback_scan_determinismE0ELb1ENS0_19wrapped_scan_configINS_14default_configEfEEN6hipcub22TransformInputIteratorIsNS6_6CastOpIsEEPslEEPfNS6_3MaxENS_12future_valueIfSC_EEfNS0_19lookback_scan_stateIfLb1ELb1EEEEEvT2_T3_mT5_T4_T7_jPT6_SO_bb,comdat
.Lfunc_end149:
	.size	_ZN7rocprim6detail20lookback_scan_kernelILNS0_25lookback_scan_determinismE0ELb1ENS0_19wrapped_scan_configINS_14default_configEfEEN6hipcub22TransformInputIteratorIsNS6_6CastOpIsEEPslEEPfNS6_3MaxENS_12future_valueIfSC_EEfNS0_19lookback_scan_stateIfLb1ELb1EEEEEvT2_T3_mT5_T4_T7_jPT6_SO_bb, .Lfunc_end149-_ZN7rocprim6detail20lookback_scan_kernelILNS0_25lookback_scan_determinismE0ELb1ENS0_19wrapped_scan_configINS_14default_configEfEEN6hipcub22TransformInputIteratorIsNS6_6CastOpIsEEPslEEPfNS6_3MaxENS_12future_valueIfSC_EEfNS0_19lookback_scan_stateIfLb1ELb1EEEEEvT2_T3_mT5_T4_T7_jPT6_SO_bb
                                        ; -- End function
	.section	.AMDGPU.csdata,"",@progbits
; Kernel info:
; codeLenInByte = 4
; NumSgprs: 6
; NumVgprs: 0
; NumAgprs: 0
; TotalNumVgprs: 0
; ScratchSize: 0
; MemoryBound: 0
; FloatMode: 240
; IeeeMode: 1
; LDSByteSize: 0 bytes/workgroup (compile time only)
; SGPRBlocks: 0
; VGPRBlocks: 0
; NumSGPRsForWavesPerEU: 6
; NumVGPRsForWavesPerEU: 1
; AccumOffset: 4
; Occupancy: 8
; WaveLimiterHint : 0
; COMPUTE_PGM_RSRC2:SCRATCH_EN: 0
; COMPUTE_PGM_RSRC2:USER_SGPR: 2
; COMPUTE_PGM_RSRC2:TRAP_HANDLER: 0
; COMPUTE_PGM_RSRC2:TGID_X_EN: 1
; COMPUTE_PGM_RSRC2:TGID_Y_EN: 0
; COMPUTE_PGM_RSRC2:TGID_Z_EN: 0
; COMPUTE_PGM_RSRC2:TIDIG_COMP_CNT: 0
; COMPUTE_PGM_RSRC3_GFX90A:ACCUM_OFFSET: 0
; COMPUTE_PGM_RSRC3_GFX90A:TG_SPLIT: 0
	.section	.text._ZN7rocprim6detail20lookback_scan_kernelILNS0_25lookback_scan_determinismE0ELb1ENS0_19wrapped_scan_configINS_14default_configEfEEN6hipcub22TransformInputIteratorIsNS6_6CastOpIsEEPslEEPfNS6_3MaxENS_12future_valueIfSC_EEfNS0_19lookback_scan_stateIfLb0ELb1EEEEEvT2_T3_mT5_T4_T7_jPT6_SO_bb,"axG",@progbits,_ZN7rocprim6detail20lookback_scan_kernelILNS0_25lookback_scan_determinismE0ELb1ENS0_19wrapped_scan_configINS_14default_configEfEEN6hipcub22TransformInputIteratorIsNS6_6CastOpIsEEPslEEPfNS6_3MaxENS_12future_valueIfSC_EEfNS0_19lookback_scan_stateIfLb0ELb1EEEEEvT2_T3_mT5_T4_T7_jPT6_SO_bb,comdat
	.protected	_ZN7rocprim6detail20lookback_scan_kernelILNS0_25lookback_scan_determinismE0ELb1ENS0_19wrapped_scan_configINS_14default_configEfEEN6hipcub22TransformInputIteratorIsNS6_6CastOpIsEEPslEEPfNS6_3MaxENS_12future_valueIfSC_EEfNS0_19lookback_scan_stateIfLb0ELb1EEEEEvT2_T3_mT5_T4_T7_jPT6_SO_bb ; -- Begin function _ZN7rocprim6detail20lookback_scan_kernelILNS0_25lookback_scan_determinismE0ELb1ENS0_19wrapped_scan_configINS_14default_configEfEEN6hipcub22TransformInputIteratorIsNS6_6CastOpIsEEPslEEPfNS6_3MaxENS_12future_valueIfSC_EEfNS0_19lookback_scan_stateIfLb0ELb1EEEEEvT2_T3_mT5_T4_T7_jPT6_SO_bb
	.globl	_ZN7rocprim6detail20lookback_scan_kernelILNS0_25lookback_scan_determinismE0ELb1ENS0_19wrapped_scan_configINS_14default_configEfEEN6hipcub22TransformInputIteratorIsNS6_6CastOpIsEEPslEEPfNS6_3MaxENS_12future_valueIfSC_EEfNS0_19lookback_scan_stateIfLb0ELb1EEEEEvT2_T3_mT5_T4_T7_jPT6_SO_bb
	.p2align	8
	.type	_ZN7rocprim6detail20lookback_scan_kernelILNS0_25lookback_scan_determinismE0ELb1ENS0_19wrapped_scan_configINS_14default_configEfEEN6hipcub22TransformInputIteratorIsNS6_6CastOpIsEEPslEEPfNS6_3MaxENS_12future_valueIfSC_EEfNS0_19lookback_scan_stateIfLb0ELb1EEEEEvT2_T3_mT5_T4_T7_jPT6_SO_bb,@function
_ZN7rocprim6detail20lookback_scan_kernelILNS0_25lookback_scan_determinismE0ELb1ENS0_19wrapped_scan_configINS_14default_configEfEEN6hipcub22TransformInputIteratorIsNS6_6CastOpIsEEPslEEPfNS6_3MaxENS_12future_valueIfSC_EEfNS0_19lookback_scan_stateIfLb0ELb1EEEEEvT2_T3_mT5_T4_T7_jPT6_SO_bb: ; @_ZN7rocprim6detail20lookback_scan_kernelILNS0_25lookback_scan_determinismE0ELb1ENS0_19wrapped_scan_configINS_14default_configEfEEN6hipcub22TransformInputIteratorIsNS6_6CastOpIsEEPslEEPfNS6_3MaxENS_12future_valueIfSC_EEfNS0_19lookback_scan_stateIfLb0ELb1EEEEEvT2_T3_mT5_T4_T7_jPT6_SO_bb
; %bb.0:
	s_load_dwordx2 s[4:5], s[0:1], 0x20
	s_load_dword s3, s[0:1], 0x38
	s_load_dwordx2 s[26:27], s[0:1], 0x0
	s_load_dwordx4 s[20:23], s[0:1], 0x10
	s_mul_i32 s24, s2, 0x1800
	s_waitcnt lgkmcnt(0)
	s_load_dword s35, s[4:5], 0x0
	s_add_i32 s3, s3, -1
	s_mul_i32 s4, s3, 0x1800
	s_sub_u32 s33, s22, s4
	s_subb_u32 s34, s23, 0
	s_mov_b32 s25, 0
	s_cmp_lg_u32 s2, s3
	s_cselect_b64 s[22:23], -1, 0
	s_lshl_b64 s[4:5], s[24:25], 1
	s_add_u32 s6, s26, s4
	s_addc_u32 s7, s27, s5
	s_mov_b64 s[4:5], -1
	s_and_b64 vcc, exec, s[22:23]
	v_lshlrev_b32_e32 v2, 1, v0
	v_lshlrev_b32_e32 v50, 2, v0
	s_cbranch_vccz .LBB150_2
; %bb.1:
	v_mov_b32_e32 v3, 0
	v_lshl_add_u64 v[4:5], s[6:7], 0, v[2:3]
	global_load_sshort v1, v2, s[6:7]
	s_movk_i32 s3, 0x1000
	v_add_co_u32_e32 v6, vcc, s3, v4
	s_movk_i32 s3, 0x2000
	s_nop 0
	v_addc_co_u32_e32 v7, vcc, 0, v5, vcc
	v_add_co_u32_e32 v4, vcc, s3, v4
	s_mov_b64 s[4:5], 0
	s_nop 0
	v_addc_co_u32_e32 v5, vcc, 0, v5, vcc
	global_load_sshort v3, v2, s[6:7] offset:512
	global_load_sshort v8, v2, s[6:7] offset:1024
	;; [unrolled: 1-line block ×7, first 2 shown]
	global_load_sshort v14, v[4:5], off offset:-4096
	global_load_sshort v15, v[6:7], off offset:512
	global_load_sshort v16, v[6:7], off offset:1024
	;; [unrolled: 1-line block ×7, first 2 shown]
                                        ; kill: killed $vgpr6 killed $vgpr7
	s_nop 0
	global_load_sshort v6, v[4:5], off
	global_load_sshort v7, v[4:5], off offset:512
	global_load_sshort v22, v[4:5], off offset:1024
	;; [unrolled: 1-line block ×7, first 2 shown]
	s_waitcnt vmcnt(22)
	v_cvt_f32_i32_e32 v3, v3
	s_waitcnt vmcnt(21)
	v_cvt_f32_i32_e32 v4, v8
	;; [unrolled: 2-line block ×11, first 2 shown]
	v_cvt_f32_i32_e32 v1, v1
	s_waitcnt vmcnt(11)
	v_cvt_f32_i32_e32 v16, v18
	s_waitcnt vmcnt(10)
	;; [unrolled: 2-line block ×12, first 2 shown]
	v_cvt_f32_i32_e32 v25, v27
	ds_write2st64_b32 v50, v1, v3 offset1:4
	ds_write2st64_b32 v50, v4, v5 offset0:8 offset1:12
	ds_write2st64_b32 v50, v8, v9 offset0:16 offset1:20
	;; [unrolled: 1-line block ×11, first 2 shown]
	s_waitcnt lgkmcnt(0)
	s_barrier
.LBB150_2:
	s_andn2_b64 vcc, exec, s[4:5]
	v_cmp_gt_u32_e64 s[4:5], s33, v0
	s_cbranch_vccnz .LBB150_52
; %bb.3:
	v_mov_b32_e32 v3, 0
	global_load_sshort v1, v3, s[6:7]
	v_lshl_add_u64 v[2:3], s[6:7], 0, v[2:3]
	s_waitcnt vmcnt(0)
	v_cvt_f32_i32_e32 v1, v1
	v_mov_b32_e32 v4, v1
	s_and_saveexec_b64 s[6:7], s[4:5]
	s_cbranch_execz .LBB150_5
; %bb.4:
	global_load_sshort v4, v[2:3], off
	s_waitcnt vmcnt(0)
	v_cvt_f32_i32_e32 v4, v4
.LBB150_5:
	s_or_b64 exec, exec, s[6:7]
	v_or_b32_e32 v5, 0x100, v0
	v_cmp_gt_u32_e32 vcc, s33, v5
	v_mov_b32_e32 v5, v1
	s_and_saveexec_b64 s[4:5], vcc
	s_cbranch_execz .LBB150_7
; %bb.6:
	global_load_sshort v5, v[2:3], off offset:512
	s_waitcnt vmcnt(0)
	v_cvt_f32_i32_e32 v5, v5
.LBB150_7:
	s_or_b64 exec, exec, s[4:5]
	v_or_b32_e32 v6, 0x200, v0
	v_cmp_gt_u32_e32 vcc, s33, v6
	v_mov_b32_e32 v6, v1
	s_and_saveexec_b64 s[4:5], vcc
	s_cbranch_execz .LBB150_9
; %bb.8:
	global_load_sshort v6, v[2:3], off offset:1024
	s_waitcnt vmcnt(0)
	v_cvt_f32_i32_e32 v6, v6
.LBB150_9:
	;; [unrolled: 11-line block ×7, first 2 shown]
	s_or_b64 exec, exec, s[4:5]
	v_or_b32_e32 v12, 0x800, v0
	v_cmp_gt_u32_e32 vcc, s33, v12
	v_mov_b32_e32 v12, v1
	s_and_saveexec_b64 s[4:5], vcc
	s_cbranch_execz .LBB150_21
; %bb.20:
	v_add_co_u32_e32 v12, vcc, 0x1000, v2
	s_nop 1
	v_addc_co_u32_e32 v13, vcc, 0, v3, vcc
	global_load_sshort v12, v[12:13], off
	s_waitcnt vmcnt(0)
	v_cvt_f32_i32_e32 v12, v12
.LBB150_21:
	s_or_b64 exec, exec, s[4:5]
	v_or_b32_e32 v13, 0x900, v0
	v_cmp_gt_u32_e32 vcc, s33, v13
	v_mov_b32_e32 v13, v1
	s_and_saveexec_b64 s[4:5], vcc
	s_cbranch_execz .LBB150_23
; %bb.22:
	v_add_co_u32_e32 v14, vcc, 0x1000, v2
	s_nop 1
	v_addc_co_u32_e32 v15, vcc, 0, v3, vcc
	global_load_sshort v13, v[14:15], off offset:512
	s_waitcnt vmcnt(0)
	v_cvt_f32_i32_e32 v13, v13
.LBB150_23:
	s_or_b64 exec, exec, s[4:5]
	v_or_b32_e32 v14, 0xa00, v0
	v_cmp_gt_u32_e32 vcc, s33, v14
	v_mov_b32_e32 v14, v1
	s_and_saveexec_b64 s[4:5], vcc
	s_cbranch_execz .LBB150_25
; %bb.24:
	v_add_co_u32_e32 v14, vcc, 0x1000, v2
	s_nop 1
	v_addc_co_u32_e32 v15, vcc, 0, v3, vcc
	global_load_sshort v14, v[14:15], off offset:1024
	s_waitcnt vmcnt(0)
	v_cvt_f32_i32_e32 v14, v14
.LBB150_25:
	s_or_b64 exec, exec, s[4:5]
	v_or_b32_e32 v15, 0xb00, v0
	v_cmp_gt_u32_e32 vcc, s33, v15
	v_mov_b32_e32 v15, v1
	s_and_saveexec_b64 s[4:5], vcc
	s_cbranch_execz .LBB150_27
; %bb.26:
	v_add_co_u32_e32 v16, vcc, 0x1000, v2
	s_nop 1
	v_addc_co_u32_e32 v17, vcc, 0, v3, vcc
	global_load_sshort v15, v[16:17], off offset:1536
	s_waitcnt vmcnt(0)
	v_cvt_f32_i32_e32 v15, v15
.LBB150_27:
	s_or_b64 exec, exec, s[4:5]
	v_or_b32_e32 v16, 0xc00, v0
	v_cmp_gt_u32_e32 vcc, s33, v16
	v_mov_b32_e32 v16, v1
	s_and_saveexec_b64 s[4:5], vcc
	s_cbranch_execz .LBB150_29
; %bb.28:
	v_add_co_u32_e32 v16, vcc, 0x1000, v2
	s_nop 1
	v_addc_co_u32_e32 v17, vcc, 0, v3, vcc
	global_load_sshort v16, v[16:17], off offset:2048
	s_waitcnt vmcnt(0)
	v_cvt_f32_i32_e32 v16, v16
.LBB150_29:
	s_or_b64 exec, exec, s[4:5]
	v_or_b32_e32 v17, 0xd00, v0
	v_cmp_gt_u32_e32 vcc, s33, v17
	v_mov_b32_e32 v17, v1
	s_and_saveexec_b64 s[4:5], vcc
	s_cbranch_execz .LBB150_31
; %bb.30:
	v_add_co_u32_e32 v18, vcc, 0x1000, v2
	s_nop 1
	v_addc_co_u32_e32 v19, vcc, 0, v3, vcc
	global_load_sshort v17, v[18:19], off offset:2560
	s_waitcnt vmcnt(0)
	v_cvt_f32_i32_e32 v17, v17
.LBB150_31:
	s_or_b64 exec, exec, s[4:5]
	v_or_b32_e32 v18, 0xe00, v0
	v_cmp_gt_u32_e32 vcc, s33, v18
	v_mov_b32_e32 v18, v1
	s_and_saveexec_b64 s[4:5], vcc
	s_cbranch_execz .LBB150_33
; %bb.32:
	v_add_co_u32_e32 v18, vcc, 0x1000, v2
	s_nop 1
	v_addc_co_u32_e32 v19, vcc, 0, v3, vcc
	global_load_sshort v18, v[18:19], off offset:3072
	s_waitcnt vmcnt(0)
	v_cvt_f32_i32_e32 v18, v18
.LBB150_33:
	s_or_b64 exec, exec, s[4:5]
	v_or_b32_e32 v19, 0xf00, v0
	v_cmp_gt_u32_e32 vcc, s33, v19
	v_mov_b32_e32 v19, v1
	s_and_saveexec_b64 s[4:5], vcc
	s_cbranch_execz .LBB150_35
; %bb.34:
	v_add_co_u32_e32 v20, vcc, 0x1000, v2
	s_nop 1
	v_addc_co_u32_e32 v21, vcc, 0, v3, vcc
	global_load_sshort v19, v[20:21], off offset:3584
	s_waitcnt vmcnt(0)
	v_cvt_f32_i32_e32 v19, v19
.LBB150_35:
	s_or_b64 exec, exec, s[4:5]
	v_or_b32_e32 v20, 0x1000, v0
	v_cmp_gt_u32_e32 vcc, s33, v20
	v_mov_b32_e32 v20, v1
	s_and_saveexec_b64 s[4:5], vcc
	s_cbranch_execz .LBB150_37
; %bb.36:
	v_add_co_u32_e32 v20, vcc, 0x2000, v2
	s_nop 1
	v_addc_co_u32_e32 v21, vcc, 0, v3, vcc
	global_load_sshort v20, v[20:21], off
	s_waitcnt vmcnt(0)
	v_cvt_f32_i32_e32 v20, v20
.LBB150_37:
	s_or_b64 exec, exec, s[4:5]
	v_or_b32_e32 v21, 0x1100, v0
	v_cmp_gt_u32_e32 vcc, s33, v21
	v_mov_b32_e32 v21, v1
	s_and_saveexec_b64 s[4:5], vcc
	s_cbranch_execz .LBB150_39
; %bb.38:
	v_add_co_u32_e32 v22, vcc, 0x2000, v2
	s_nop 1
	v_addc_co_u32_e32 v23, vcc, 0, v3, vcc
	global_load_sshort v21, v[22:23], off offset:512
	s_waitcnt vmcnt(0)
	v_cvt_f32_i32_e32 v21, v21
.LBB150_39:
	s_or_b64 exec, exec, s[4:5]
	v_or_b32_e32 v22, 0x1200, v0
	v_cmp_gt_u32_e32 vcc, s33, v22
	v_mov_b32_e32 v22, v1
	s_and_saveexec_b64 s[4:5], vcc
	s_cbranch_execz .LBB150_41
; %bb.40:
	v_add_co_u32_e32 v22, vcc, 0x2000, v2
	s_nop 1
	v_addc_co_u32_e32 v23, vcc, 0, v3, vcc
	global_load_sshort v22, v[22:23], off offset:1024
	s_waitcnt vmcnt(0)
	v_cvt_f32_i32_e32 v22, v22
.LBB150_41:
	;; [unrolled: 14-line block ×6, first 2 shown]
	s_or_b64 exec, exec, s[4:5]
	v_or_b32_e32 v27, 0x1700, v0
	v_cmp_gt_u32_e32 vcc, s33, v27
	s_and_saveexec_b64 s[4:5], vcc
	s_cbranch_execz .LBB150_51
; %bb.50:
	v_add_co_u32_e32 v2, vcc, 0x2000, v2
	s_nop 1
	v_addc_co_u32_e32 v3, vcc, 0, v3, vcc
	global_load_sshort v1, v[2:3], off offset:3584
	s_waitcnt vmcnt(0)
	v_cvt_f32_i32_e32 v1, v1
.LBB150_51:
	s_or_b64 exec, exec, s[4:5]
	ds_write2st64_b32 v50, v4, v5 offset1:4
	ds_write2st64_b32 v50, v6, v7 offset0:8 offset1:12
	ds_write2st64_b32 v50, v8, v9 offset0:16 offset1:20
	;; [unrolled: 1-line block ×11, first 2 shown]
	s_waitcnt lgkmcnt(0)
	s_barrier
.LBB150_52:
	s_load_dwordx2 s[28:29], s[0:1], 0x30
	v_mul_u32_u24_e32 v52, 24, v0
	v_lshlrev_b32_e32 v1, 2, v52
	s_waitcnt lgkmcnt(0)
	ds_read_b128 v[22:25], v1
	ds_read_b128 v[18:21], v1 offset:16
	ds_read_b128 v[14:17], v1 offset:32
	;; [unrolled: 1-line block ×5, first 2 shown]
	s_cmp_lg_u32 s2, 0
	s_waitcnt lgkmcnt(5)
	v_cmp_lt_f32_e64 s[4:5], v22, v23
	v_lshrrev_b32_e32 v51, 5, v0
	v_cmp_gt_u32_e32 vcc, 64, v0
	s_waitcnt lgkmcnt(0)
	s_barrier
	s_cbranch_scc0 .LBB150_77
; %bb.53:
	v_cndmask_b32_e64 v26, v22, v23, s[4:5]
	v_cmp_lt_f32_e64 s[4:5], v26, v24
	s_nop 1
	v_cndmask_b32_e64 v26, v26, v24, s[4:5]
	v_cmp_lt_f32_e64 s[4:5], v26, v25
	s_nop 1
	;; [unrolled: 3-line block ×22, first 2 shown]
	v_cndmask_b32_e64 v36, v26, v5, s[4:5]
	v_add_lshl_u32 v26, v51, v0, 2
	ds_write_b32 v26, v36
	s_waitcnt lgkmcnt(0)
	s_barrier
	s_and_saveexec_b64 s[8:9], vcc
	s_cbranch_execz .LBB150_55
; %bb.54:
	v_lshrrev_b32_e32 v26, 3, v0
	v_add_lshl_u32 v30, v26, v50, 2
	ds_read2_b32 v[26:27], v30 offset1:1
	ds_read2_b32 v[28:29], v30 offset0:2 offset1:3
	v_mbcnt_lo_u32_b32 v32, -1, 0
	v_mbcnt_hi_u32_b32 v32, -1, v32
	v_and_b32_e32 v33, 15, v32
	s_waitcnt lgkmcnt(1)
	v_cmp_lt_f32_e64 s[4:5], v26, v27
	s_nop 1
	v_cndmask_b32_e64 v31, v26, v27, s[4:5]
	s_waitcnt lgkmcnt(0)
	v_cmp_lt_f32_e64 s[4:5], v31, v28
	s_nop 1
	v_cndmask_b32_e64 v31, v31, v28, s[4:5]
	v_cmp_lt_f32_e64 s[4:5], v31, v29
	s_nop 1
	v_cndmask_b32_e64 v31, v31, v29, s[4:5]
	v_cmp_eq_u32_e64 s[4:5], 0, v33
	s_nop 0
	v_mov_b32_dpp v34, v31 row_shr:1 row_mask:0xf bank_mask:0xf
	v_cmp_gt_f32_e64 s[6:7], v31, v34
	s_or_b64 s[4:5], s[4:5], s[6:7]
	v_cndmask_b32_e64 v31, v34, v31, s[4:5]
	s_nop 1
	v_mov_b32_dpp v34, v31 row_shr:2 row_mask:0xf bank_mask:0xf
	v_cmp_gt_f32_e64 s[4:5], v31, v34
	s_nop 1
	v_cndmask_b32_e64 v34, v34, v31, s[4:5]
	v_cmp_lt_u32_e64 s[4:5], 1, v33
	s_nop 1
	v_cndmask_b32_e64 v31, v31, v34, s[4:5]
	s_nop 1
	v_mov_b32_dpp v34, v31 row_shr:4 row_mask:0xf bank_mask:0xf
	v_cmp_gt_f32_e64 s[4:5], v31, v34
	s_nop 1
	v_cndmask_b32_e64 v34, v34, v31, s[4:5]
	v_cmp_lt_u32_e64 s[4:5], 3, v33
	s_nop 1
	;; [unrolled: 8-line block ×3, first 2 shown]
	v_cndmask_b32_e64 v31, v31, v34, s[4:5]
	v_and_b32_e32 v34, 16, v32
	v_cmp_eq_u32_e64 s[4:5], 0, v34
	v_mov_b32_dpp v33, v31 row_bcast:15 row_mask:0xf bank_mask:0xf
	v_cmp_gt_f32_e64 s[6:7], v31, v33
	s_or_b64 s[4:5], s[4:5], s[6:7]
	v_cndmask_b32_e64 v31, v33, v31, s[4:5]
	v_and_b32_e32 v34, 64, v32
	s_nop 0
	v_mov_b32_dpp v33, v31 row_bcast:31 row_mask:0xf bank_mask:0xf
	v_cmp_gt_f32_e64 s[4:5], v31, v33
	s_nop 1
	v_cndmask_b32_e64 v33, v33, v31, s[4:5]
	v_cmp_lt_u32_e64 s[4:5], 31, v32
	s_nop 1
	v_cndmask_b32_e64 v31, v31, v33, s[4:5]
	v_add_u32_e32 v33, -1, v32
	v_cmp_lt_i32_e64 s[4:5], v33, v34
	s_nop 1
	v_cndmask_b32_e64 v32, v33, v32, s[4:5]
	v_lshlrev_b32_e32 v32, 2, v32
	ds_bpermute_b32 v31, v32, v31
	s_waitcnt lgkmcnt(0)
	v_cmp_gt_f32_e64 s[4:5], v26, v31
	s_nop 1
	v_cndmask_b32_e64 v26, v31, v26, s[4:5]
	v_cmp_eq_u32_e64 s[4:5], 0, v0
	s_nop 1
	v_cndmask_b32_e64 v26, v26, v36, s[4:5]
	v_cmp_lt_f32_e64 s[4:5], v26, v27
	s_nop 1
	v_cndmask_b32_e64 v27, v26, v27, s[4:5]
	v_cmp_lt_f32_e64 s[4:5], v27, v28
	ds_write2_b32 v30, v26, v27 offset1:1
	s_nop 0
	v_cndmask_b32_e64 v26, v27, v28, s[4:5]
	v_cmp_lt_f32_e64 s[4:5], v26, v29
	s_nop 1
	v_cndmask_b32_e64 v27, v26, v29, s[4:5]
	ds_write2_b32 v30, v26, v27 offset0:2 offset1:3
.LBB150_55:
	s_or_b64 exec, exec, s[8:9]
	v_cmp_eq_u32_e64 s[6:7], 0, v0
	v_cmp_ne_u32_e64 s[4:5], 0, v0
	s_waitcnt lgkmcnt(0)
	s_barrier
	s_and_saveexec_b64 s[8:9], s[4:5]
	s_cbranch_execz .LBB150_57
; %bb.56:
	v_add_u32_e32 v26, -1, v0
	v_lshrrev_b32_e32 v27, 5, v26
	v_add_lshl_u32 v26, v27, v26, 2
	ds_read_b32 v36, v26
.LBB150_57:
	s_or_b64 exec, exec, s[8:9]
	s_and_saveexec_b64 s[30:31], vcc
	s_cbranch_execz .LBB150_76
; %bb.58:
	v_mov_b32_e32 v33, 0
	ds_read_b32 v26, v33 offset:1048
	v_mbcnt_lo_u32_b32 v27, -1, 0
	v_mbcnt_hi_u32_b32 v29, -1, v27
	s_mov_b32 s11, 0
	v_cmp_eq_u32_e64 s[4:5], 0, v29
	s_and_saveexec_b64 s[8:9], s[4:5]
	s_cbranch_execz .LBB150_60
; %bb.59:
	s_add_i32 s10, s2, 64
	s_lshl_b64 s[10:11], s[10:11], 3
	s_add_u32 s10, s28, s10
	s_addc_u32 s11, s29, s11
	v_mov_b32_e32 v27, 1
	s_waitcnt lgkmcnt(0)
	global_store_dwordx2 v33, v[26:27], s[10:11] sc1
.LBB150_60:
	s_or_b64 exec, exec, s[8:9]
	v_xad_u32 v28, v29, -1, s2
	v_add_u32_e32 v32, 64, v28
	v_lshl_add_u64 v[34:35], v[32:33], 3, s[28:29]
	global_load_dwordx2 v[30:31], v[34:35], off sc1
	s_waitcnt vmcnt(0)
	v_cmp_eq_u16_sdwa s[10:11], v31, v33 src0_sel:BYTE_0 src1_sel:DWORD
	s_and_saveexec_b64 s[8:9], s[10:11]
	s_cbranch_execz .LBB150_64
; %bb.61:
	s_mov_b64 s[10:11], 0
	v_mov_b32_e32 v27, 0
.LBB150_62:                             ; =>This Inner Loop Header: Depth=1
	global_load_dwordx2 v[30:31], v[34:35], off sc1
	s_waitcnt vmcnt(0)
	v_cmp_ne_u16_sdwa s[12:13], v31, v27 src0_sel:BYTE_0 src1_sel:DWORD
	s_or_b64 s[10:11], s[12:13], s[10:11]
	s_andn2_b64 exec, exec, s[10:11]
	s_cbranch_execnz .LBB150_62
; %bb.63:
	s_or_b64 exec, exec, s[10:11]
.LBB150_64:
	s_or_b64 exec, exec, s[8:9]
	v_and_b32_e32 v47, 63, v29
	v_cmp_ne_u32_e32 vcc, 63, v47
	v_mov_b32_e32 v27, 2
	v_cmp_eq_u16_sdwa s[8:9], v31, v27 src0_sel:BYTE_0 src1_sel:DWORD
	v_addc_co_u32_e32 v37, vcc, 0, v29, vcc
	v_lshlrev_b32_e32 v37, 2, v37
	ds_bpermute_b32 v39, v37, v30
	v_lshlrev_b64 v[32:33], v29, -1
	v_and_b32_e32 v34, s9, v33
	v_or_b32_e32 v34, 0x80000000, v34
	v_and_b32_e32 v35, s8, v32
	v_ffbl_b32_e32 v34, v34
	v_add_u32_e32 v34, 32, v34
	v_ffbl_b32_e32 v35, v35
	s_waitcnt lgkmcnt(0)
	v_cmp_lt_f32_e32 vcc, v39, v30
	v_cmp_gt_u32_e64 s[8:9], 62, v47
	v_min_u32_e32 v34, v35, v34
	v_add_u32_e32 v38, 1, v29
	v_cndmask_b32_e32 v35, v39, v30, vcc
	v_cndmask_b32_e64 v39, 0, 1, s[8:9]
	v_cmp_le_u32_e32 vcc, v38, v34
	v_lshlrev_b32_e32 v39, 1, v39
	v_add_lshl_u32 v39, v39, v29, 2
	v_cndmask_b32_e32 v35, v30, v35, vcc
	ds_bpermute_b32 v41, v39, v35
	v_add_u32_e32 v40, 2, v29
	v_cmp_gt_u32_e64 s[10:11], 60, v47
	v_add_u32_e32 v42, 4, v29
	v_cmp_gt_u32_e64 s[12:13], 56, v47
	s_waitcnt lgkmcnt(0)
	v_cmp_gt_f32_e64 s[8:9], v35, v41
	v_add_u32_e32 v44, 8, v29
	v_cmp_gt_u32_e64 s[14:15], 48, v47
	v_cndmask_b32_e64 v41, v41, v35, s[8:9]
	v_cmp_le_u32_e64 s[8:9], v40, v34
	v_cmp_gt_u32_e64 s[16:17], 32, v47
	v_add_u32_e32 v46, 16, v29
	v_cndmask_b32_e64 v35, v35, v41, s[8:9]
	v_cndmask_b32_e64 v41, 0, 1, s[10:11]
	v_lshlrev_b32_e32 v41, 2, v41
	v_add_lshl_u32 v41, v41, v29, 2
	ds_bpermute_b32 v43, v41, v35
	v_cndmask_b32_e64 v47, 0, 1, s[16:17]
	v_lshlrev_b32_e32 v47, 5, v47
	v_add_u32_e32 v49, 32, v29
	v_cmp_le_u32_e64 s[18:19], v49, v34
	s_waitcnt lgkmcnt(0)
	v_cmp_gt_f32_e64 s[10:11], v35, v43
	s_or_b64 s[8:9], s[8:9], s[18:19]
	s_or_b64 s[8:9], vcc, s[8:9]
	v_cndmask_b32_e64 v43, v43, v35, s[10:11]
	v_cmp_le_u32_e64 s[10:11], v42, v34
	v_cmp_gt_u32_e64 s[16:17], v49, v34
	s_or_b64 s[8:9], s[10:11], s[8:9]
	v_cndmask_b32_e64 v35, v35, v43, s[10:11]
	v_cndmask_b32_e64 v43, 0, 1, s[12:13]
	v_lshlrev_b32_e32 v43, 3, v43
	v_add_lshl_u32 v43, v43, v29, 2
	ds_bpermute_b32 v45, v43, v35
	s_waitcnt lgkmcnt(0)
	v_cmp_gt_f32_e64 s[12:13], v35, v45
	s_nop 1
	v_cndmask_b32_e64 v45, v45, v35, s[12:13]
	v_cmp_le_u32_e64 s[12:13], v44, v34
	s_or_b64 s[8:9], s[12:13], s[8:9]
	s_nop 0
	v_cndmask_b32_e64 v35, v35, v45, s[12:13]
	v_cndmask_b32_e64 v45, 0, 1, s[14:15]
	v_lshlrev_b32_e32 v45, 4, v45
	v_add_lshl_u32 v45, v45, v29, 2
	ds_bpermute_b32 v48, v45, v35
	s_waitcnt lgkmcnt(0)
	v_cmp_gt_f32_e64 s[14:15], v35, v48
	s_nop 1
	v_cndmask_b32_e64 v48, v48, v35, s[14:15]
	v_cmp_le_u32_e64 s[14:15], v46, v34
	s_nop 1
	v_cndmask_b32_e64 v35, v35, v48, s[14:15]
	v_add_lshl_u32 v48, v47, v29, 2
	ds_bpermute_b32 v47, v48, v35
	s_waitcnt lgkmcnt(0)
	v_cmp_gt_f32_e32 vcc, v35, v47
	s_or_b64 vcc, s[16:17], vcc
	s_nop 0
	v_cndmask_b32_e32 v29, v47, v35, vcc
	s_or_b64 vcc, s[14:15], s[8:9]
	v_cndmask_b32_e32 v30, v30, v29, vcc
	v_mov_b32_e32 v29, 0
	s_branch .LBB150_66
.LBB150_65:                             ;   in Loop: Header=BB150_66 Depth=1
	s_or_b64 exec, exec, s[8:9]
	v_cmp_eq_u16_sdwa s[8:9], v31, v27 src0_sel:BYTE_0 src1_sel:DWORD
	ds_bpermute_b32 v53, v37, v30
	v_subrev_u32_e32 v28, 64, v28
	v_and_b32_e32 v34, s9, v33
	v_or_b32_e32 v34, 0x80000000, v34
	v_and_b32_e32 v35, s8, v32
	v_ffbl_b32_e32 v34, v34
	v_add_u32_e32 v34, 32, v34
	v_ffbl_b32_e32 v35, v35
	v_min_u32_e32 v34, v35, v34
	s_waitcnt lgkmcnt(0)
	v_cmp_lt_f32_e32 vcc, v53, v30
	v_cmp_le_u32_e64 s[18:19], v49, v34
	v_cmp_gt_u32_e64 s[14:15], v49, v34
	v_cndmask_b32_e32 v35, v53, v30, vcc
	v_cmp_le_u32_e32 vcc, v38, v34
	s_nop 1
	v_cndmask_b32_e32 v35, v30, v35, vcc
	ds_bpermute_b32 v53, v39, v35
	s_waitcnt lgkmcnt(0)
	v_cmp_gt_f32_e64 s[8:9], v35, v53
	s_nop 1
	v_cndmask_b32_e64 v53, v53, v35, s[8:9]
	v_cmp_le_u32_e64 s[8:9], v40, v34
	s_nop 1
	v_cndmask_b32_e64 v35, v35, v53, s[8:9]
	ds_bpermute_b32 v53, v41, v35
	s_or_b64 s[8:9], s[8:9], s[18:19]
	s_or_b64 s[8:9], vcc, s[8:9]
	s_waitcnt lgkmcnt(0)
	v_cmp_gt_f32_e64 s[10:11], v35, v53
	s_nop 1
	v_cndmask_b32_e64 v53, v53, v35, s[10:11]
	v_cmp_le_u32_e64 s[10:11], v42, v34
	s_or_b64 s[8:9], s[10:11], s[8:9]
	s_nop 0
	v_cndmask_b32_e64 v35, v35, v53, s[10:11]
	ds_bpermute_b32 v53, v43, v35
	s_waitcnt lgkmcnt(0)
	v_cmp_gt_f32_e64 s[12:13], v35, v53
	s_nop 1
	v_cndmask_b32_e64 v53, v53, v35, s[12:13]
	v_cmp_le_u32_e64 s[12:13], v44, v34
	s_or_b64 s[8:9], s[12:13], s[8:9]
	s_nop 0
	v_cndmask_b32_e64 v35, v35, v53, s[12:13]
	ds_bpermute_b32 v53, v45, v35
	s_waitcnt lgkmcnt(0)
	v_cmp_gt_f32_e64 s[16:17], v35, v53
	s_nop 1
	v_cndmask_b32_e64 v53, v53, v35, s[16:17]
	v_cmp_le_u32_e64 s[16:17], v46, v34
	s_nop 1
	v_cndmask_b32_e64 v35, v35, v53, s[16:17]
	ds_bpermute_b32 v53, v48, v35
	s_waitcnt lgkmcnt(0)
	v_cmp_gt_f32_e32 vcc, v35, v53
	s_or_b64 vcc, s[14:15], vcc
	s_nop 0
	v_cndmask_b32_e32 v34, v53, v35, vcc
	s_or_b64 vcc, s[16:17], s[8:9]
	v_cndmask_b32_e32 v30, v30, v34, vcc
	v_cmp_lt_f32_e32 vcc, v30, v47
	s_nop 1
	v_cndmask_b32_e32 v30, v30, v47, vcc
.LBB150_66:                             ; =>This Loop Header: Depth=1
                                        ;     Child Loop BB150_69 Depth 2
	v_cmp_ne_u16_sdwa s[8:9], v31, v27 src0_sel:BYTE_0 src1_sel:DWORD
	v_mov_b32_e32 v47, v30
	s_nop 0
	v_cndmask_b32_e64 v31, 0, 1, s[8:9]
	;;#ASMSTART
	;;#ASMEND
	s_nop 0
	v_cmp_ne_u32_e32 vcc, 0, v31
	s_cmp_lg_u64 vcc, exec
	s_cbranch_scc1 .LBB150_71
; %bb.67:                               ;   in Loop: Header=BB150_66 Depth=1
	v_lshl_add_u64 v[34:35], v[28:29], 3, s[28:29]
	global_load_dwordx2 v[30:31], v[34:35], off sc1
	s_waitcnt vmcnt(0)
	v_cmp_eq_u16_sdwa s[10:11], v31, v29 src0_sel:BYTE_0 src1_sel:DWORD
	s_and_saveexec_b64 s[8:9], s[10:11]
	s_cbranch_execz .LBB150_65
; %bb.68:                               ;   in Loop: Header=BB150_66 Depth=1
	s_mov_b64 s[10:11], 0
.LBB150_69:                             ;   Parent Loop BB150_66 Depth=1
                                        ; =>  This Inner Loop Header: Depth=2
	global_load_dwordx2 v[30:31], v[34:35], off sc1
	s_waitcnt vmcnt(0)
	v_cmp_ne_u16_sdwa s[12:13], v31, v29 src0_sel:BYTE_0 src1_sel:DWORD
	s_or_b64 s[10:11], s[12:13], s[10:11]
	s_andn2_b64 exec, exec, s[10:11]
	s_cbranch_execnz .LBB150_69
; %bb.70:                               ;   in Loop: Header=BB150_66 Depth=1
	s_or_b64 exec, exec, s[10:11]
	s_branch .LBB150_65
.LBB150_71:                             ;   in Loop: Header=BB150_66 Depth=1
                                        ; implicit-def: $vgpr30
                                        ; implicit-def: $vgpr31
	s_cbranch_execz .LBB150_66
; %bb.72:
	s_and_saveexec_b64 s[8:9], s[4:5]
	s_cbranch_execz .LBB150_74
; %bb.73:
	s_add_i32 s2, s2, 64
	s_mov_b32 s3, 0
	s_lshl_b64 s[2:3], s[2:3], 3
	s_add_u32 s2, s28, s2
	v_cmp_lt_f32_e32 vcc, v47, v26
	s_addc_u32 s3, s29, s3
	v_mov_b32_e32 v28, 0
	v_cndmask_b32_e32 v26, v47, v26, vcc
	v_mov_b32_e32 v27, 2
	global_store_dwordx2 v28, v[26:27], s[2:3] sc1
.LBB150_74:
	s_or_b64 exec, exec, s[8:9]
	s_and_b64 exec, exec, s[6:7]
	s_cbranch_execz .LBB150_76
; %bb.75:
	v_mov_b32_e32 v26, 0
	ds_write_b32 v26, v47
.LBB150_76:
	s_or_b64 exec, exec, s[30:31]
	v_mov_b32_e32 v26, 0
	s_waitcnt lgkmcnt(0)
	s_barrier
	ds_read_b32 v26, v26
	s_waitcnt lgkmcnt(0)
	v_cmp_lt_f32_e32 vcc, v26, v36
	s_nop 1
	v_cndmask_b32_e32 v27, v26, v36, vcc
	v_cndmask_b32_e64 v26, v27, v26, s[6:7]
	v_cmp_lt_f32_e32 vcc, v26, v22
	s_nop 1
	v_cndmask_b32_e32 v27, v26, v22, vcc
	v_cmp_lt_f32_e32 vcc, v27, v23
	s_nop 1
	v_cndmask_b32_e32 v28, v27, v23, vcc
	v_cmp_lt_f32_e32 vcc, v28, v24
	s_nop 1
	v_cndmask_b32_e32 v29, v28, v24, vcc
	v_cmp_lt_f32_e32 vcc, v29, v25
	s_nop 1
	v_cndmask_b32_e32 v30, v29, v25, vcc
	v_cmp_lt_f32_e32 vcc, v30, v18
	s_nop 1
	v_cndmask_b32_e32 v31, v30, v18, vcc
	v_cmp_lt_f32_e32 vcc, v31, v19
	s_nop 1
	v_cndmask_b32_e32 v32, v31, v19, vcc
	v_cmp_lt_f32_e32 vcc, v32, v20
	s_nop 1
	v_cndmask_b32_e32 v33, v32, v20, vcc
	v_cmp_lt_f32_e32 vcc, v33, v21
	s_nop 1
	v_cndmask_b32_e32 v34, v33, v21, vcc
	v_cmp_lt_f32_e32 vcc, v34, v14
	s_nop 1
	v_cndmask_b32_e32 v35, v34, v14, vcc
	v_cmp_lt_f32_e32 vcc, v35, v15
	s_nop 1
	v_cndmask_b32_e32 v36, v35, v15, vcc
	v_cmp_lt_f32_e32 vcc, v36, v16
	s_nop 1
	v_cndmask_b32_e32 v37, v36, v16, vcc
	v_cmp_lt_f32_e32 vcc, v37, v17
	s_nop 1
	v_cndmask_b32_e32 v38, v37, v17, vcc
	v_cmp_lt_f32_e32 vcc, v38, v10
	s_nop 1
	v_cndmask_b32_e32 v39, v38, v10, vcc
	v_cmp_lt_f32_e32 vcc, v39, v11
	s_nop 1
	v_cndmask_b32_e32 v40, v39, v11, vcc
	v_cmp_lt_f32_e32 vcc, v40, v12
	s_nop 1
	v_cndmask_b32_e32 v41, v40, v12, vcc
	v_cmp_lt_f32_e32 vcc, v41, v13
	s_nop 1
	v_cndmask_b32_e32 v42, v41, v13, vcc
	v_cmp_lt_f32_e32 vcc, v42, v6
	s_nop 1
	v_cndmask_b32_e32 v43, v42, v6, vcc
	v_cmp_lt_f32_e32 vcc, v43, v7
	s_nop 1
	v_cndmask_b32_e32 v44, v43, v7, vcc
	v_cmp_lt_f32_e32 vcc, v44, v8
	s_nop 1
	v_cndmask_b32_e32 v45, v44, v8, vcc
	v_cmp_lt_f32_e32 vcc, v45, v9
	s_nop 1
	v_cndmask_b32_e32 v46, v45, v9, vcc
	v_cmp_lt_f32_e32 vcc, v46, v2
	s_nop 1
	v_cndmask_b32_e32 v47, v46, v2, vcc
	v_cmp_lt_f32_e32 vcc, v47, v3
	s_nop 1
	v_cndmask_b32_e32 v48, v47, v3, vcc
	v_cmp_lt_f32_e32 vcc, v48, v4
	s_nop 1
	v_cndmask_b32_e32 v49, v48, v4, vcc
	s_load_dwordx4 s[4:7], s[0:1], 0x40
	s_branch .LBB150_87
.LBB150_77:
                                        ; implicit-def: $vgpr48_vgpr49
                                        ; implicit-def: $vgpr44_vgpr45
                                        ; implicit-def: $vgpr40_vgpr41
                                        ; implicit-def: $vgpr36_vgpr37
                                        ; implicit-def: $vgpr32_vgpr33
                                        ; implicit-def: $vgpr28_vgpr29
	s_load_dwordx4 s[4:7], s[0:1], 0x40
	s_cbranch_execz .LBB150_87
; %bb.78:
	s_load_dword s2, s[0:1], 0x50
	v_mov_b32_e32 v53, s35
	s_waitcnt lgkmcnt(0)
	s_bitcmp0_b32 s2, 0
	s_cbranch_scc1 .LBB150_80
; %bb.79:
	v_mov_b32_e32 v26, 0
	global_load_sshort v26, v26, s[26:27] offset:-2
	s_load_dword s2, s[4:5], 0x0
	s_waitcnt lgkmcnt(0)
	v_mov_b32_e32 v27, s2
	s_waitcnt vmcnt(0)
	v_cvt_f32_i32_e32 v26, v26
	v_cmp_lt_f32_e32 vcc, s2, v26
	s_nop 1
	v_cndmask_b32_e32 v53, v27, v26, vcc
.LBB150_80:
	v_cmp_lt_f32_e32 vcc, v22, v23
	s_nop 1
	v_cndmask_b32_e32 v26, v22, v23, vcc
	v_cmp_lt_f32_e32 vcc, v26, v24
	s_nop 1
	v_cndmask_b32_e32 v26, v26, v24, vcc
	;; [unrolled: 3-line block ×23, first 2 shown]
	v_add_lshl_u32 v26, v51, v0, 2
	v_cmp_gt_u32_e32 vcc, 64, v0
	ds_write_b32 v26, v5
	s_waitcnt lgkmcnt(0)
	s_barrier
	s_and_saveexec_b64 s[4:5], vcc
	s_cbranch_execz .LBB150_82
; %bb.81:
	v_lshrrev_b32_e32 v26, 3, v0
	v_add_lshl_u32 v30, v26, v50, 2
	ds_read2_b32 v[26:27], v30 offset1:1
	ds_read2_b32 v[28:29], v30 offset0:2 offset1:3
	v_mbcnt_lo_u32_b32 v32, -1, 0
	v_mbcnt_hi_u32_b32 v32, -1, v32
	v_and_b32_e32 v33, 15, v32
	s_waitcnt lgkmcnt(1)
	v_cmp_lt_f32_e32 vcc, v26, v27
	s_nop 1
	v_cndmask_b32_e32 v31, v26, v27, vcc
	s_waitcnt lgkmcnt(0)
	v_cmp_lt_f32_e32 vcc, v31, v28
	s_nop 1
	v_cndmask_b32_e32 v31, v31, v28, vcc
	v_cmp_lt_f32_e32 vcc, v31, v29
	s_nop 1
	v_cndmask_b32_e32 v31, v31, v29, vcc
	v_cmp_eq_u32_e32 vcc, 0, v33
	s_nop 0
	v_mov_b32_dpp v34, v31 row_shr:1 row_mask:0xf bank_mask:0xf
	v_cmp_gt_f32_e64 s[2:3], v31, v34
	s_or_b64 vcc, vcc, s[2:3]
	v_cndmask_b32_e32 v31, v34, v31, vcc
	s_nop 1
	v_mov_b32_dpp v34, v31 row_shr:2 row_mask:0xf bank_mask:0xf
	v_cmp_gt_f32_e32 vcc, v31, v34
	s_nop 1
	v_cndmask_b32_e32 v34, v34, v31, vcc
	v_cmp_lt_u32_e32 vcc, 1, v33
	s_nop 1
	v_cndmask_b32_e32 v31, v31, v34, vcc
	s_nop 1
	v_mov_b32_dpp v34, v31 row_shr:4 row_mask:0xf bank_mask:0xf
	v_cmp_gt_f32_e32 vcc, v31, v34
	s_nop 1
	v_cndmask_b32_e32 v34, v34, v31, vcc
	v_cmp_lt_u32_e32 vcc, 3, v33
	s_nop 1
	;; [unrolled: 8-line block ×3, first 2 shown]
	v_cndmask_b32_e32 v31, v31, v34, vcc
	v_and_b32_e32 v34, 16, v32
	v_cmp_eq_u32_e32 vcc, 0, v34
	v_mov_b32_dpp v33, v31 row_bcast:15 row_mask:0xf bank_mask:0xf
	v_cmp_gt_f32_e64 s[2:3], v31, v33
	s_or_b64 vcc, vcc, s[2:3]
	v_cndmask_b32_e32 v31, v33, v31, vcc
	v_and_b32_e32 v34, 64, v32
	s_nop 0
	v_mov_b32_dpp v33, v31 row_bcast:31 row_mask:0xf bank_mask:0xf
	v_cmp_gt_f32_e32 vcc, v31, v33
	s_nop 1
	v_cndmask_b32_e32 v33, v33, v31, vcc
	v_cmp_lt_u32_e32 vcc, 31, v32
	s_nop 1
	v_cndmask_b32_e32 v31, v31, v33, vcc
	v_add_u32_e32 v33, -1, v32
	v_cmp_lt_i32_e32 vcc, v33, v34
	s_nop 1
	v_cndmask_b32_e32 v32, v33, v32, vcc
	v_lshlrev_b32_e32 v32, 2, v32
	ds_bpermute_b32 v31, v32, v31
	s_waitcnt lgkmcnt(0)
	v_cmp_gt_f32_e32 vcc, v26, v31
	s_nop 1
	v_cndmask_b32_e32 v26, v31, v26, vcc
	v_cmp_eq_u32_e32 vcc, 0, v0
	s_nop 1
	v_cndmask_b32_e32 v5, v26, v5, vcc
	v_cmp_lt_f32_e32 vcc, v5, v27
	s_nop 1
	v_cndmask_b32_e32 v26, v5, v27, vcc
	v_cmp_lt_f32_e32 vcc, v26, v28
	ds_write2_b32 v30, v5, v26 offset1:1
	s_nop 0
	v_cndmask_b32_e32 v5, v26, v28, vcc
	v_cmp_lt_f32_e32 vcc, v5, v29
	s_nop 1
	v_cndmask_b32_e32 v26, v5, v29, vcc
	ds_write2_b32 v30, v5, v26 offset0:2 offset1:3
.LBB150_82:
	s_or_b64 exec, exec, s[4:5]
	v_cmp_eq_u32_e32 vcc, 0, v0
	v_cmp_ne_u32_e64 s[2:3], 0, v0
	v_mov_b32_e32 v26, v53
	s_waitcnt lgkmcnt(0)
	s_barrier
	s_and_saveexec_b64 s[4:5], s[2:3]
	s_cbranch_execz .LBB150_84
; %bb.83:
	v_add_u32_e32 v5, -1, v0
	v_lshrrev_b32_e32 v26, 5, v5
	v_add_lshl_u32 v5, v26, v5, 2
	ds_read_b32 v5, v5
	s_waitcnt lgkmcnt(0)
	v_cmp_gt_f32_e64 s[2:3], v5, v53
	s_nop 1
	v_cndmask_b32_e64 v26, v53, v5, s[2:3]
.LBB150_84:
	s_or_b64 exec, exec, s[4:5]
	v_cmp_lt_f32_e64 s[2:3], v26, v22
	s_nop 1
	v_cndmask_b32_e64 v27, v26, v22, s[2:3]
	v_cmp_lt_f32_e64 s[2:3], v27, v23
	s_nop 1
	v_cndmask_b32_e64 v28, v27, v23, s[2:3]
	v_cmp_lt_f32_e64 s[2:3], v28, v24
	s_nop 1
	v_cndmask_b32_e64 v29, v28, v24, s[2:3]
	v_cmp_lt_f32_e64 s[2:3], v29, v25
	s_nop 1
	v_cndmask_b32_e64 v30, v29, v25, s[2:3]
	v_cmp_lt_f32_e64 s[2:3], v30, v18
	s_nop 1
	v_cndmask_b32_e64 v31, v30, v18, s[2:3]
	v_cmp_lt_f32_e64 s[2:3], v31, v19
	s_nop 1
	v_cndmask_b32_e64 v32, v31, v19, s[2:3]
	v_cmp_lt_f32_e64 s[2:3], v32, v20
	s_nop 1
	v_cndmask_b32_e64 v33, v32, v20, s[2:3]
	v_cmp_lt_f32_e64 s[2:3], v33, v21
	s_nop 1
	v_cndmask_b32_e64 v34, v33, v21, s[2:3]
	v_cmp_lt_f32_e64 s[2:3], v34, v14
	s_nop 1
	v_cndmask_b32_e64 v35, v34, v14, s[2:3]
	v_cmp_lt_f32_e64 s[2:3], v35, v15
	s_nop 1
	v_cndmask_b32_e64 v36, v35, v15, s[2:3]
	v_cmp_lt_f32_e64 s[2:3], v36, v16
	s_nop 1
	v_cndmask_b32_e64 v37, v36, v16, s[2:3]
	v_cmp_lt_f32_e64 s[2:3], v37, v17
	s_nop 1
	v_cndmask_b32_e64 v38, v37, v17, s[2:3]
	v_cmp_lt_f32_e64 s[2:3], v38, v10
	s_nop 1
	v_cndmask_b32_e64 v39, v38, v10, s[2:3]
	v_cmp_lt_f32_e64 s[2:3], v39, v11
	s_nop 1
	v_cndmask_b32_e64 v40, v39, v11, s[2:3]
	v_cmp_lt_f32_e64 s[2:3], v40, v12
	s_nop 1
	v_cndmask_b32_e64 v41, v40, v12, s[2:3]
	v_cmp_lt_f32_e64 s[2:3], v41, v13
	s_nop 1
	v_cndmask_b32_e64 v42, v41, v13, s[2:3]
	v_cmp_lt_f32_e64 s[2:3], v42, v6
	s_nop 1
	v_cndmask_b32_e64 v43, v42, v6, s[2:3]
	v_cmp_lt_f32_e64 s[2:3], v43, v7
	s_nop 1
	v_cndmask_b32_e64 v44, v43, v7, s[2:3]
	v_cmp_lt_f32_e64 s[2:3], v44, v8
	s_nop 1
	v_cndmask_b32_e64 v45, v44, v8, s[2:3]
	v_cmp_lt_f32_e64 s[2:3], v45, v9
	s_nop 1
	v_cndmask_b32_e64 v46, v45, v9, s[2:3]
	v_cmp_lt_f32_e64 s[2:3], v46, v2
	s_nop 1
	v_cndmask_b32_e64 v47, v46, v2, s[2:3]
	v_cmp_lt_f32_e64 s[2:3], v47, v3
	s_nop 1
	v_cndmask_b32_e64 v48, v47, v3, s[2:3]
	v_cmp_lt_f32_e64 s[2:3], v48, v4
	s_nop 1
	v_cndmask_b32_e64 v49, v48, v4, s[2:3]
	s_and_saveexec_b64 s[2:3], vcc
	s_cbranch_execz .LBB150_86
; %bb.85:
	v_mov_b32_e32 v4, 0
	ds_read_b32 v2, v4 offset:1048
	v_mov_b32_e32 v3, 2
	s_waitcnt lgkmcnt(0)
	v_cmp_gt_f32_e32 vcc, v2, v53
	s_nop 1
	v_cndmask_b32_e32 v2, v53, v2, vcc
	global_store_dwordx2 v4, v[2:3], s[28:29] offset:512 sc1
.LBB150_86:
	s_or_b64 exec, exec, s[2:3]
.LBB150_87:
	s_lshl_b64 s[2:3], s[24:25], 2
	s_add_u32 s2, s20, s2
	s_addc_u32 s3, s21, s3
	s_waitcnt lgkmcnt(0)
	s_mov_b64 s[4:5], -1
	s_and_b64 vcc, exec, s[22:23]
	s_barrier
	s_cbranch_vccz .LBB150_89
; %bb.88:
	v_mov_b32_e32 v51, 0
	ds_write_b128 v1, v[26:29]
	ds_write_b128 v1, v[30:33] offset:16
	ds_write_b128 v1, v[34:37] offset:32
	;; [unrolled: 1-line block ×5, first 2 shown]
	s_waitcnt lgkmcnt(0)
	s_barrier
	ds_read2st64_b32 v[2:3], v50 offset1:4
	ds_read2st64_b32 v[4:5], v50 offset0:8 offset1:12
	ds_read2st64_b32 v[6:7], v50 offset0:16 offset1:20
	;; [unrolled: 1-line block ×11, first 2 shown]
	v_lshl_add_u64 v[54:55], s[2:3], 0, v[50:51]
	s_movk_i32 s4, 0x1000
	s_waitcnt lgkmcnt(11)
	global_store_dword v50, v2, s[2:3]
	global_store_dword v50, v3, s[2:3] offset:1024
	s_waitcnt lgkmcnt(10)
	global_store_dword v50, v4, s[2:3] offset:2048
	global_store_dword v50, v5, s[2:3] offset:3072
	v_add_co_u32_e32 v2, vcc, s4, v54
	s_movk_i32 s4, 0x2000
	s_nop 0
	v_addc_co_u32_e32 v3, vcc, 0, v55, vcc
	v_add_co_u32_e32 v4, vcc, s4, v54
	s_movk_i32 s4, 0x3000
	s_nop 0
	v_addc_co_u32_e32 v5, vcc, 0, v55, vcc
	s_waitcnt lgkmcnt(9)
	global_store_dword v[4:5], v6, off offset:-4096
	global_store_dword v[2:3], v7, off offset:1024
	s_waitcnt lgkmcnt(8)
	global_store_dword v[2:3], v8, off offset:2048
	global_store_dword v[2:3], v9, off offset:3072
	s_waitcnt lgkmcnt(7)
	global_store_dword v[4:5], v10, off
	global_store_dword v[4:5], v11, off offset:1024
	s_waitcnt lgkmcnt(6)
	global_store_dword v[4:5], v12, off offset:2048
	global_store_dword v[4:5], v13, off offset:3072
	v_add_co_u32_e32 v2, vcc, s4, v54
	s_movk_i32 s4, 0x4000
	s_nop 0
	v_addc_co_u32_e32 v3, vcc, 0, v55, vcc
	v_add_co_u32_e32 v4, vcc, s4, v54
	s_mov_b64 s[4:5], 0
	s_nop 0
	v_addc_co_u32_e32 v5, vcc, 0, v55, vcc
	s_waitcnt lgkmcnt(5)
	global_store_dword v[4:5], v14, off offset:-4096
	global_store_dword v[2:3], v15, off offset:1024
	s_waitcnt lgkmcnt(4)
	global_store_dword v[2:3], v16, off offset:2048
	global_store_dword v[2:3], v17, off offset:3072
	s_waitcnt lgkmcnt(3)
	global_store_dword v[4:5], v18, off
	global_store_dword v[4:5], v19, off offset:1024
	s_waitcnt lgkmcnt(2)
	global_store_dword v[4:5], v20, off offset:2048
	global_store_dword v[4:5], v21, off offset:3072
	v_add_co_u32_e32 v2, vcc, 0x5000, v54
	s_nop 1
	v_addc_co_u32_e32 v3, vcc, 0, v55, vcc
	s_waitcnt lgkmcnt(1)
	global_store_dword v[2:3], v22, off
	global_store_dword v[2:3], v23, off offset:1024
	s_waitcnt lgkmcnt(0)
	global_store_dword v[2:3], v24, off offset:2048
	global_store_dword v[2:3], v25, off offset:3072
.LBB150_89:
	s_andn2_b64 vcc, exec, s[4:5]
	s_cbranch_vccnz .LBB150_146
; %bb.90:
	s_movk_i32 s4, 0xffa4
	ds_write_b128 v1, v[26:29]
	ds_write_b128 v1, v[30:33] offset:16
	ds_write_b128 v1, v[34:37] offset:32
	;; [unrolled: 1-line block ×5, first 2 shown]
	v_mad_i32_i24 v1, v0, s4, v1
	s_waitcnt lgkmcnt(0)
	s_barrier
	ds_read2st64_b32 v[2:3], v1 offset1:4
	ds_read2st64_b32 v[4:5], v1 offset0:8 offset1:12
	ds_read2st64_b32 v[6:7], v1 offset0:16 offset1:20
	;; [unrolled: 1-line block ×11, first 2 shown]
	v_mov_b32_e32 v51, 0
	v_lshl_add_u64 v[26:27], s[2:3], 0, v[50:51]
	v_cmp_gt_u32_e32 vcc, s33, v0
	s_and_saveexec_b64 s[2:3], vcc
	s_cbranch_execz .LBB150_92
; %bb.91:
	s_waitcnt lgkmcnt(11)
	global_store_dword v[26:27], v2, off
.LBB150_92:
	s_or_b64 exec, exec, s[2:3]
	v_or_b32_e32 v1, 0x100, v0
	v_cmp_gt_u32_e32 vcc, s33, v1
	s_and_saveexec_b64 s[2:3], vcc
	s_cbranch_execz .LBB150_94
; %bb.93:
	s_waitcnt lgkmcnt(11)
	global_store_dword v[26:27], v3, off offset:1024
.LBB150_94:
	s_or_b64 exec, exec, s[2:3]
	v_or_b32_e32 v1, 0x200, v0
	v_cmp_gt_u32_e32 vcc, s33, v1
	s_and_saveexec_b64 s[2:3], vcc
	s_cbranch_execz .LBB150_96
; %bb.95:
	s_waitcnt lgkmcnt(10)
	global_store_dword v[26:27], v4, off offset:2048
.LBB150_96:
	;; [unrolled: 9-line block ×3, first 2 shown]
	s_or_b64 exec, exec, s[2:3]
	v_or_b32_e32 v1, 0x400, v0
	v_cmp_gt_u32_e32 vcc, s33, v1
	s_and_saveexec_b64 s[2:3], vcc
	s_cbranch_execz .LBB150_100
; %bb.99:
	v_add_co_u32_e32 v28, vcc, 0x1000, v26
	s_nop 1
	v_addc_co_u32_e32 v29, vcc, 0, v27, vcc
	s_waitcnt lgkmcnt(9)
	global_store_dword v[28:29], v6, off
.LBB150_100:
	s_or_b64 exec, exec, s[2:3]
	v_or_b32_e32 v1, 0x500, v0
	v_cmp_gt_u32_e32 vcc, s33, v1
	s_and_saveexec_b64 s[2:3], vcc
	s_cbranch_execz .LBB150_102
; %bb.101:
	v_add_co_u32_e32 v28, vcc, 0x1000, v26
	s_nop 1
	v_addc_co_u32_e32 v29, vcc, 0, v27, vcc
	s_waitcnt lgkmcnt(9)
	global_store_dword v[28:29], v7, off offset:1024
.LBB150_102:
	s_or_b64 exec, exec, s[2:3]
	v_or_b32_e32 v1, 0x600, v0
	v_cmp_gt_u32_e32 vcc, s33, v1
	s_and_saveexec_b64 s[2:3], vcc
	s_cbranch_execz .LBB150_104
; %bb.103:
	v_add_co_u32_e32 v28, vcc, 0x1000, v26
	s_nop 1
	v_addc_co_u32_e32 v29, vcc, 0, v27, vcc
	s_waitcnt lgkmcnt(8)
	global_store_dword v[28:29], v16, off offset:2048
.LBB150_104:
	s_or_b64 exec, exec, s[2:3]
	v_or_b32_e32 v1, 0x700, v0
	v_cmp_gt_u32_e32 vcc, s33, v1
	s_and_saveexec_b64 s[2:3], vcc
	s_cbranch_execz .LBB150_106
; %bb.105:
	v_add_co_u32_e32 v28, vcc, 0x1000, v26
	s_nop 1
	v_addc_co_u32_e32 v29, vcc, 0, v27, vcc
	s_waitcnt lgkmcnt(8)
	global_store_dword v[28:29], v17, off offset:3072
.LBB150_106:
	s_or_b64 exec, exec, s[2:3]
	v_or_b32_e32 v1, 0x800, v0
	v_cmp_gt_u32_e32 vcc, s33, v1
	s_and_saveexec_b64 s[2:3], vcc
	s_cbranch_execz .LBB150_108
; %bb.107:
	v_add_co_u32_e32 v28, vcc, 0x2000, v26
	s_nop 1
	v_addc_co_u32_e32 v29, vcc, 0, v27, vcc
	s_waitcnt lgkmcnt(7)
	global_store_dword v[28:29], v14, off
.LBB150_108:
	s_or_b64 exec, exec, s[2:3]
	v_or_b32_e32 v1, 0x900, v0
	v_cmp_gt_u32_e32 vcc, s33, v1
	s_and_saveexec_b64 s[2:3], vcc
	s_cbranch_execz .LBB150_110
; %bb.109:
	v_add_co_u32_e32 v28, vcc, 0x2000, v26
	s_nop 1
	v_addc_co_u32_e32 v29, vcc, 0, v27, vcc
	s_waitcnt lgkmcnt(7)
	global_store_dword v[28:29], v15, off offset:1024
.LBB150_110:
	s_or_b64 exec, exec, s[2:3]
	v_or_b32_e32 v1, 0xa00, v0
	v_cmp_gt_u32_e32 vcc, s33, v1
	s_and_saveexec_b64 s[2:3], vcc
	s_cbranch_execz .LBB150_112
; %bb.111:
	v_add_co_u32_e32 v28, vcc, 0x2000, v26
	s_nop 1
	v_addc_co_u32_e32 v29, vcc, 0, v27, vcc
	s_waitcnt lgkmcnt(6)
	global_store_dword v[28:29], v18, off offset:2048
.LBB150_112:
	s_or_b64 exec, exec, s[2:3]
	v_or_b32_e32 v1, 0xb00, v0
	v_cmp_gt_u32_e32 vcc, s33, v1
	s_and_saveexec_b64 s[2:3], vcc
	s_cbranch_execz .LBB150_114
; %bb.113:
	v_add_co_u32_e32 v28, vcc, 0x2000, v26
	s_nop 1
	v_addc_co_u32_e32 v29, vcc, 0, v27, vcc
	s_waitcnt lgkmcnt(6)
	global_store_dword v[28:29], v19, off offset:3072
.LBB150_114:
	;; [unrolled: 48-line block ×5, first 2 shown]
	s_or_b64 exec, exec, s[2:3]
	s_load_dword s0, s[0:1], 0x50
	s_waitcnt lgkmcnt(0)
	s_bfe_u32 s0, s0, 0x10008
	s_cmp_eq_u32 s0, 0
	s_cbranch_scc1 .LBB150_146
; %bb.139:
	s_add_u32 s0, s33, -1
	s_addc_u32 s1, s34, -1
	s_add_u32 s2, 0, 0xaaaa0000
	s_addc_u32 s3, 0, 42
	s_add_i32 s3, s3, 0xaaaaa80
	s_mul_hi_u32 s9, s2, 0xffffffe8
	s_sub_i32 s9, s9, s2
	s_mul_i32 s10, s3, 0xffffffe8
	s_mul_i32 s4, s2, 0xffffffe8
	s_add_i32 s9, s9, s10
	s_mul_hi_u32 s5, s3, s4
	s_mul_i32 s8, s3, s4
	s_mul_i32 s11, s2, s9
	s_mul_hi_u32 s4, s2, s4
	s_mul_hi_u32 s10, s2, s9
	s_add_u32 s4, s4, s11
	s_addc_u32 s10, 0, s10
	s_add_u32 s4, s4, s8
	s_mul_hi_u32 s11, s3, s9
	s_addc_u32 s4, s10, s5
	s_addc_u32 s5, s11, 0
	s_mul_i32 s8, s3, s9
	s_add_u32 s4, s4, s8
	v_mov_b32_e32 v26, s4
	s_addc_u32 s5, 0, s5
	v_add_co_u32_e32 v26, vcc, s2, v26
	s_cmp_lg_u64 vcc, 0
	s_addc_u32 s2, s3, s5
	v_readfirstlane_b32 s5, v26
	s_mul_i32 s4, s0, s2
	s_mul_hi_u32 s8, s0, s5
	s_mul_hi_u32 s3, s0, s2
	s_add_u32 s4, s8, s4
	s_addc_u32 s3, 0, s3
	s_mul_hi_u32 s9, s1, s5
	s_mul_i32 s5, s1, s5
	s_add_u32 s4, s4, s5
	s_mul_hi_u32 s8, s1, s2
	s_addc_u32 s3, s3, s9
	s_addc_u32 s4, s8, 0
	s_mul_i32 s2, s1, s2
	s_add_u32 s2, s3, s2
	s_addc_u32 s3, 0, s4
	s_add_u32 s4, s2, 1
	s_addc_u32 s5, s3, 0
	s_add_u32 s8, s2, 2
	s_mul_i32 s10, s3, 24
	s_mul_hi_u32 s11, s2, 24
	s_addc_u32 s9, s3, 0
	s_add_i32 s11, s11, s10
	s_mul_i32 s10, s2, 24
	v_mov_b32_e32 v26, s10
	v_sub_co_u32_e32 v26, vcc, s0, v26
	s_cmp_lg_u64 vcc, 0
	s_subb_u32 s10, s1, s11
	v_subrev_co_u32_e32 v27, vcc, 24, v26
	s_cmp_lg_u64 vcc, 0
	s_subb_u32 s11, s10, 0
	v_readfirstlane_b32 s12, v27
	s_cmp_gt_u32 s12, 23
	s_cselect_b32 s12, -1, 0
	s_cmp_eq_u32 s11, 0
	s_cselect_b32 s11, s12, -1
	s_cmp_lg_u32 s11, 0
	s_cselect_b32 s4, s8, s4
	v_readfirstlane_b32 s8, v26
	s_cselect_b32 s5, s9, s5
	s_cmp_gt_u32 s8, 23
	s_cselect_b32 s8, -1, 0
	s_cmp_eq_u32 s10, 0
	s_cselect_b32 s8, s8, -1
	s_cmp_lg_u32 s8, 0
	v_mov_b32_e32 v1, v51
	s_cselect_b32 s3, s5, s3
	s_cselect_b32 s2, s4, s2
	v_cmp_eq_u64_e32 vcc, s[2:3], v[0:1]
	s_and_saveexec_b64 s[2:3], vcc
	s_cbranch_execz .LBB150_146
; %bb.140:
	v_mul_hi_u32_u24_e32 v1, 24, v0
	v_mov_b32_e32 v26, s1
	v_sub_co_u32_e32 v0, vcc, s0, v52
	s_mov_b64 s[0:1], 0
	s_nop 0
	v_subb_co_u32_e32 v1, vcc, v26, v1, vcc
	v_cmp_lt_i64_e32 vcc, 11, v[0:1]
	s_mov_b64 s[10:11], 0
	s_mov_b64 s[8:9], 0
	;; [unrolled: 1-line block ×3, first 2 shown]
	s_and_saveexec_b64 s[2:3], vcc
	s_xor_b64 s[2:3], exec, s[2:3]
	s_cbranch_execnz .LBB150_147
; %bb.141:
	s_andn2_saveexec_b64 s[2:3], s[2:3]
	s_cbranch_execnz .LBB150_192
.LBB150_142:
	s_or_b64 exec, exec, s[2:3]
	s_and_saveexec_b64 s[2:3], s[10:11]
	s_cbranch_execnz .LBB150_207
.LBB150_143:
	s_or_b64 exec, exec, s[2:3]
	s_and_saveexec_b64 s[2:3], s[8:9]
	s_cbranch_execnz .LBB150_208
.LBB150_144:
	s_or_b64 exec, exec, s[2:3]
	s_and_saveexec_b64 s[2:3], s[4:5]
	s_xor_b64 s[2:3], exec, s[2:3]
	s_cbranch_execnz .LBB150_209
.LBB150_145:
	s_or_b64 exec, exec, s[2:3]
	s_and_b64 exec, exec, s[0:1]
	s_cbranch_execnz .LBB150_210
.LBB150_146:
	s_endpgm
.LBB150_147:
	v_cmp_lt_i64_e32 vcc, 17, v[0:1]
	s_and_saveexec_b64 s[12:13], vcc
	s_xor_b64 s[12:13], exec, s[12:13]
	s_cbranch_execz .LBB150_169
; %bb.148:
	v_cmp_lt_i64_e32 vcc, 20, v[0:1]
                                        ; implicit-def: $vgpr9
	s_and_saveexec_b64 s[14:15], vcc
	s_xor_b64 s[14:15], exec, s[14:15]
	s_cbranch_execz .LBB150_158
; %bb.149:
	v_cmp_lt_i64_e32 vcc, 21, v[0:1]
	s_mov_b64 s[16:17], 0
                                        ; implicit-def: $vgpr9
	s_and_saveexec_b64 s[4:5], vcc
	s_xor_b64 s[4:5], exec, s[4:5]
	s_cbranch_execz .LBB150_155
; %bb.150:
	v_cmp_lt_i64_e32 vcc, 22, v[0:1]
	s_and_saveexec_b64 s[16:17], vcc
	s_xor_b64 s[16:17], exec, s[16:17]
	s_cbranch_execz .LBB150_152
; %bb.151:
	v_mov_b32_e32 v8, 0
	global_store_dword v8, v25, s[6:7]
                                        ; implicit-def: $vgpr24
.LBB150_152:
	s_or_saveexec_b64 s[16:17], s[16:17]
	s_mov_b64 s[18:19], 0
	s_xor_b64 exec, exec, s[16:17]
; %bb.153:
	s_mov_b64 s[18:19], exec
; %bb.154:
	s_or_b64 exec, exec, s[16:17]
	s_and_b64 s[16:17], s[18:19], exec
	v_mov_b32_e32 v9, v24
                                        ; implicit-def: $vgpr11
.LBB150_155:
	s_andn2_saveexec_b64 s[4:5], s[4:5]
; %bb.156:
	s_mov_b64 s[8:9], exec
                                        ; implicit-def: $vgpr9
; %bb.157:
	s_or_b64 exec, exec, s[4:5]
	s_and_b64 s[4:5], s[16:17], exec
	s_and_b64 s[8:9], s[8:9], exec
                                        ; implicit-def: $vgpr20_vgpr21
.LBB150_158:
	s_andn2_saveexec_b64 s[14:15], s[14:15]
	s_cbranch_execz .LBB150_168
; %bb.159:
	v_cmp_lt_i64_e32 vcc, 18, v[0:1]
	s_mov_b64 s[16:17], 0
	s_and_saveexec_b64 s[10:11], vcc
	s_xor_b64 s[10:11], exec, s[10:11]
	s_cbranch_execz .LBB150_165
; %bb.160:
	v_cmp_lt_i64_e32 vcc, 19, v[0:1]
	s_and_saveexec_b64 s[18:19], vcc
	s_xor_b64 s[18:19], exec, s[18:19]
; %bb.161:
	s_mov_b64 s[16:17], exec
                                        ; implicit-def: $vgpr20_vgpr21
; %bb.162:
	s_andn2_saveexec_b64 s[18:19], s[18:19]
	s_cbranch_execz .LBB150_164
; %bb.163:
	v_mov_b32_e32 v8, 0
	global_store_dword v8, v21, s[6:7]
                                        ; implicit-def: $vgpr10
.LBB150_164:
	s_or_b64 exec, exec, s[18:19]
	s_and_b64 s[16:17], s[16:17], exec
                                        ; implicit-def: $vgpr20_vgpr21
.LBB150_165:
	s_andn2_saveexec_b64 s[10:11], s[10:11]
	s_cbranch_execz .LBB150_167
; %bb.166:
	v_mov_b32_e32 v8, 0
	global_store_dword v8, v20, s[6:7]
                                        ; implicit-def: $vgpr10
.LBB150_167:
	s_or_b64 exec, exec, s[10:11]
	s_and_b64 s[10:11], s[16:17], exec
                                        ; implicit-def: $vgpr9
.LBB150_168:
	s_or_b64 exec, exec, s[14:15]
	s_and_b64 s[4:5], s[4:5], exec
	s_and_b64 s[8:9], s[8:9], exec
	;; [unrolled: 1-line block ×3, first 2 shown]
                                        ; implicit-def: $vgpr12
                                        ; implicit-def: $vgpr22_vgpr23
.LBB150_169:
	s_andn2_saveexec_b64 s[12:13], s[12:13]
	s_cbranch_execz .LBB150_191
; %bb.170:
	v_cmp_lt_i64_e32 vcc, 14, v[0:1]
	s_mov_b64 s[14:15], s[4:5]
	s_and_saveexec_b64 s[16:17], vcc
	s_xor_b64 s[16:17], exec, s[16:17]
	s_cbranch_execz .LBB150_180
; %bb.171:
	v_cmp_lt_i64_e32 vcc, 15, v[0:1]
	s_and_saveexec_b64 s[14:15], vcc
	s_xor_b64 s[14:15], exec, s[14:15]
	s_cbranch_execz .LBB150_177
; %bb.172:
	v_cmp_lt_i64_e32 vcc, 16, v[0:1]
	s_and_saveexec_b64 s[18:19], vcc
	s_xor_b64 s[18:19], exec, s[18:19]
	s_cbranch_execz .LBB150_174
; %bb.173:
	v_mov_b32_e32 v8, 0
	global_store_dword v8, v23, s[6:7]
                                        ; implicit-def: $vgpr22_vgpr23
.LBB150_174:
	s_andn2_saveexec_b64 s[18:19], s[18:19]
	s_cbranch_execz .LBB150_176
; %bb.175:
	v_mov_b32_e32 v8, 0
	global_store_dword v8, v22, s[6:7]
.LBB150_176:
	s_or_b64 exec, exec, s[18:19]
                                        ; implicit-def: $vgpr9
.LBB150_177:
	s_or_saveexec_b64 s[14:15], s[14:15]
	s_mov_b64 s[18:19], s[4:5]
	s_xor_b64 exec, exec, s[14:15]
; %bb.178:
	s_or_b64 s[18:19], s[4:5], exec
; %bb.179:
	s_or_b64 exec, exec, s[14:15]
	s_andn2_b64 s[14:15], s[4:5], exec
	s_and_b64 s[18:19], s[18:19], exec
	s_or_b64 s[14:15], s[14:15], s[18:19]
                                        ; implicit-def: $vgpr12
.LBB150_180:
	s_or_saveexec_b64 s[16:17], s[16:17]
	s_mov_b64 s[18:19], s[8:9]
                                        ; implicit-def: $vgpr11
	s_xor_b64 exec, exec, s[16:17]
	s_cbranch_execz .LBB150_190
; %bb.181:
	v_cmp_lt_i64_e32 vcc, 12, v[0:1]
	s_mov_b64 s[20:21], s[8:9]
	s_mov_b64 s[22:23], s[14:15]
                                        ; implicit-def: $vgpr11
	s_and_saveexec_b64 s[18:19], vcc
	s_xor_b64 s[18:19], exec, s[18:19]
	s_cbranch_execz .LBB150_187
; %bb.182:
	v_cmp_lt_i64_e32 vcc, 13, v[0:1]
	s_mov_b64 s[20:21], s[14:15]
	s_and_saveexec_b64 s[22:23], vcc
	s_xor_b64 s[22:23], exec, s[22:23]
; %bb.183:
	s_or_b64 s[20:21], s[14:15], exec
                                        ; implicit-def: $vgpr13
; %bb.184:
	s_or_saveexec_b64 s[22:23], s[22:23]
	s_mov_b64 s[24:25], s[8:9]
	s_xor_b64 exec, exec, s[22:23]
; %bb.185:
	s_or_b64 s[24:25], s[8:9], exec
                                        ; implicit-def: $vgpr8
; %bb.186:
	s_or_b64 exec, exec, s[22:23]
	s_andn2_b64 s[22:23], s[14:15], exec
	s_and_b64 s[20:21], s[20:21], exec
	s_or_b64 s[22:23], s[22:23], s[20:21]
	s_andn2_b64 s[20:21], s[8:9], exec
	s_and_b64 s[24:25], s[24:25], exec
	s_or_b64 s[20:21], s[20:21], s[24:25]
	v_mov_b32_e32 v9, v8
	v_mov_b32_e32 v11, v13
                                        ; implicit-def: $vgpr12
.LBB150_187:
	s_andn2_saveexec_b64 s[18:19], s[18:19]
; %bb.188:
	s_or_b64 s[20:21], s[20:21], exec
                                        ; implicit-def: $vgpr9
	v_mov_b32_e32 v11, v12
; %bb.189:
	s_or_b64 exec, exec, s[18:19]
	s_andn2_b64 s[14:15], s[14:15], exec
	s_and_b64 s[18:19], s[22:23], exec
	s_or_b64 s[14:15], s[14:15], s[18:19]
	s_andn2_b64 s[18:19], s[8:9], exec
	s_and_b64 s[20:21], s[20:21], exec
	s_or_b64 s[18:19], s[18:19], s[20:21]
.LBB150_190:
	s_or_b64 exec, exec, s[16:17]
	s_andn2_b64 s[4:5], s[4:5], exec
	s_and_b64 s[14:15], s[14:15], exec
	s_or_b64 s[4:5], s[4:5], s[14:15]
	s_andn2_b64 s[8:9], s[8:9], exec
	s_and_b64 s[14:15], s[18:19], exec
	s_or_b64 s[8:9], s[8:9], s[14:15]
.LBB150_191:
	s_or_b64 exec, exec, s[12:13]
	s_and_b64 s[4:5], s[4:5], exec
	s_and_b64 s[8:9], s[8:9], exec
	;; [unrolled: 1-line block ×3, first 2 shown]
                                        ; implicit-def: $vgpr16
                                        ; implicit-def: $vgpr14
                                        ; implicit-def: $vgpr18
	s_andn2_saveexec_b64 s[2:3], s[2:3]
	s_cbranch_execz .LBB150_142
.LBB150_192:
	v_cmp_lt_i64_e32 vcc, 5, v[0:1]
	s_mov_b64 s[14:15], -1
	s_mov_b64 s[12:13], s[10:11]
	s_mov_b64 s[16:17], s[8:9]
	;; [unrolled: 1-line block ×3, first 2 shown]
                                        ; implicit-def: $vgpr9
                                        ; implicit-def: $vgpr11
	s_and_saveexec_b64 s[0:1], vcc
	s_cbranch_execz .LBB150_206
; %bb.193:
	v_cmp_lt_i64_e32 vcc, 8, v[0:1]
	s_mov_b64 s[12:13], s[10:11]
                                        ; implicit-def: $vgpr10
	s_and_saveexec_b64 s[14:15], vcc
	s_xor_b64 s[14:15], exec, s[14:15]
	s_cbranch_execz .LBB150_201
; %bb.194:
	v_cmp_lt_i64_e32 vcc, 9, v[0:1]
	s_and_saveexec_b64 s[12:13], vcc
	s_xor_b64 s[12:13], exec, s[12:13]
	s_cbranch_execz .LBB150_198
; %bb.195:
	v_cmp_lt_i64_e32 vcc, 10, v[0:1]
	s_and_saveexec_b64 s[16:17], vcc
	s_xor_b64 s[16:17], exec, s[16:17]
	s_andn2_saveexec_b64 s[16:17], s[16:17]
; %bb.196:
	v_mov_b32_e32 v19, v18
; %bb.197:
	s_or_b64 exec, exec, s[16:17]
                                        ; implicit-def: $vgpr15
.LBB150_198:
	s_andn2_saveexec_b64 s[12:13], s[12:13]
; %bb.199:
	v_mov_b32_e32 v19, v15
; %bb.200:
	s_or_b64 exec, exec, s[12:13]
	s_or_b64 s[12:13], s[10:11], exec
	v_mov_b32_e32 v10, v19
                                        ; implicit-def: $vgpr16
                                        ; implicit-def: $vgpr14
.LBB150_201:
	s_or_saveexec_b64 s[14:15], s[14:15]
	s_mov_b64 s[16:17], s[8:9]
	s_mov_b64 s[20:21], s[4:5]
                                        ; implicit-def: $vgpr9
	s_xor_b64 exec, exec, s[14:15]
	s_cbranch_execz .LBB150_205
; %bb.202:
	v_cmp_lt_i64_e32 vcc, 6, v[0:1]
	s_mov_b64 s[20:21], -1
	s_mov_b64 s[18:19], s[12:13]
	s_mov_b64 s[16:17], s[8:9]
	s_and_saveexec_b64 s[22:23], vcc
; %bb.203:
	v_cmp_lt_i64_e32 vcc, 7, v[0:1]
	s_andn2_b64 s[18:19], s[12:13], exec
	s_and_b64 s[24:25], vcc, exec
	s_xor_b64 s[20:21], exec, -1
	s_or_b64 s[16:17], s[8:9], exec
	s_or_b64 s[18:19], s[18:19], s[24:25]
; %bb.204:
	s_or_b64 exec, exec, s[22:23]
	s_andn2_b64 s[22:23], s[4:5], exec
	s_and_b64 s[20:21], s[20:21], exec
	s_or_b64 s[20:21], s[22:23], s[20:21]
	s_andn2_b64 s[22:23], s[8:9], exec
	s_and_b64 s[16:17], s[16:17], exec
	s_andn2_b64 s[12:13], s[12:13], exec
	s_and_b64 s[18:19], s[18:19], exec
	s_or_b64 s[16:17], s[22:23], s[16:17]
	s_or_b64 s[12:13], s[12:13], s[18:19]
	v_mov_b32_e32 v9, v16
	v_mov_b32_e32 v11, v17
	;; [unrolled: 1-line block ×3, first 2 shown]
.LBB150_205:
	s_or_b64 exec, exec, s[14:15]
	s_andn2_b64 s[18:19], s[4:5], exec
	s_and_b64 s[20:21], s[20:21], exec
	s_or_b64 s[18:19], s[18:19], s[20:21]
	s_andn2_b64 s[20:21], s[8:9], exec
	s_and_b64 s[16:17], s[16:17], exec
	s_or_b64 s[16:17], s[20:21], s[16:17]
	s_andn2_b64 s[20:21], s[10:11], exec
	s_and_b64 s[12:13], s[12:13], exec
	s_xor_b64 s[14:15], exec, -1
	s_or_b64 s[12:13], s[20:21], s[12:13]
.LBB150_206:
	s_or_b64 exec, exec, s[0:1]
	s_and_b64 s[0:1], s[14:15], exec
	s_andn2_b64 s[4:5], s[4:5], exec
	s_and_b64 s[14:15], s[18:19], exec
	s_or_b64 s[4:5], s[4:5], s[14:15]
	s_andn2_b64 s[8:9], s[8:9], exec
	s_and_b64 s[14:15], s[16:17], exec
	s_andn2_b64 s[10:11], s[10:11], exec
	s_and_b64 s[12:13], s[12:13], exec
	s_or_b64 s[8:9], s[8:9], s[14:15]
	s_or_b64 s[10:11], s[10:11], s[12:13]
	s_or_b64 exec, exec, s[2:3]
	s_and_saveexec_b64 s[2:3], s[10:11]
	s_cbranch_execz .LBB150_143
.LBB150_207:
	v_mov_b32_e32 v8, 0
	s_andn2_b64 s[8:9], s[8:9], exec
	global_store_dword v8, v10, s[6:7]
                                        ; implicit-def: $vgpr9
                                        ; implicit-def: $vgpr11
	s_or_b64 exec, exec, s[2:3]
	s_and_saveexec_b64 s[2:3], s[8:9]
	s_cbranch_execz .LBB150_144
.LBB150_208:
	v_mov_b32_e32 v8, 0
	global_store_dword v8, v11, s[6:7]
                                        ; implicit-def: $vgpr9
	s_or_b64 exec, exec, s[2:3]
	s_and_saveexec_b64 s[2:3], s[4:5]
	s_xor_b64 s[2:3], exec, s[2:3]
	s_cbranch_execz .LBB150_145
.LBB150_209:
	v_mov_b32_e32 v8, 0
	global_store_dword v8, v9, s[6:7]
	s_or_b64 exec, exec, s[2:3]
	s_and_b64 exec, exec, s[0:1]
	s_cbranch_execz .LBB150_146
.LBB150_210:
	v_cmp_lt_i64_e32 vcc, 2, v[0:1]
	s_and_saveexec_b64 s[0:1], vcc
	s_xor_b64 s[0:1], exec, s[0:1]
	s_cbranch_execz .LBB150_220
; %bb.211:
	v_cmp_lt_i64_e32 vcc, 3, v[0:1]
	s_and_saveexec_b64 s[2:3], vcc
	s_xor_b64 s[2:3], exec, s[2:3]
	s_cbranch_execz .LBB150_217
; %bb.212:
	;; [unrolled: 5-line block ×3, first 2 shown]
	v_mov_b32_e32 v0, 0
	global_store_dword v0, v7, s[6:7]
                                        ; implicit-def: $vgpr6_vgpr7
.LBB150_214:
	s_andn2_saveexec_b64 s[4:5], s[4:5]
	s_cbranch_execz .LBB150_216
; %bb.215:
	v_mov_b32_e32 v0, 0
	global_store_dword v0, v6, s[6:7]
.LBB150_216:
	s_or_b64 exec, exec, s[4:5]
                                        ; implicit-def: $vgpr4_vgpr5
.LBB150_217:
	s_andn2_saveexec_b64 s[2:3], s[2:3]
	s_cbranch_execz .LBB150_219
; %bb.218:
	v_mov_b32_e32 v0, 0
	global_store_dword v0, v5, s[6:7]
.LBB150_219:
	s_or_b64 exec, exec, s[2:3]
                                        ; implicit-def: $vgpr0_vgpr1
                                        ; implicit-def: $vgpr4_vgpr5
                                        ; implicit-def: $vgpr2_vgpr3
.LBB150_220:
	s_andn2_saveexec_b64 s[0:1], s[0:1]
	s_cbranch_execz .LBB150_146
; %bb.221:
	v_cmp_lt_i64_e32 vcc, 1, v[0:1]
	s_and_saveexec_b64 s[0:1], vcc
	s_xor_b64 s[0:1], exec, s[0:1]
	s_cbranch_execz .LBB150_223
; %bb.222:
	v_mov_b32_e32 v0, 0
	global_store_dword v0, v4, s[6:7]
                                        ; implicit-def: $vgpr2_vgpr3
                                        ; implicit-def: $vgpr0_vgpr1
.LBB150_223:
	s_andn2_saveexec_b64 s[0:1], s[0:1]
	s_cbranch_execz .LBB150_146
; %bb.224:
	v_cmp_ne_u64_e32 vcc, 1, v[0:1]
	s_and_saveexec_b64 s[0:1], vcc
	s_xor_b64 s[0:1], exec, s[0:1]
	s_cbranch_execz .LBB150_226
; %bb.225:
	v_mov_b32_e32 v0, 0
	global_store_dword v0, v2, s[6:7]
                                        ; implicit-def: $vgpr2_vgpr3
.LBB150_226:
	s_andn2_saveexec_b64 s[0:1], s[0:1]
	s_cbranch_execz .LBB150_146
; %bb.227:
	v_mov_b32_e32 v0, 0
	global_store_dword v0, v3, s[6:7]
	s_endpgm
	.section	.rodata,"a",@progbits
	.p2align	6, 0x0
	.amdhsa_kernel _ZN7rocprim6detail20lookback_scan_kernelILNS0_25lookback_scan_determinismE0ELb1ENS0_19wrapped_scan_configINS_14default_configEfEEN6hipcub22TransformInputIteratorIsNS6_6CastOpIsEEPslEEPfNS6_3MaxENS_12future_valueIfSC_EEfNS0_19lookback_scan_stateIfLb0ELb1EEEEEvT2_T3_mT5_T4_T7_jPT6_SO_bb
		.amdhsa_group_segment_fixed_size 24576
		.amdhsa_private_segment_fixed_size 0
		.amdhsa_kernarg_size 84
		.amdhsa_user_sgpr_count 2
		.amdhsa_user_sgpr_dispatch_ptr 0
		.amdhsa_user_sgpr_queue_ptr 0
		.amdhsa_user_sgpr_kernarg_segment_ptr 1
		.amdhsa_user_sgpr_dispatch_id 0
		.amdhsa_user_sgpr_kernarg_preload_length 0
		.amdhsa_user_sgpr_kernarg_preload_offset 0
		.amdhsa_user_sgpr_private_segment_size 0
		.amdhsa_uses_dynamic_stack 0
		.amdhsa_enable_private_segment 0
		.amdhsa_system_sgpr_workgroup_id_x 1
		.amdhsa_system_sgpr_workgroup_id_y 0
		.amdhsa_system_sgpr_workgroup_id_z 0
		.amdhsa_system_sgpr_workgroup_info 0
		.amdhsa_system_vgpr_workitem_id 0
		.amdhsa_next_free_vgpr 56
		.amdhsa_next_free_sgpr 36
		.amdhsa_accum_offset 56
		.amdhsa_reserve_vcc 1
		.amdhsa_float_round_mode_32 0
		.amdhsa_float_round_mode_16_64 0
		.amdhsa_float_denorm_mode_32 3
		.amdhsa_float_denorm_mode_16_64 3
		.amdhsa_dx10_clamp 1
		.amdhsa_ieee_mode 1
		.amdhsa_fp16_overflow 0
		.amdhsa_tg_split 0
		.amdhsa_exception_fp_ieee_invalid_op 0
		.amdhsa_exception_fp_denorm_src 0
		.amdhsa_exception_fp_ieee_div_zero 0
		.amdhsa_exception_fp_ieee_overflow 0
		.amdhsa_exception_fp_ieee_underflow 0
		.amdhsa_exception_fp_ieee_inexact 0
		.amdhsa_exception_int_div_zero 0
	.end_amdhsa_kernel
	.section	.text._ZN7rocprim6detail20lookback_scan_kernelILNS0_25lookback_scan_determinismE0ELb1ENS0_19wrapped_scan_configINS_14default_configEfEEN6hipcub22TransformInputIteratorIsNS6_6CastOpIsEEPslEEPfNS6_3MaxENS_12future_valueIfSC_EEfNS0_19lookback_scan_stateIfLb0ELb1EEEEEvT2_T3_mT5_T4_T7_jPT6_SO_bb,"axG",@progbits,_ZN7rocprim6detail20lookback_scan_kernelILNS0_25lookback_scan_determinismE0ELb1ENS0_19wrapped_scan_configINS_14default_configEfEEN6hipcub22TransformInputIteratorIsNS6_6CastOpIsEEPslEEPfNS6_3MaxENS_12future_valueIfSC_EEfNS0_19lookback_scan_stateIfLb0ELb1EEEEEvT2_T3_mT5_T4_T7_jPT6_SO_bb,comdat
.Lfunc_end150:
	.size	_ZN7rocprim6detail20lookback_scan_kernelILNS0_25lookback_scan_determinismE0ELb1ENS0_19wrapped_scan_configINS_14default_configEfEEN6hipcub22TransformInputIteratorIsNS6_6CastOpIsEEPslEEPfNS6_3MaxENS_12future_valueIfSC_EEfNS0_19lookback_scan_stateIfLb0ELb1EEEEEvT2_T3_mT5_T4_T7_jPT6_SO_bb, .Lfunc_end150-_ZN7rocprim6detail20lookback_scan_kernelILNS0_25lookback_scan_determinismE0ELb1ENS0_19wrapped_scan_configINS_14default_configEfEEN6hipcub22TransformInputIteratorIsNS6_6CastOpIsEEPslEEPfNS6_3MaxENS_12future_valueIfSC_EEfNS0_19lookback_scan_stateIfLb0ELb1EEEEEvT2_T3_mT5_T4_T7_jPT6_SO_bb
                                        ; -- End function
	.section	.AMDGPU.csdata,"",@progbits
; Kernel info:
; codeLenInByte = 9876
; NumSgprs: 42
; NumVgprs: 56
; NumAgprs: 0
; TotalNumVgprs: 56
; ScratchSize: 0
; MemoryBound: 0
; FloatMode: 240
; IeeeMode: 1
; LDSByteSize: 24576 bytes/workgroup (compile time only)
; SGPRBlocks: 5
; VGPRBlocks: 6
; NumSGPRsForWavesPerEU: 42
; NumVGPRsForWavesPerEU: 56
; AccumOffset: 56
; Occupancy: 2
; WaveLimiterHint : 1
; COMPUTE_PGM_RSRC2:SCRATCH_EN: 0
; COMPUTE_PGM_RSRC2:USER_SGPR: 2
; COMPUTE_PGM_RSRC2:TRAP_HANDLER: 0
; COMPUTE_PGM_RSRC2:TGID_X_EN: 1
; COMPUTE_PGM_RSRC2:TGID_Y_EN: 0
; COMPUTE_PGM_RSRC2:TGID_Z_EN: 0
; COMPUTE_PGM_RSRC2:TIDIG_COMP_CNT: 0
; COMPUTE_PGM_RSRC3_GFX90A:ACCUM_OFFSET: 13
; COMPUTE_PGM_RSRC3_GFX90A:TG_SPLIT: 0
	.section	.text._ZN7rocprim6detail16transform_kernelINS0_24wrapped_transform_configINS_14default_configEfEEfPfS5_NS_8identityIfEEEEvT1_mT2_T3_,"axG",@progbits,_ZN7rocprim6detail16transform_kernelINS0_24wrapped_transform_configINS_14default_configEfEEfPfS5_NS_8identityIfEEEEvT1_mT2_T3_,comdat
	.protected	_ZN7rocprim6detail16transform_kernelINS0_24wrapped_transform_configINS_14default_configEfEEfPfS5_NS_8identityIfEEEEvT1_mT2_T3_ ; -- Begin function _ZN7rocprim6detail16transform_kernelINS0_24wrapped_transform_configINS_14default_configEfEEfPfS5_NS_8identityIfEEEEvT1_mT2_T3_
	.globl	_ZN7rocprim6detail16transform_kernelINS0_24wrapped_transform_configINS_14default_configEfEEfPfS5_NS_8identityIfEEEEvT1_mT2_T3_
	.p2align	8
	.type	_ZN7rocprim6detail16transform_kernelINS0_24wrapped_transform_configINS_14default_configEfEEfPfS5_NS_8identityIfEEEEvT1_mT2_T3_,@function
_ZN7rocprim6detail16transform_kernelINS0_24wrapped_transform_configINS_14default_configEfEEfPfS5_NS_8identityIfEEEEvT1_mT2_T3_: ; @_ZN7rocprim6detail16transform_kernelINS0_24wrapped_transform_configINS_14default_configEfEEfPfS5_NS_8identityIfEEEEvT1_mT2_T3_
; %bb.0:
	s_load_dword s3, s[0:1], 0x20
	s_load_dwordx4 s[4:7], s[0:1], 0x0
	s_load_dwordx2 s[8:9], s[0:1], 0x10
	s_lshl_b32 s0, s2, 10
	s_mov_b32 s1, 0
	s_waitcnt lgkmcnt(0)
	s_add_i32 s3, s3, -1
	s_lshl_b64 s[10:11], s[0:1], 2
	s_add_u32 s4, s4, s10
	s_addc_u32 s5, s5, s11
	v_mov_b32_e32 v7, 0
	v_lshlrev_b32_e32 v6, 2, v0
	s_cmp_lg_u32 s2, s3
	v_lshl_add_u64 v[8:9], s[4:5], 0, v[6:7]
	s_cbranch_scc0 .LBB151_2
; %bb.1:
	global_load_dword v2, v[8:9], off
	global_load_dword v3, v[8:9], off offset:1024
	global_load_dword v4, v[8:9], off offset:2048
	;; [unrolled: 1-line block ×3, first 2 shown]
	s_add_u32 s4, s8, s10
	s_addc_u32 s5, s9, s11
	s_mov_b64 s[12:13], -1
	s_waitcnt vmcnt(3)
	global_store_dword v6, v2, s[4:5]
	s_waitcnt vmcnt(3)
	global_store_dword v6, v3, s[4:5] offset:1024
	s_waitcnt vmcnt(3)
	global_store_dword v6, v4, s[4:5] offset:2048
	s_cbranch_execz .LBB151_3
	s_branch .LBB151_17
.LBB151_2:
	s_mov_b64 s[12:13], 0
                                        ; implicit-def: $vgpr1
.LBB151_3:
	s_sub_i32 s6, s6, s0
	v_cmp_gt_u32_e32 vcc, s6, v0
                                        ; implicit-def: $vgpr2_vgpr3_vgpr4_vgpr5
	s_and_saveexec_b64 s[0:1], vcc
	s_cbranch_execz .LBB151_5
; %bb.4:
	global_load_dword v2, v[8:9], off
.LBB151_5:
	s_or_b64 exec, exec, s[0:1]
	s_waitcnt vmcnt(3)
	v_or_b32_e32 v1, 0x100, v0
	v_cmp_gt_u32_e64 s[0:1], s6, v1
	s_and_saveexec_b64 s[2:3], s[0:1]
	s_cbranch_execz .LBB151_7
; %bb.6:
	global_load_dword v3, v[8:9], off offset:1024
.LBB151_7:
	s_or_b64 exec, exec, s[2:3]
	v_or_b32_e32 v1, 0x200, v0
	v_cmp_gt_u32_e64 s[2:3], s6, v1
	s_and_saveexec_b64 s[4:5], s[2:3]
	s_cbranch_execz .LBB151_9
; %bb.8:
	global_load_dword v4, v[8:9], off offset:2048
.LBB151_9:
	s_or_b64 exec, exec, s[4:5]
	;; [unrolled: 8-line block ×3, first 2 shown]
	s_add_u32 s6, s8, s10
	s_addc_u32 s7, s9, s11
	v_mov_b32_e32 v7, 0
	v_lshl_add_u64 v[0:1], s[6:7], 0, v[6:7]
	s_and_saveexec_b64 s[6:7], vcc
	s_cbranch_execnz .LBB151_20
; %bb.12:
	s_or_b64 exec, exec, s[6:7]
	s_and_saveexec_b64 s[6:7], s[0:1]
	s_cbranch_execnz .LBB151_21
.LBB151_13:
	s_or_b64 exec, exec, s[6:7]
	s_and_saveexec_b64 s[0:1], s[2:3]
	s_cbranch_execnz .LBB151_22
.LBB151_14:
	s_or_b64 exec, exec, s[0:1]
                                        ; implicit-def: $vgpr1
	s_and_saveexec_b64 s[0:1], s[4:5]
	s_cbranch_execz .LBB151_16
.LBB151_15:
	s_waitcnt vmcnt(0)
	v_cndmask_b32_e64 v1, v5, v5, s[4:5]
	s_or_b64 s[12:13], s[12:13], exec
.LBB151_16:
	s_or_b64 exec, exec, s[0:1]
.LBB151_17:
	s_and_saveexec_b64 s[0:1], s[12:13]
	s_cbranch_execnz .LBB151_19
; %bb.18:
	s_endpgm
.LBB151_19:
	s_add_u32 s0, s8, s10
	s_addc_u32 s1, s9, s11
	s_waitcnt vmcnt(3)
	global_store_dword v6, v1, s[0:1] offset:3072
	s_endpgm
.LBB151_20:
	s_waitcnt vmcnt(0)
	global_store_dword v[0:1], v2, off
	s_or_b64 exec, exec, s[6:7]
	s_and_saveexec_b64 s[6:7], s[0:1]
	s_cbranch_execz .LBB151_13
.LBB151_21:
	s_waitcnt vmcnt(0)
	global_store_dword v[0:1], v3, off offset:1024
	s_or_b64 exec, exec, s[6:7]
	s_and_saveexec_b64 s[0:1], s[2:3]
	s_cbranch_execz .LBB151_14
.LBB151_22:
	s_waitcnt vmcnt(0)
	v_cndmask_b32_e64 v2, v4, v4, s[2:3]
	global_store_dword v[0:1], v2, off offset:2048
	s_or_b64 exec, exec, s[0:1]
                                        ; implicit-def: $vgpr1
	s_and_saveexec_b64 s[0:1], s[4:5]
	s_cbranch_execnz .LBB151_15
	s_branch .LBB151_16
	.section	.rodata,"a",@progbits
	.p2align	6, 0x0
	.amdhsa_kernel _ZN7rocprim6detail16transform_kernelINS0_24wrapped_transform_configINS_14default_configEfEEfPfS5_NS_8identityIfEEEEvT1_mT2_T3_
		.amdhsa_group_segment_fixed_size 0
		.amdhsa_private_segment_fixed_size 0
		.amdhsa_kernarg_size 288
		.amdhsa_user_sgpr_count 2
		.amdhsa_user_sgpr_dispatch_ptr 0
		.amdhsa_user_sgpr_queue_ptr 0
		.amdhsa_user_sgpr_kernarg_segment_ptr 1
		.amdhsa_user_sgpr_dispatch_id 0
		.amdhsa_user_sgpr_kernarg_preload_length 0
		.amdhsa_user_sgpr_kernarg_preload_offset 0
		.amdhsa_user_sgpr_private_segment_size 0
		.amdhsa_uses_dynamic_stack 0
		.amdhsa_enable_private_segment 0
		.amdhsa_system_sgpr_workgroup_id_x 1
		.amdhsa_system_sgpr_workgroup_id_y 0
		.amdhsa_system_sgpr_workgroup_id_z 0
		.amdhsa_system_sgpr_workgroup_info 0
		.amdhsa_system_vgpr_workitem_id 0
		.amdhsa_next_free_vgpr 10
		.amdhsa_next_free_sgpr 14
		.amdhsa_accum_offset 12
		.amdhsa_reserve_vcc 1
		.amdhsa_float_round_mode_32 0
		.amdhsa_float_round_mode_16_64 0
		.amdhsa_float_denorm_mode_32 3
		.amdhsa_float_denorm_mode_16_64 3
		.amdhsa_dx10_clamp 1
		.amdhsa_ieee_mode 1
		.amdhsa_fp16_overflow 0
		.amdhsa_tg_split 0
		.amdhsa_exception_fp_ieee_invalid_op 0
		.amdhsa_exception_fp_denorm_src 0
		.amdhsa_exception_fp_ieee_div_zero 0
		.amdhsa_exception_fp_ieee_overflow 0
		.amdhsa_exception_fp_ieee_underflow 0
		.amdhsa_exception_fp_ieee_inexact 0
		.amdhsa_exception_int_div_zero 0
	.end_amdhsa_kernel
	.section	.text._ZN7rocprim6detail16transform_kernelINS0_24wrapped_transform_configINS_14default_configEfEEfPfS5_NS_8identityIfEEEEvT1_mT2_T3_,"axG",@progbits,_ZN7rocprim6detail16transform_kernelINS0_24wrapped_transform_configINS_14default_configEfEEfPfS5_NS_8identityIfEEEEvT1_mT2_T3_,comdat
.Lfunc_end151:
	.size	_ZN7rocprim6detail16transform_kernelINS0_24wrapped_transform_configINS_14default_configEfEEfPfS5_NS_8identityIfEEEEvT1_mT2_T3_, .Lfunc_end151-_ZN7rocprim6detail16transform_kernelINS0_24wrapped_transform_configINS_14default_configEfEEfPfS5_NS_8identityIfEEEEvT1_mT2_T3_
                                        ; -- End function
	.section	.AMDGPU.csdata,"",@progbits
; Kernel info:
; codeLenInByte = 512
; NumSgprs: 20
; NumVgprs: 10
; NumAgprs: 0
; TotalNumVgprs: 10
; ScratchSize: 0
; MemoryBound: 0
; FloatMode: 240
; IeeeMode: 1
; LDSByteSize: 0 bytes/workgroup (compile time only)
; SGPRBlocks: 2
; VGPRBlocks: 1
; NumSGPRsForWavesPerEU: 20
; NumVGPRsForWavesPerEU: 10
; AccumOffset: 12
; Occupancy: 8
; WaveLimiterHint : 1
; COMPUTE_PGM_RSRC2:SCRATCH_EN: 0
; COMPUTE_PGM_RSRC2:USER_SGPR: 2
; COMPUTE_PGM_RSRC2:TRAP_HANDLER: 0
; COMPUTE_PGM_RSRC2:TGID_X_EN: 1
; COMPUTE_PGM_RSRC2:TGID_Y_EN: 0
; COMPUTE_PGM_RSRC2:TGID_Z_EN: 0
; COMPUTE_PGM_RSRC2:TIDIG_COMP_CNT: 0
; COMPUTE_PGM_RSRC3_GFX90A:ACCUM_OFFSET: 2
; COMPUTE_PGM_RSRC3_GFX90A:TG_SPLIT: 0
	.section	.text._ZN7rocprim6detail18single_scan_kernelILb1ENS0_19wrapped_scan_configINS_14default_configEfEEN6hipcub22TransformInputIteratorIsNS5_6CastOpIsEEPslEEPfNS5_3MaxENS_12future_valueIfSB_EEfEEvT1_mT4_T2_T3_,"axG",@progbits,_ZN7rocprim6detail18single_scan_kernelILb1ENS0_19wrapped_scan_configINS_14default_configEfEEN6hipcub22TransformInputIteratorIsNS5_6CastOpIsEEPslEEPfNS5_3MaxENS_12future_valueIfSB_EEfEEvT1_mT4_T2_T3_,comdat
	.protected	_ZN7rocprim6detail18single_scan_kernelILb1ENS0_19wrapped_scan_configINS_14default_configEfEEN6hipcub22TransformInputIteratorIsNS5_6CastOpIsEEPslEEPfNS5_3MaxENS_12future_valueIfSB_EEfEEvT1_mT4_T2_T3_ ; -- Begin function _ZN7rocprim6detail18single_scan_kernelILb1ENS0_19wrapped_scan_configINS_14default_configEfEEN6hipcub22TransformInputIteratorIsNS5_6CastOpIsEEPslEEPfNS5_3MaxENS_12future_valueIfSB_EEfEEvT1_mT4_T2_T3_
	.globl	_ZN7rocprim6detail18single_scan_kernelILb1ENS0_19wrapped_scan_configINS_14default_configEfEEN6hipcub22TransformInputIteratorIsNS5_6CastOpIsEEPslEEPfNS5_3MaxENS_12future_valueIfSB_EEfEEvT1_mT4_T2_T3_
	.p2align	8
	.type	_ZN7rocprim6detail18single_scan_kernelILb1ENS0_19wrapped_scan_configINS_14default_configEfEEN6hipcub22TransformInputIteratorIsNS5_6CastOpIsEEPslEEPfNS5_3MaxENS_12future_valueIfSB_EEfEEvT1_mT4_T2_T3_,@function
_ZN7rocprim6detail18single_scan_kernelILb1ENS0_19wrapped_scan_configINS_14default_configEfEEN6hipcub22TransformInputIteratorIsNS5_6CastOpIsEEPslEEPfNS5_3MaxENS_12future_valueIfSB_EEfEEvT1_mT4_T2_T3_: ; @_ZN7rocprim6detail18single_scan_kernelILb1ENS0_19wrapped_scan_configINS_14default_configEfEEN6hipcub22TransformInputIteratorIsNS5_6CastOpIsEEPslEEPfNS5_3MaxENS_12future_valueIfSB_EEfEEvT1_mT4_T2_T3_
; %bb.0:
	s_load_dwordx2 s[2:3], s[0:1], 0x0
	s_load_dwordx4 s[52:55], s[0:1], 0x10
	v_mov_b32_e32 v3, 0
	v_lshlrev_b32_e32 v2, 1, v0
	s_waitcnt lgkmcnt(0)
	global_load_sshort v1, v3, s[2:3]
	v_lshl_add_u64 v[2:3], s[2:3], 0, v[2:3]
	v_cmp_gt_u32_e64 s[50:51], s52, v0
	s_waitcnt vmcnt(0)
	v_cvt_f32_i32_e32 v1, v1
	v_mov_b32_e32 v4, v1
	s_and_saveexec_b64 s[2:3], s[50:51]
	s_cbranch_execz .LBB152_2
; %bb.1:
	global_load_sshort v4, v[2:3], off
	s_waitcnt vmcnt(0)
	v_cvt_f32_i32_e32 v4, v4
.LBB152_2:
	s_or_b64 exec, exec, s[2:3]
	v_or_b32_e32 v5, 0x100, v0
	v_cmp_gt_u32_e64 s[2:3], s52, v5
	v_mov_b32_e32 v5, v1
	s_and_saveexec_b64 s[4:5], s[2:3]
	s_cbranch_execz .LBB152_4
; %bb.3:
	global_load_sshort v5, v[2:3], off offset:512
	s_waitcnt vmcnt(0)
	v_cvt_f32_i32_e32 v5, v5
.LBB152_4:
	s_or_b64 exec, exec, s[4:5]
	v_or_b32_e32 v6, 0x200, v0
	v_cmp_gt_u32_e64 s[4:5], s52, v6
	v_mov_b32_e32 v6, v1
	s_and_saveexec_b64 s[6:7], s[4:5]
	s_cbranch_execz .LBB152_6
; %bb.5:
	global_load_sshort v6, v[2:3], off offset:1024
	s_waitcnt vmcnt(0)
	v_cvt_f32_i32_e32 v6, v6
.LBB152_6:
	;; [unrolled: 11-line block ×7, first 2 shown]
	s_or_b64 exec, exec, s[16:17]
	v_or_b32_e32 v12, 0x800, v0
	v_cmp_gt_u32_e64 s[16:17], s52, v12
	v_mov_b32_e32 v12, v1
	s_and_saveexec_b64 s[18:19], s[16:17]
	s_cbranch_execz .LBB152_18
; %bb.17:
	v_add_co_u32_e32 v12, vcc, 0x1000, v2
	s_nop 1
	v_addc_co_u32_e32 v13, vcc, 0, v3, vcc
	global_load_sshort v12, v[12:13], off
	s_waitcnt vmcnt(0)
	v_cvt_f32_i32_e32 v12, v12
.LBB152_18:
	s_or_b64 exec, exec, s[18:19]
	v_or_b32_e32 v13, 0x900, v0
	v_cmp_gt_u32_e64 s[18:19], s52, v13
	v_mov_b32_e32 v13, v1
	s_and_saveexec_b64 s[20:21], s[18:19]
	s_cbranch_execz .LBB152_20
; %bb.19:
	v_add_co_u32_e32 v14, vcc, 0x1000, v2
	s_nop 1
	v_addc_co_u32_e32 v15, vcc, 0, v3, vcc
	global_load_sshort v13, v[14:15], off offset:512
	s_waitcnt vmcnt(0)
	v_cvt_f32_i32_e32 v13, v13
.LBB152_20:
	s_or_b64 exec, exec, s[20:21]
	v_or_b32_e32 v14, 0xa00, v0
	v_cmp_gt_u32_e64 s[20:21], s52, v14
	v_mov_b32_e32 v14, v1
	s_and_saveexec_b64 s[22:23], s[20:21]
	s_cbranch_execz .LBB152_22
; %bb.21:
	v_add_co_u32_e32 v14, vcc, 0x1000, v2
	s_nop 1
	v_addc_co_u32_e32 v15, vcc, 0, v3, vcc
	global_load_sshort v14, v[14:15], off offset:1024
	s_waitcnt vmcnt(0)
	v_cvt_f32_i32_e32 v14, v14
.LBB152_22:
	;; [unrolled: 14-line block ×7, first 2 shown]
	s_or_b64 exec, exec, s[34:35]
	v_or_b32_e32 v20, 0x1000, v0
	v_cmp_gt_u32_e64 s[34:35], s52, v20
	v_mov_b32_e32 v20, v1
	s_and_saveexec_b64 s[36:37], s[34:35]
	s_cbranch_execz .LBB152_34
; %bb.33:
	v_add_co_u32_e32 v20, vcc, 0x2000, v2
	s_nop 1
	v_addc_co_u32_e32 v21, vcc, 0, v3, vcc
	global_load_sshort v20, v[20:21], off
	s_waitcnt vmcnt(0)
	v_cvt_f32_i32_e32 v20, v20
.LBB152_34:
	s_or_b64 exec, exec, s[36:37]
	v_or_b32_e32 v21, 0x1100, v0
	v_cmp_gt_u32_e64 s[36:37], s52, v21
	v_mov_b32_e32 v21, v1
	s_and_saveexec_b64 s[38:39], s[36:37]
	s_cbranch_execz .LBB152_36
; %bb.35:
	v_add_co_u32_e32 v22, vcc, 0x2000, v2
	s_nop 1
	v_addc_co_u32_e32 v23, vcc, 0, v3, vcc
	global_load_sshort v21, v[22:23], off offset:512
	s_waitcnt vmcnt(0)
	v_cvt_f32_i32_e32 v21, v21
.LBB152_36:
	s_or_b64 exec, exec, s[38:39]
	v_or_b32_e32 v22, 0x1200, v0
	v_cmp_gt_u32_e64 s[38:39], s52, v22
	v_mov_b32_e32 v22, v1
	s_and_saveexec_b64 s[40:41], s[38:39]
	s_cbranch_execz .LBB152_38
; %bb.37:
	v_add_co_u32_e32 v22, vcc, 0x2000, v2
	s_nop 1
	v_addc_co_u32_e32 v23, vcc, 0, v3, vcc
	global_load_sshort v22, v[22:23], off offset:1024
	s_waitcnt vmcnt(0)
	v_cvt_f32_i32_e32 v22, v22
.LBB152_38:
	s_or_b64 exec, exec, s[40:41]
	v_or_b32_e32 v23, 0x1300, v0
	v_cmp_gt_u32_e64 s[40:41], s52, v23
	v_mov_b32_e32 v23, v1
	s_and_saveexec_b64 s[42:43], s[40:41]
	s_cbranch_execz .LBB152_40
; %bb.39:
	v_add_co_u32_e32 v24, vcc, 0x2000, v2
	s_nop 1
	v_addc_co_u32_e32 v25, vcc, 0, v3, vcc
	global_load_sshort v23, v[24:25], off offset:1536
	s_waitcnt vmcnt(0)
	v_cvt_f32_i32_e32 v23, v23
.LBB152_40:
	s_or_b64 exec, exec, s[42:43]
	v_or_b32_e32 v24, 0x1400, v0
	v_cmp_gt_u32_e64 s[42:43], s52, v24
	v_mov_b32_e32 v24, v1
	s_and_saveexec_b64 s[44:45], s[42:43]
	s_cbranch_execz .LBB152_42
; %bb.41:
	v_add_co_u32_e32 v24, vcc, 0x2000, v2
	s_nop 1
	v_addc_co_u32_e32 v25, vcc, 0, v3, vcc
	global_load_sshort v24, v[24:25], off offset:2048
	s_waitcnt vmcnt(0)
	v_cvt_f32_i32_e32 v24, v24
.LBB152_42:
	s_or_b64 exec, exec, s[44:45]
	v_or_b32_e32 v25, 0x1500, v0
	v_cmp_gt_u32_e64 s[44:45], s52, v25
	v_mov_b32_e32 v25, v1
	s_and_saveexec_b64 s[46:47], s[44:45]
	s_cbranch_execz .LBB152_44
; %bb.43:
	v_add_co_u32_e32 v26, vcc, 0x2000, v2
	s_nop 1
	v_addc_co_u32_e32 v27, vcc, 0, v3, vcc
	global_load_sshort v25, v[26:27], off offset:2560
	s_waitcnt vmcnt(0)
	v_cvt_f32_i32_e32 v25, v25
.LBB152_44:
	s_or_b64 exec, exec, s[46:47]
	v_or_b32_e32 v26, 0x1600, v0
	v_cmp_gt_u32_e64 s[46:47], s52, v26
	v_mov_b32_e32 v26, v1
	s_and_saveexec_b64 s[48:49], s[46:47]
	s_cbranch_execz .LBB152_46
; %bb.45:
	v_add_co_u32_e32 v26, vcc, 0x2000, v2
	s_nop 1
	v_addc_co_u32_e32 v27, vcc, 0, v3, vcc
	global_load_sshort v26, v[26:27], off offset:3072
	s_waitcnt vmcnt(0)
	v_cvt_f32_i32_e32 v26, v26
.LBB152_46:
	s_or_b64 exec, exec, s[48:49]
	s_load_dwordx2 s[56:57], s[0:1], 0x20
	s_load_dword s33, s[54:55], 0x0
	v_or_b32_e32 v27, 0x1700, v0
	v_cmp_gt_u32_e64 s[48:49], s52, v27
	s_and_saveexec_b64 s[0:1], s[48:49]
	s_cbranch_execz .LBB152_48
; %bb.47:
	v_add_co_u32_e32 v2, vcc, 0x2000, v2
	s_nop 1
	v_addc_co_u32_e32 v3, vcc, 0, v3, vcc
	global_load_sshort v1, v[2:3], off offset:3584
	s_waitcnt vmcnt(0)
	v_cvt_f32_i32_e32 v1, v1
.LBB152_48:
	s_or_b64 exec, exec, s[0:1]
	v_lshlrev_b32_e32 v30, 2, v0
	s_movk_i32 s0, 0x5c
	ds_write2st64_b32 v30, v4, v5 offset1:4
	ds_write2st64_b32 v30, v6, v7 offset0:8 offset1:12
	ds_write2st64_b32 v30, v8, v9 offset0:16 offset1:20
	;; [unrolled: 1-line block ×11, first 2 shown]
	v_mad_u32_u24 v1, v0, s0, v30
	s_waitcnt lgkmcnt(0)
	s_barrier
	ds_read_b128 v[22:25], v1
	ds_read_b128 v[18:21], v1 offset:16
	ds_read_b128 v[14:17], v1 offset:32
	;; [unrolled: 1-line block ×5, first 2 shown]
	s_waitcnt lgkmcnt(5)
	v_cmp_lt_f32_e32 vcc, v22, v23
	s_waitcnt lgkmcnt(0)
	s_barrier
	v_cndmask_b32_e32 v26, v22, v23, vcc
	v_cmp_lt_f32_e32 vcc, v26, v24
	s_nop 1
	v_cndmask_b32_e32 v26, v26, v24, vcc
	v_cmp_lt_f32_e32 vcc, v26, v25
	s_nop 1
	;; [unrolled: 3-line block ×22, first 2 shown]
	v_cndmask_b32_e32 v5, v26, v5, vcc
	v_lshrrev_b32_e32 v26, 3, v0
	v_and_b32_e32 v27, 28, v26
	v_add_u32_e32 v27, v30, v27
	v_cmp_gt_u32_e32 vcc, 64, v0
	ds_write_b32 v27, v5
	s_waitcnt lgkmcnt(0)
	s_barrier
	s_and_saveexec_b64 s[52:53], vcc
	s_cbranch_execz .LBB152_50
; %bb.49:
	v_add_lshl_u32 v31, v26, v30, 2
	ds_read2_b32 v[26:27], v31 offset1:1
	ds_read2_b32 v[28:29], v31 offset0:2 offset1:3
	v_mbcnt_lo_u32_b32 v33, -1, 0
	v_mbcnt_hi_u32_b32 v33, -1, v33
	v_and_b32_e32 v34, 15, v33
	s_waitcnt lgkmcnt(1)
	v_cmp_lt_f32_e32 vcc, v26, v27
	s_nop 1
	v_cndmask_b32_e32 v32, v26, v27, vcc
	s_waitcnt lgkmcnt(0)
	v_cmp_lt_f32_e32 vcc, v32, v28
	s_nop 1
	v_cndmask_b32_e32 v32, v32, v28, vcc
	v_cmp_lt_f32_e32 vcc, v32, v29
	s_nop 1
	v_cndmask_b32_e32 v32, v32, v29, vcc
	v_cmp_eq_u32_e32 vcc, 0, v34
	s_nop 0
	v_mov_b32_dpp v35, v32 row_shr:1 row_mask:0xf bank_mask:0xf
	v_cmp_gt_f32_e64 s[0:1], v32, v35
	s_or_b64 vcc, vcc, s[0:1]
	v_cndmask_b32_e32 v32, v35, v32, vcc
	s_nop 1
	v_mov_b32_dpp v35, v32 row_shr:2 row_mask:0xf bank_mask:0xf
	v_cmp_gt_f32_e32 vcc, v32, v35
	s_nop 1
	v_cndmask_b32_e32 v35, v35, v32, vcc
	v_cmp_lt_u32_e32 vcc, 1, v34
	s_nop 1
	v_cndmask_b32_e32 v32, v32, v35, vcc
	s_nop 1
	v_mov_b32_dpp v35, v32 row_shr:4 row_mask:0xf bank_mask:0xf
	v_cmp_gt_f32_e32 vcc, v32, v35
	s_nop 1
	v_cndmask_b32_e32 v35, v35, v32, vcc
	v_cmp_lt_u32_e32 vcc, 3, v34
	s_nop 1
	;; [unrolled: 8-line block ×3, first 2 shown]
	v_cndmask_b32_e32 v32, v32, v35, vcc
	v_and_b32_e32 v35, 16, v33
	v_cmp_eq_u32_e32 vcc, 0, v35
	v_mov_b32_dpp v34, v32 row_bcast:15 row_mask:0xf bank_mask:0xf
	v_cmp_gt_f32_e64 s[0:1], v32, v34
	s_or_b64 vcc, vcc, s[0:1]
	v_cndmask_b32_e32 v32, v34, v32, vcc
	v_and_b32_e32 v35, 64, v33
	s_nop 0
	v_mov_b32_dpp v34, v32 row_bcast:31 row_mask:0xf bank_mask:0xf
	v_cmp_gt_f32_e32 vcc, v32, v34
	s_nop 1
	v_cndmask_b32_e32 v34, v34, v32, vcc
	v_cmp_lt_u32_e32 vcc, 31, v33
	s_nop 1
	v_cndmask_b32_e32 v32, v32, v34, vcc
	v_add_u32_e32 v34, -1, v33
	v_cmp_lt_i32_e32 vcc, v34, v35
	s_nop 1
	v_cndmask_b32_e32 v33, v34, v33, vcc
	v_lshlrev_b32_e32 v33, 2, v33
	ds_bpermute_b32 v32, v33, v32
	s_waitcnt lgkmcnt(0)
	v_cmp_gt_f32_e32 vcc, v26, v32
	s_nop 1
	v_cndmask_b32_e32 v26, v32, v26, vcc
	v_cmp_eq_u32_e32 vcc, 0, v0
	s_nop 1
	v_cndmask_b32_e32 v5, v26, v5, vcc
	v_cmp_lt_f32_e32 vcc, v5, v27
	s_nop 1
	v_cndmask_b32_e32 v26, v5, v27, vcc
	v_cmp_lt_f32_e32 vcc, v26, v28
	ds_write2_b32 v31, v5, v26 offset1:1
	s_nop 0
	v_cndmask_b32_e32 v5, v26, v28, vcc
	v_cmp_lt_f32_e32 vcc, v5, v29
	s_nop 1
	v_cndmask_b32_e32 v26, v5, v29, vcc
	ds_write2_b32 v31, v5, v26 offset0:2 offset1:3
.LBB152_50:
	s_or_b64 exec, exec, s[52:53]
	v_cmp_ne_u32_e32 vcc, 0, v0
	v_mov_b32_e32 v26, s33
	s_waitcnt lgkmcnt(0)
	s_barrier
	s_and_saveexec_b64 s[0:1], vcc
	s_cbranch_execz .LBB152_52
; %bb.51:
	v_add_u32_e32 v5, -1, v0
	v_lshrrev_b32_e32 v26, 5, v5
	v_add_lshl_u32 v5, v26, v5, 2
	ds_read_b32 v5, v5
	v_mov_b32_e32 v26, s33
	s_waitcnt lgkmcnt(0)
	v_cmp_lt_f32_e32 vcc, s33, v5
	s_nop 1
	v_cndmask_b32_e32 v26, v26, v5, vcc
.LBB152_52:
	s_or_b64 exec, exec, s[0:1]
	v_cmp_lt_f32_e32 vcc, v26, v22
	s_movk_i32 s0, 0xffa4
	v_mad_i32_i24 v0, v0, s0, v1
	v_cndmask_b32_e32 v27, v26, v22, vcc
	v_cmp_lt_f32_e32 vcc, v27, v23
	s_barrier
	s_nop 0
	v_cndmask_b32_e32 v28, v27, v23, vcc
	v_cmp_lt_f32_e32 vcc, v28, v24
	v_mov_b32_e32 v31, 0
	s_nop 0
	v_cndmask_b32_e32 v29, v28, v24, vcc
	v_cmp_lt_f32_e32 vcc, v29, v25
	s_nop 1
	v_cndmask_b32_e32 v22, v29, v25, vcc
	v_cmp_lt_f32_e32 vcc, v22, v18
	;; [unrolled: 3-line block ×20, first 2 shown]
	v_lshl_add_u64 v[2:3], s[56:57], 0, v[30:31]
	s_nop 0
	v_cndmask_b32_e32 v9, v8, v4, vcc
	ds_write_b128 v1, v[26:29]
	ds_write_b128 v1, v[22:25] offset:16
	ds_write_b128 v1, v[18:21] offset:32
	;; [unrolled: 1-line block ×5, first 2 shown]
	s_waitcnt lgkmcnt(0)
	s_barrier
	ds_read2st64_b32 v[22:23], v0 offset0:4 offset1:8
	ds_read2st64_b32 v[20:21], v0 offset0:12 offset1:20
	;; [unrolled: 1-line block ×10, first 2 shown]
	ds_read_b32 v24, v30 offset:20480
	ds_read2st64_b32 v[0:1], v0 offset0:88 offset1:92
	s_and_saveexec_b64 s[0:1], s[50:51]
	s_cbranch_execnz .LBB152_77
; %bb.53:
	s_or_b64 exec, exec, s[0:1]
	s_and_saveexec_b64 s[0:1], s[2:3]
	s_cbranch_execnz .LBB152_78
.LBB152_54:
	s_or_b64 exec, exec, s[0:1]
	s_and_saveexec_b64 s[0:1], s[4:5]
	s_cbranch_execnz .LBB152_79
.LBB152_55:
	s_or_b64 exec, exec, s[0:1]
	s_and_saveexec_b64 s[0:1], s[6:7]
	s_cbranch_execnz .LBB152_80
.LBB152_56:
	s_or_b64 exec, exec, s[0:1]
	s_and_saveexec_b64 s[0:1], s[8:9]
	s_cbranch_execnz .LBB152_81
.LBB152_57:
	s_or_b64 exec, exec, s[0:1]
	s_and_saveexec_b64 s[0:1], s[10:11]
	s_cbranch_execnz .LBB152_82
.LBB152_58:
	s_or_b64 exec, exec, s[0:1]
	s_and_saveexec_b64 s[0:1], s[12:13]
	s_cbranch_execnz .LBB152_83
.LBB152_59:
	s_or_b64 exec, exec, s[0:1]
	s_and_saveexec_b64 s[0:1], s[14:15]
	s_cbranch_execnz .LBB152_84
.LBB152_60:
	s_or_b64 exec, exec, s[0:1]
	s_and_saveexec_b64 s[0:1], s[16:17]
	s_cbranch_execnz .LBB152_85
.LBB152_61:
	s_or_b64 exec, exec, s[0:1]
	s_and_saveexec_b64 s[0:1], s[18:19]
	s_cbranch_execnz .LBB152_86
.LBB152_62:
	s_or_b64 exec, exec, s[0:1]
	s_and_saveexec_b64 s[0:1], s[20:21]
	s_cbranch_execnz .LBB152_87
.LBB152_63:
	s_or_b64 exec, exec, s[0:1]
	s_and_saveexec_b64 s[0:1], s[22:23]
	s_cbranch_execnz .LBB152_88
.LBB152_64:
	s_or_b64 exec, exec, s[0:1]
	s_and_saveexec_b64 s[0:1], s[24:25]
	s_cbranch_execnz .LBB152_89
.LBB152_65:
	s_or_b64 exec, exec, s[0:1]
	s_and_saveexec_b64 s[0:1], s[26:27]
	s_cbranch_execnz .LBB152_90
.LBB152_66:
	s_or_b64 exec, exec, s[0:1]
	s_and_saveexec_b64 s[0:1], s[28:29]
	s_cbranch_execnz .LBB152_91
.LBB152_67:
	s_or_b64 exec, exec, s[0:1]
	s_and_saveexec_b64 s[0:1], s[30:31]
	s_cbranch_execnz .LBB152_92
.LBB152_68:
	s_or_b64 exec, exec, s[0:1]
	s_and_saveexec_b64 s[0:1], s[34:35]
	s_cbranch_execnz .LBB152_93
.LBB152_69:
	s_or_b64 exec, exec, s[0:1]
	s_and_saveexec_b64 s[0:1], s[36:37]
	s_cbranch_execnz .LBB152_94
.LBB152_70:
	s_or_b64 exec, exec, s[0:1]
	s_and_saveexec_b64 s[0:1], s[38:39]
	s_cbranch_execnz .LBB152_95
.LBB152_71:
	s_or_b64 exec, exec, s[0:1]
	s_and_saveexec_b64 s[0:1], s[40:41]
	s_cbranch_execnz .LBB152_96
.LBB152_72:
	s_or_b64 exec, exec, s[0:1]
	s_and_saveexec_b64 s[0:1], s[42:43]
	s_cbranch_execnz .LBB152_97
.LBB152_73:
	s_or_b64 exec, exec, s[0:1]
	s_and_saveexec_b64 s[0:1], s[44:45]
	s_cbranch_execnz .LBB152_98
.LBB152_74:
	s_or_b64 exec, exec, s[0:1]
	s_and_saveexec_b64 s[0:1], s[46:47]
	s_cbranch_execnz .LBB152_99
.LBB152_75:
	s_or_b64 exec, exec, s[0:1]
	s_and_saveexec_b64 s[0:1], s[48:49]
	s_cbranch_execnz .LBB152_100
.LBB152_76:
	s_endpgm
.LBB152_77:
	ds_read_b32 v25, v30
	s_waitcnt lgkmcnt(0)
	global_store_dword v[2:3], v25, off
	s_or_b64 exec, exec, s[0:1]
	s_and_saveexec_b64 s[0:1], s[2:3]
	s_cbranch_execz .LBB152_54
.LBB152_78:
	s_waitcnt lgkmcnt(11)
	global_store_dword v[2:3], v22, off offset:1024
	s_or_b64 exec, exec, s[0:1]
	s_and_saveexec_b64 s[0:1], s[4:5]
	s_cbranch_execz .LBB152_55
.LBB152_79:
	s_waitcnt lgkmcnt(11)
	global_store_dword v[2:3], v23, off offset:2048
	s_or_b64 exec, exec, s[0:1]
	s_and_saveexec_b64 s[0:1], s[6:7]
	s_cbranch_execz .LBB152_56
.LBB152_80:
	s_waitcnt lgkmcnt(10)
	global_store_dword v[2:3], v20, off offset:3072
	s_or_b64 exec, exec, s[0:1]
	s_and_saveexec_b64 s[0:1], s[8:9]
	s_cbranch_execz .LBB152_57
.LBB152_81:
	s_waitcnt lgkmcnt(11)
	v_add_co_u32_e32 v22, vcc, 0x1000, v2
	s_nop 1
	v_addc_co_u32_e32 v23, vcc, 0, v3, vcc
	s_waitcnt lgkmcnt(9)
	global_store_dword v[22:23], v16, off
	s_or_b64 exec, exec, s[0:1]
	s_and_saveexec_b64 s[0:1], s[10:11]
	s_cbranch_execz .LBB152_58
.LBB152_82:
	s_waitcnt lgkmcnt(11)
	v_add_co_u32_e32 v22, vcc, 0x1000, v2
	s_nop 1
	v_addc_co_u32_e32 v23, vcc, 0, v3, vcc
	s_waitcnt lgkmcnt(10)
	global_store_dword v[22:23], v21, off offset:1024
	s_or_b64 exec, exec, s[0:1]
	s_and_saveexec_b64 s[0:1], s[12:13]
	s_cbranch_execz .LBB152_59
.LBB152_83:
	s_waitcnt lgkmcnt(10)
	v_add_co_u32_e32 v20, vcc, 0x1000, v2
	s_nop 1
	v_addc_co_u32_e32 v21, vcc, 0, v3, vcc
	s_waitcnt lgkmcnt(8)
	global_store_dword v[20:21], v18, off offset:2048
	s_or_b64 exec, exec, s[0:1]
	s_and_saveexec_b64 s[0:1], s[14:15]
	s_cbranch_execz .LBB152_60
.LBB152_84:
	s_waitcnt lgkmcnt(10)
	v_add_co_u32_e32 v20, vcc, 0x1000, v2
	s_nop 1
	v_addc_co_u32_e32 v21, vcc, 0, v3, vcc
	s_waitcnt lgkmcnt(8)
	global_store_dword v[20:21], v19, off offset:3072
	s_or_b64 exec, exec, s[0:1]
	s_and_saveexec_b64 s[0:1], s[16:17]
	s_cbranch_execz .LBB152_61
.LBB152_85:
	s_waitcnt lgkmcnt(8)
	v_add_co_u32_e32 v18, vcc, 0x2000, v2
	s_nop 1
	v_addc_co_u32_e32 v19, vcc, 0, v3, vcc
	global_store_dword v[18:19], v17, off
	s_or_b64 exec, exec, s[0:1]
	s_and_saveexec_b64 s[0:1], s[18:19]
	s_cbranch_execz .LBB152_62
.LBB152_86:
	s_waitcnt lgkmcnt(9)
	v_add_co_u32_e32 v16, vcc, 0x2000, v2
	s_nop 1
	v_addc_co_u32_e32 v17, vcc, 0, v3, vcc
	s_waitcnt lgkmcnt(7)
	global_store_dword v[16:17], v14, off offset:1024
	s_or_b64 exec, exec, s[0:1]
	s_and_saveexec_b64 s[0:1], s[20:21]
	s_cbranch_execz .LBB152_63
.LBB152_87:
	s_waitcnt lgkmcnt(9)
	v_add_co_u32_e32 v16, vcc, 0x2000, v2
	s_nop 1
	v_addc_co_u32_e32 v17, vcc, 0, v3, vcc
	s_waitcnt lgkmcnt(7)
	global_store_dword v[16:17], v15, off offset:2048
	s_or_b64 exec, exec, s[0:1]
	s_and_saveexec_b64 s[0:1], s[22:23]
	s_cbranch_execz .LBB152_64
.LBB152_88:
	s_waitcnt lgkmcnt(7)
	v_add_co_u32_e32 v14, vcc, 0x2000, v2
	s_nop 1
	v_addc_co_u32_e32 v15, vcc, 0, v3, vcc
	s_waitcnt lgkmcnt(6)
	global_store_dword v[14:15], v12, off offset:3072
	s_or_b64 exec, exec, s[0:1]
	s_and_saveexec_b64 s[0:1], s[24:25]
	s_cbranch_execz .LBB152_65
.LBB152_89:
	s_waitcnt lgkmcnt(7)
	v_add_co_u32_e32 v14, vcc, 0x3000, v2
	s_nop 1
	v_addc_co_u32_e32 v15, vcc, 0, v3, vcc
	s_waitcnt lgkmcnt(5)
	global_store_dword v[14:15], v8, off
	s_or_b64 exec, exec, s[0:1]
	s_and_saveexec_b64 s[0:1], s[26:27]
	s_cbranch_execz .LBB152_66
.LBB152_90:
	s_waitcnt lgkmcnt(7)
	v_add_co_u32_e32 v14, vcc, 0x3000, v2
	s_nop 1
	v_addc_co_u32_e32 v15, vcc, 0, v3, vcc
	s_waitcnt lgkmcnt(6)
	global_store_dword v[14:15], v13, off offset:1024
	s_or_b64 exec, exec, s[0:1]
	s_and_saveexec_b64 s[0:1], s[28:29]
	s_cbranch_execz .LBB152_67
.LBB152_91:
	s_waitcnt lgkmcnt(6)
	v_add_co_u32_e32 v12, vcc, 0x3000, v2
	s_nop 1
	v_addc_co_u32_e32 v13, vcc, 0, v3, vcc
	s_waitcnt lgkmcnt(4)
	global_store_dword v[12:13], v10, off offset:2048
	s_or_b64 exec, exec, s[0:1]
	s_and_saveexec_b64 s[0:1], s[30:31]
	s_cbranch_execz .LBB152_68
.LBB152_92:
	s_waitcnt lgkmcnt(6)
	v_add_co_u32_e32 v12, vcc, 0x3000, v2
	s_nop 1
	v_addc_co_u32_e32 v13, vcc, 0, v3, vcc
	s_waitcnt lgkmcnt(4)
	global_store_dword v[12:13], v11, off offset:3072
	s_or_b64 exec, exec, s[0:1]
	s_and_saveexec_b64 s[0:1], s[34:35]
	s_cbranch_execz .LBB152_69
.LBB152_93:
	s_waitcnt lgkmcnt(4)
	v_add_co_u32_e32 v10, vcc, 0x4000, v2
	s_nop 1
	v_addc_co_u32_e32 v11, vcc, 0, v3, vcc
	global_store_dword v[10:11], v9, off
	s_or_b64 exec, exec, s[0:1]
	s_and_saveexec_b64 s[0:1], s[36:37]
	s_cbranch_execz .LBB152_70
.LBB152_94:
	s_waitcnt lgkmcnt(5)
	v_add_co_u32_e32 v8, vcc, 0x4000, v2
	s_nop 1
	v_addc_co_u32_e32 v9, vcc, 0, v3, vcc
	s_waitcnt lgkmcnt(3)
	global_store_dword v[8:9], v6, off offset:1024
	s_or_b64 exec, exec, s[0:1]
	s_and_saveexec_b64 s[0:1], s[38:39]
	s_cbranch_execz .LBB152_71
.LBB152_95:
	s_waitcnt lgkmcnt(5)
	v_add_co_u32_e32 v8, vcc, 0x4000, v2
	s_nop 1
	v_addc_co_u32_e32 v9, vcc, 0, v3, vcc
	s_waitcnt lgkmcnt(3)
	global_store_dword v[8:9], v7, off offset:2048
	s_or_b64 exec, exec, s[0:1]
	s_and_saveexec_b64 s[0:1], s[40:41]
	s_cbranch_execz .LBB152_72
.LBB152_96:
	s_waitcnt lgkmcnt(3)
	v_add_co_u32_e32 v6, vcc, 0x4000, v2
	s_nop 1
	v_addc_co_u32_e32 v7, vcc, 0, v3, vcc
	s_waitcnt lgkmcnt(2)
	global_store_dword v[6:7], v4, off offset:3072
	s_or_b64 exec, exec, s[0:1]
	s_and_saveexec_b64 s[0:1], s[42:43]
	s_cbranch_execz .LBB152_73
.LBB152_97:
	s_waitcnt lgkmcnt(3)
	v_add_co_u32_e32 v6, vcc, 0x5000, v2
	s_nop 1
	v_addc_co_u32_e32 v7, vcc, 0, v3, vcc
	s_waitcnt lgkmcnt(1)
	global_store_dword v[6:7], v24, off
	s_or_b64 exec, exec, s[0:1]
	s_and_saveexec_b64 s[0:1], s[44:45]
	s_cbranch_execz .LBB152_74
.LBB152_98:
	s_waitcnt lgkmcnt(3)
	v_add_co_u32_e32 v6, vcc, 0x5000, v2
	s_nop 1
	v_addc_co_u32_e32 v7, vcc, 0, v3, vcc
	s_waitcnt lgkmcnt(2)
	global_store_dword v[6:7], v5, off offset:1024
	s_or_b64 exec, exec, s[0:1]
	s_and_saveexec_b64 s[0:1], s[46:47]
	s_cbranch_execz .LBB152_75
.LBB152_99:
	s_waitcnt lgkmcnt(2)
	v_add_co_u32_e32 v4, vcc, 0x5000, v2
	s_nop 1
	v_addc_co_u32_e32 v5, vcc, 0, v3, vcc
	s_waitcnt lgkmcnt(0)
	global_store_dword v[4:5], v0, off offset:2048
	s_or_b64 exec, exec, s[0:1]
	s_and_saveexec_b64 s[0:1], s[48:49]
	s_cbranch_execz .LBB152_76
.LBB152_100:
	v_add_co_u32_e32 v2, vcc, 0x5000, v2
	s_nop 1
	v_addc_co_u32_e32 v3, vcc, 0, v3, vcc
	s_waitcnt lgkmcnt(0)
	global_store_dword v[2:3], v1, off offset:3072
	s_endpgm
	.section	.rodata,"a",@progbits
	.p2align	6, 0x0
	.amdhsa_kernel _ZN7rocprim6detail18single_scan_kernelILb1ENS0_19wrapped_scan_configINS_14default_configEfEEN6hipcub22TransformInputIteratorIsNS5_6CastOpIsEEPslEEPfNS5_3MaxENS_12future_valueIfSB_EEfEEvT1_mT4_T2_T3_
		.amdhsa_group_segment_fixed_size 24576
		.amdhsa_private_segment_fixed_size 0
		.amdhsa_kernarg_size 44
		.amdhsa_user_sgpr_count 2
		.amdhsa_user_sgpr_dispatch_ptr 0
		.amdhsa_user_sgpr_queue_ptr 0
		.amdhsa_user_sgpr_kernarg_segment_ptr 1
		.amdhsa_user_sgpr_dispatch_id 0
		.amdhsa_user_sgpr_kernarg_preload_length 0
		.amdhsa_user_sgpr_kernarg_preload_offset 0
		.amdhsa_user_sgpr_private_segment_size 0
		.amdhsa_uses_dynamic_stack 0
		.amdhsa_enable_private_segment 0
		.amdhsa_system_sgpr_workgroup_id_x 1
		.amdhsa_system_sgpr_workgroup_id_y 0
		.amdhsa_system_sgpr_workgroup_id_z 0
		.amdhsa_system_sgpr_workgroup_info 0
		.amdhsa_system_vgpr_workitem_id 0
		.amdhsa_next_free_vgpr 36
		.amdhsa_next_free_sgpr 58
		.amdhsa_accum_offset 36
		.amdhsa_reserve_vcc 1
		.amdhsa_float_round_mode_32 0
		.amdhsa_float_round_mode_16_64 0
		.amdhsa_float_denorm_mode_32 3
		.amdhsa_float_denorm_mode_16_64 3
		.amdhsa_dx10_clamp 1
		.amdhsa_ieee_mode 1
		.amdhsa_fp16_overflow 0
		.amdhsa_tg_split 0
		.amdhsa_exception_fp_ieee_invalid_op 0
		.amdhsa_exception_fp_denorm_src 0
		.amdhsa_exception_fp_ieee_div_zero 0
		.amdhsa_exception_fp_ieee_overflow 0
		.amdhsa_exception_fp_ieee_underflow 0
		.amdhsa_exception_fp_ieee_inexact 0
		.amdhsa_exception_int_div_zero 0
	.end_amdhsa_kernel
	.section	.text._ZN7rocprim6detail18single_scan_kernelILb1ENS0_19wrapped_scan_configINS_14default_configEfEEN6hipcub22TransformInputIteratorIsNS5_6CastOpIsEEPslEEPfNS5_3MaxENS_12future_valueIfSB_EEfEEvT1_mT4_T2_T3_,"axG",@progbits,_ZN7rocprim6detail18single_scan_kernelILb1ENS0_19wrapped_scan_configINS_14default_configEfEEN6hipcub22TransformInputIteratorIsNS5_6CastOpIsEEPslEEPfNS5_3MaxENS_12future_valueIfSB_EEfEEvT1_mT4_T2_T3_,comdat
.Lfunc_end152:
	.size	_ZN7rocprim6detail18single_scan_kernelILb1ENS0_19wrapped_scan_configINS_14default_configEfEEN6hipcub22TransformInputIteratorIsNS5_6CastOpIsEEPslEEPfNS5_3MaxENS_12future_valueIfSB_EEfEEvT1_mT4_T2_T3_, .Lfunc_end152-_ZN7rocprim6detail18single_scan_kernelILb1ENS0_19wrapped_scan_configINS_14default_configEfEEN6hipcub22TransformInputIteratorIsNS5_6CastOpIsEEPslEEPfNS5_3MaxENS_12future_valueIfSB_EEfEEvT1_mT4_T2_T3_
                                        ; -- End function
	.section	.AMDGPU.csdata,"",@progbits
; Kernel info:
; codeLenInByte = 4144
; NumSgprs: 64
; NumVgprs: 36
; NumAgprs: 0
; TotalNumVgprs: 36
; ScratchSize: 0
; MemoryBound: 0
; FloatMode: 240
; IeeeMode: 1
; LDSByteSize: 24576 bytes/workgroup (compile time only)
; SGPRBlocks: 7
; VGPRBlocks: 4
; NumSGPRsForWavesPerEU: 64
; NumVGPRsForWavesPerEU: 36
; AccumOffset: 36
; Occupancy: 2
; WaveLimiterHint : 0
; COMPUTE_PGM_RSRC2:SCRATCH_EN: 0
; COMPUTE_PGM_RSRC2:USER_SGPR: 2
; COMPUTE_PGM_RSRC2:TRAP_HANDLER: 0
; COMPUTE_PGM_RSRC2:TGID_X_EN: 1
; COMPUTE_PGM_RSRC2:TGID_Y_EN: 0
; COMPUTE_PGM_RSRC2:TGID_Z_EN: 0
; COMPUTE_PGM_RSRC2:TIDIG_COMP_CNT: 0
; COMPUTE_PGM_RSRC3_GFX90A:ACCUM_OFFSET: 8
; COMPUTE_PGM_RSRC3_GFX90A:TG_SPLIT: 0
	.section	.text._ZL18fill_initial_valueIfEvPT_S0_,"axG",@progbits,_ZL18fill_initial_valueIfEvPT_S0_,comdat
	.globl	_ZL18fill_initial_valueIfEvPT_S0_ ; -- Begin function _ZL18fill_initial_valueIfEvPT_S0_
	.p2align	8
	.type	_ZL18fill_initial_valueIfEvPT_S0_,@function
_ZL18fill_initial_valueIfEvPT_S0_:      ; @_ZL18fill_initial_valueIfEvPT_S0_
; %bb.0:
	s_load_dword s4, s[0:1], 0x8
	s_load_dwordx2 s[2:3], s[0:1], 0x0
	v_mov_b32_e32 v0, 0
	s_waitcnt lgkmcnt(0)
	v_mov_b32_e32 v1, s4
	global_store_dword v0, v1, s[2:3]
	s_endpgm
	.section	.rodata,"a",@progbits
	.p2align	6, 0x0
	.amdhsa_kernel _ZL18fill_initial_valueIfEvPT_S0_
		.amdhsa_group_segment_fixed_size 0
		.amdhsa_private_segment_fixed_size 0
		.amdhsa_kernarg_size 12
		.amdhsa_user_sgpr_count 2
		.amdhsa_user_sgpr_dispatch_ptr 0
		.amdhsa_user_sgpr_queue_ptr 0
		.amdhsa_user_sgpr_kernarg_segment_ptr 1
		.amdhsa_user_sgpr_dispatch_id 0
		.amdhsa_user_sgpr_kernarg_preload_length 0
		.amdhsa_user_sgpr_kernarg_preload_offset 0
		.amdhsa_user_sgpr_private_segment_size 0
		.amdhsa_uses_dynamic_stack 0
		.amdhsa_enable_private_segment 0
		.amdhsa_system_sgpr_workgroup_id_x 1
		.amdhsa_system_sgpr_workgroup_id_y 0
		.amdhsa_system_sgpr_workgroup_id_z 0
		.amdhsa_system_sgpr_workgroup_info 0
		.amdhsa_system_vgpr_workitem_id 0
		.amdhsa_next_free_vgpr 2
		.amdhsa_next_free_sgpr 5
		.amdhsa_accum_offset 4
		.amdhsa_reserve_vcc 0
		.amdhsa_float_round_mode_32 0
		.amdhsa_float_round_mode_16_64 0
		.amdhsa_float_denorm_mode_32 3
		.amdhsa_float_denorm_mode_16_64 3
		.amdhsa_dx10_clamp 1
		.amdhsa_ieee_mode 1
		.amdhsa_fp16_overflow 0
		.amdhsa_tg_split 0
		.amdhsa_exception_fp_ieee_invalid_op 0
		.amdhsa_exception_fp_denorm_src 0
		.amdhsa_exception_fp_ieee_div_zero 0
		.amdhsa_exception_fp_ieee_overflow 0
		.amdhsa_exception_fp_ieee_underflow 0
		.amdhsa_exception_fp_ieee_inexact 0
		.amdhsa_exception_int_div_zero 0
	.end_amdhsa_kernel
	.section	.text._ZL18fill_initial_valueIfEvPT_S0_,"axG",@progbits,_ZL18fill_initial_valueIfEvPT_S0_,comdat
.Lfunc_end153:
	.size	_ZL18fill_initial_valueIfEvPT_S0_, .Lfunc_end153-_ZL18fill_initial_valueIfEvPT_S0_
                                        ; -- End function
	.section	.AMDGPU.csdata,"",@progbits
; Kernel info:
; codeLenInByte = 40
; NumSgprs: 11
; NumVgprs: 2
; NumAgprs: 0
; TotalNumVgprs: 2
; ScratchSize: 0
; MemoryBound: 0
; FloatMode: 240
; IeeeMode: 1
; LDSByteSize: 0 bytes/workgroup (compile time only)
; SGPRBlocks: 1
; VGPRBlocks: 0
; NumSGPRsForWavesPerEU: 11
; NumVGPRsForWavesPerEU: 2
; AccumOffset: 4
; Occupancy: 8
; WaveLimiterHint : 0
; COMPUTE_PGM_RSRC2:SCRATCH_EN: 0
; COMPUTE_PGM_RSRC2:USER_SGPR: 2
; COMPUTE_PGM_RSRC2:TRAP_HANDLER: 0
; COMPUTE_PGM_RSRC2:TGID_X_EN: 1
; COMPUTE_PGM_RSRC2:TGID_Y_EN: 0
; COMPUTE_PGM_RSRC2:TGID_Z_EN: 0
; COMPUTE_PGM_RSRC2:TIDIG_COMP_CNT: 0
; COMPUTE_PGM_RSRC3_GFX90A:ACCUM_OFFSET: 0
; COMPUTE_PGM_RSRC3_GFX90A:TG_SPLIT: 0
	.section	.text._ZN7rocprim6detail20lookback_scan_kernelILNS0_25lookback_scan_determinismE0ELb1ENS0_19wrapped_scan_configINS_14default_configEmEEN6hipcub22TransformInputIteratorImNS6_6CastOpImEEPmlEESA_NS6_3SumENS_12future_valueImSA_EEmNS0_19lookback_scan_stateImLb1ELb1EEEEEvT2_T3_mT5_T4_T7_jPT6_SN_bb,"axG",@progbits,_ZN7rocprim6detail20lookback_scan_kernelILNS0_25lookback_scan_determinismE0ELb1ENS0_19wrapped_scan_configINS_14default_configEmEEN6hipcub22TransformInputIteratorImNS6_6CastOpImEEPmlEESA_NS6_3SumENS_12future_valueImSA_EEmNS0_19lookback_scan_stateImLb1ELb1EEEEEvT2_T3_mT5_T4_T7_jPT6_SN_bb,comdat
	.protected	_ZN7rocprim6detail20lookback_scan_kernelILNS0_25lookback_scan_determinismE0ELb1ENS0_19wrapped_scan_configINS_14default_configEmEEN6hipcub22TransformInputIteratorImNS6_6CastOpImEEPmlEESA_NS6_3SumENS_12future_valueImSA_EEmNS0_19lookback_scan_stateImLb1ELb1EEEEEvT2_T3_mT5_T4_T7_jPT6_SN_bb ; -- Begin function _ZN7rocprim6detail20lookback_scan_kernelILNS0_25lookback_scan_determinismE0ELb1ENS0_19wrapped_scan_configINS_14default_configEmEEN6hipcub22TransformInputIteratorImNS6_6CastOpImEEPmlEESA_NS6_3SumENS_12future_valueImSA_EEmNS0_19lookback_scan_stateImLb1ELb1EEEEEvT2_T3_mT5_T4_T7_jPT6_SN_bb
	.globl	_ZN7rocprim6detail20lookback_scan_kernelILNS0_25lookback_scan_determinismE0ELb1ENS0_19wrapped_scan_configINS_14default_configEmEEN6hipcub22TransformInputIteratorImNS6_6CastOpImEEPmlEESA_NS6_3SumENS_12future_valueImSA_EEmNS0_19lookback_scan_stateImLb1ELb1EEEEEvT2_T3_mT5_T4_T7_jPT6_SN_bb
	.p2align	8
	.type	_ZN7rocprim6detail20lookback_scan_kernelILNS0_25lookback_scan_determinismE0ELb1ENS0_19wrapped_scan_configINS_14default_configEmEEN6hipcub22TransformInputIteratorImNS6_6CastOpImEEPmlEESA_NS6_3SumENS_12future_valueImSA_EEmNS0_19lookback_scan_stateImLb1ELb1EEEEEvT2_T3_mT5_T4_T7_jPT6_SN_bb,@function
_ZN7rocprim6detail20lookback_scan_kernelILNS0_25lookback_scan_determinismE0ELb1ENS0_19wrapped_scan_configINS_14default_configEmEEN6hipcub22TransformInputIteratorImNS6_6CastOpImEEPmlEESA_NS6_3SumENS_12future_valueImSA_EEmNS0_19lookback_scan_stateImLb1ELb1EEEEEvT2_T3_mT5_T4_T7_jPT6_SN_bb: ; @_ZN7rocprim6detail20lookback_scan_kernelILNS0_25lookback_scan_determinismE0ELb1ENS0_19wrapped_scan_configINS_14default_configEmEEN6hipcub22TransformInputIteratorImNS6_6CastOpImEEPmlEESA_NS6_3SumENS_12future_valueImSA_EEmNS0_19lookback_scan_stateImLb1ELb1EEEEEvT2_T3_mT5_T4_T7_jPT6_SN_bb
; %bb.0:
	s_endpgm
	.section	.rodata,"a",@progbits
	.p2align	6, 0x0
	.amdhsa_kernel _ZN7rocprim6detail20lookback_scan_kernelILNS0_25lookback_scan_determinismE0ELb1ENS0_19wrapped_scan_configINS_14default_configEmEEN6hipcub22TransformInputIteratorImNS6_6CastOpImEEPmlEESA_NS6_3SumENS_12future_valueImSA_EEmNS0_19lookback_scan_stateImLb1ELb1EEEEEvT2_T3_mT5_T4_T7_jPT6_SN_bb
		.amdhsa_group_segment_fixed_size 0
		.amdhsa_private_segment_fixed_size 0
		.amdhsa_kernarg_size 84
		.amdhsa_user_sgpr_count 2
		.amdhsa_user_sgpr_dispatch_ptr 0
		.amdhsa_user_sgpr_queue_ptr 0
		.amdhsa_user_sgpr_kernarg_segment_ptr 1
		.amdhsa_user_sgpr_dispatch_id 0
		.amdhsa_user_sgpr_kernarg_preload_length 0
		.amdhsa_user_sgpr_kernarg_preload_offset 0
		.amdhsa_user_sgpr_private_segment_size 0
		.amdhsa_uses_dynamic_stack 0
		.amdhsa_enable_private_segment 0
		.amdhsa_system_sgpr_workgroup_id_x 1
		.amdhsa_system_sgpr_workgroup_id_y 0
		.amdhsa_system_sgpr_workgroup_id_z 0
		.amdhsa_system_sgpr_workgroup_info 0
		.amdhsa_system_vgpr_workitem_id 0
		.amdhsa_next_free_vgpr 1
		.amdhsa_next_free_sgpr 0
		.amdhsa_accum_offset 4
		.amdhsa_reserve_vcc 0
		.amdhsa_float_round_mode_32 0
		.amdhsa_float_round_mode_16_64 0
		.amdhsa_float_denorm_mode_32 3
		.amdhsa_float_denorm_mode_16_64 3
		.amdhsa_dx10_clamp 1
		.amdhsa_ieee_mode 1
		.amdhsa_fp16_overflow 0
		.amdhsa_tg_split 0
		.amdhsa_exception_fp_ieee_invalid_op 0
		.amdhsa_exception_fp_denorm_src 0
		.amdhsa_exception_fp_ieee_div_zero 0
		.amdhsa_exception_fp_ieee_overflow 0
		.amdhsa_exception_fp_ieee_underflow 0
		.amdhsa_exception_fp_ieee_inexact 0
		.amdhsa_exception_int_div_zero 0
	.end_amdhsa_kernel
	.section	.text._ZN7rocprim6detail20lookback_scan_kernelILNS0_25lookback_scan_determinismE0ELb1ENS0_19wrapped_scan_configINS_14default_configEmEEN6hipcub22TransformInputIteratorImNS6_6CastOpImEEPmlEESA_NS6_3SumENS_12future_valueImSA_EEmNS0_19lookback_scan_stateImLb1ELb1EEEEEvT2_T3_mT5_T4_T7_jPT6_SN_bb,"axG",@progbits,_ZN7rocprim6detail20lookback_scan_kernelILNS0_25lookback_scan_determinismE0ELb1ENS0_19wrapped_scan_configINS_14default_configEmEEN6hipcub22TransformInputIteratorImNS6_6CastOpImEEPmlEESA_NS6_3SumENS_12future_valueImSA_EEmNS0_19lookback_scan_stateImLb1ELb1EEEEEvT2_T3_mT5_T4_T7_jPT6_SN_bb,comdat
.Lfunc_end154:
	.size	_ZN7rocprim6detail20lookback_scan_kernelILNS0_25lookback_scan_determinismE0ELb1ENS0_19wrapped_scan_configINS_14default_configEmEEN6hipcub22TransformInputIteratorImNS6_6CastOpImEEPmlEESA_NS6_3SumENS_12future_valueImSA_EEmNS0_19lookback_scan_stateImLb1ELb1EEEEEvT2_T3_mT5_T4_T7_jPT6_SN_bb, .Lfunc_end154-_ZN7rocprim6detail20lookback_scan_kernelILNS0_25lookback_scan_determinismE0ELb1ENS0_19wrapped_scan_configINS_14default_configEmEEN6hipcub22TransformInputIteratorImNS6_6CastOpImEEPmlEESA_NS6_3SumENS_12future_valueImSA_EEmNS0_19lookback_scan_stateImLb1ELb1EEEEEvT2_T3_mT5_T4_T7_jPT6_SN_bb
                                        ; -- End function
	.section	.AMDGPU.csdata,"",@progbits
; Kernel info:
; codeLenInByte = 4
; NumSgprs: 6
; NumVgprs: 0
; NumAgprs: 0
; TotalNumVgprs: 0
; ScratchSize: 0
; MemoryBound: 0
; FloatMode: 240
; IeeeMode: 1
; LDSByteSize: 0 bytes/workgroup (compile time only)
; SGPRBlocks: 0
; VGPRBlocks: 0
; NumSGPRsForWavesPerEU: 6
; NumVGPRsForWavesPerEU: 1
; AccumOffset: 4
; Occupancy: 8
; WaveLimiterHint : 0
; COMPUTE_PGM_RSRC2:SCRATCH_EN: 0
; COMPUTE_PGM_RSRC2:USER_SGPR: 2
; COMPUTE_PGM_RSRC2:TRAP_HANDLER: 0
; COMPUTE_PGM_RSRC2:TGID_X_EN: 1
; COMPUTE_PGM_RSRC2:TGID_Y_EN: 0
; COMPUTE_PGM_RSRC2:TGID_Z_EN: 0
; COMPUTE_PGM_RSRC2:TIDIG_COMP_CNT: 0
; COMPUTE_PGM_RSRC3_GFX90A:ACCUM_OFFSET: 0
; COMPUTE_PGM_RSRC3_GFX90A:TG_SPLIT: 0
	.section	.text._ZN7rocprim6detail20lookback_scan_kernelILNS0_25lookback_scan_determinismE0ELb1ENS0_19wrapped_scan_configINS_14default_configEmEEN6hipcub22TransformInputIteratorImNS6_6CastOpImEEPmlEESA_NS6_3SumENS_12future_valueImSA_EEmNS0_19lookback_scan_stateImLb0ELb1EEEEEvT2_T3_mT5_T4_T7_jPT6_SN_bb,"axG",@progbits,_ZN7rocprim6detail20lookback_scan_kernelILNS0_25lookback_scan_determinismE0ELb1ENS0_19wrapped_scan_configINS_14default_configEmEEN6hipcub22TransformInputIteratorImNS6_6CastOpImEEPmlEESA_NS6_3SumENS_12future_valueImSA_EEmNS0_19lookback_scan_stateImLb0ELb1EEEEEvT2_T3_mT5_T4_T7_jPT6_SN_bb,comdat
	.protected	_ZN7rocprim6detail20lookback_scan_kernelILNS0_25lookback_scan_determinismE0ELb1ENS0_19wrapped_scan_configINS_14default_configEmEEN6hipcub22TransformInputIteratorImNS6_6CastOpImEEPmlEESA_NS6_3SumENS_12future_valueImSA_EEmNS0_19lookback_scan_stateImLb0ELb1EEEEEvT2_T3_mT5_T4_T7_jPT6_SN_bb ; -- Begin function _ZN7rocprim6detail20lookback_scan_kernelILNS0_25lookback_scan_determinismE0ELb1ENS0_19wrapped_scan_configINS_14default_configEmEEN6hipcub22TransformInputIteratorImNS6_6CastOpImEEPmlEESA_NS6_3SumENS_12future_valueImSA_EEmNS0_19lookback_scan_stateImLb0ELb1EEEEEvT2_T3_mT5_T4_T7_jPT6_SN_bb
	.globl	_ZN7rocprim6detail20lookback_scan_kernelILNS0_25lookback_scan_determinismE0ELb1ENS0_19wrapped_scan_configINS_14default_configEmEEN6hipcub22TransformInputIteratorImNS6_6CastOpImEEPmlEESA_NS6_3SumENS_12future_valueImSA_EEmNS0_19lookback_scan_stateImLb0ELb1EEEEEvT2_T3_mT5_T4_T7_jPT6_SN_bb
	.p2align	8
	.type	_ZN7rocprim6detail20lookback_scan_kernelILNS0_25lookback_scan_determinismE0ELb1ENS0_19wrapped_scan_configINS_14default_configEmEEN6hipcub22TransformInputIteratorImNS6_6CastOpImEEPmlEESA_NS6_3SumENS_12future_valueImSA_EEmNS0_19lookback_scan_stateImLb0ELb1EEEEEvT2_T3_mT5_T4_T7_jPT6_SN_bb,@function
_ZN7rocprim6detail20lookback_scan_kernelILNS0_25lookback_scan_determinismE0ELb1ENS0_19wrapped_scan_configINS_14default_configEmEEN6hipcub22TransformInputIteratorImNS6_6CastOpImEEPmlEESA_NS6_3SumENS_12future_valueImSA_EEmNS0_19lookback_scan_stateImLb0ELb1EEEEEvT2_T3_mT5_T4_T7_jPT6_SN_bb: ; @_ZN7rocprim6detail20lookback_scan_kernelILNS0_25lookback_scan_determinismE0ELb1ENS0_19wrapped_scan_configINS_14default_configEmEEN6hipcub22TransformInputIteratorImNS6_6CastOpImEEPmlEESA_NS6_3SumENS_12future_valueImSA_EEmNS0_19lookback_scan_stateImLb0ELb1EEEEEvT2_T3_mT5_T4_T7_jPT6_SN_bb
; %bb.0:
	s_load_dwordx2 s[4:5], s[0:1], 0x20
	s_load_dword s3, s[0:1], 0x38
	s_load_dwordx2 s[20:21], s[0:1], 0x0
	s_load_dwordx4 s[16:19], s[0:1], 0x10
	v_lshlrev_b32_e32 v62, 3, v0
	s_waitcnt lgkmcnt(0)
	s_load_dwordx2 s[22:23], s[4:5], 0x0
	s_add_i32 s3, s3, -1
	s_mul_i32 s6, s3, 0xf00
	s_sub_u32 s28, s18, s6
	s_subb_u32 s29, s19, 0
	s_mul_i32 s4, s2, 0xf00
	s_mov_b32 s5, 0
	s_cmp_lg_u32 s2, s3
	s_cselect_b64 s[14:15], -1, 0
	s_lshl_b64 s[18:19], s[4:5], 3
	s_add_u32 s6, s20, s18
	s_addc_u32 s7, s21, s19
	s_mov_b64 s[4:5], -1
	s_and_b64 vcc, exec, s[14:15]
	s_cbranch_vccz .LBB155_2
; %bb.1:
	v_mov_b32_e32 v63, 0
	v_lshl_add_u64 v[2:3], s[6:7], 0, v[62:63]
	v_add_co_u32_e32 v8, vcc, 0x1000, v2
	global_load_dwordx2 v[4:5], v62, s[6:7]
	global_load_dwordx2 v[6:7], v62, s[6:7] offset:2048
	v_addc_co_u32_e32 v9, vcc, 0, v3, vcc
	v_add_co_u32_e32 v10, vcc, 0x2000, v2
	s_mov_b64 s[4:5], 0
	s_nop 0
	v_addc_co_u32_e32 v11, vcc, 0, v3, vcc
	global_load_dwordx2 v[12:13], v[8:9], off
	global_load_dwordx2 v[14:15], v[8:9], off offset:2048
	global_load_dwordx2 v[16:17], v[10:11], off
	global_load_dwordx2 v[18:19], v[10:11], off offset:2048
	v_add_co_u32_e32 v8, vcc, 0x3000, v2
	s_nop 1
	v_addc_co_u32_e32 v9, vcc, 0, v3, vcc
	v_add_co_u32_e32 v10, vcc, 0x4000, v2
	s_nop 1
	v_addc_co_u32_e32 v11, vcc, 0, v3, vcc
	global_load_dwordx2 v[20:21], v[8:9], off
	global_load_dwordx2 v[22:23], v[8:9], off offset:2048
	global_load_dwordx2 v[24:25], v[10:11], off
	global_load_dwordx2 v[26:27], v[10:11], off offset:2048
	v_add_co_u32_e32 v8, vcc, 0x5000, v2
	s_nop 1
	v_addc_co_u32_e32 v9, vcc, 0, v3, vcc
	v_add_co_u32_e32 v10, vcc, 0x6000, v2
	s_nop 1
	v_addc_co_u32_e32 v11, vcc, 0, v3, vcc
	global_load_dwordx2 v[28:29], v[8:9], off
	global_load_dwordx2 v[30:31], v[8:9], off offset:2048
	global_load_dwordx2 v[32:33], v[10:11], off
	global_load_dwordx2 v[34:35], v[10:11], off offset:2048
	v_add_co_u32_e32 v2, vcc, 0x7000, v2
	s_nop 1
	v_addc_co_u32_e32 v3, vcc, 0, v3, vcc
	global_load_dwordx2 v[2:3], v[2:3], off
	s_waitcnt vmcnt(13)
	ds_write2st64_b64 v62, v[4:5], v[6:7] offset1:4
	s_waitcnt vmcnt(11)
	ds_write2st64_b64 v62, v[12:13], v[14:15] offset0:8 offset1:12
	s_waitcnt vmcnt(9)
	ds_write2st64_b64 v62, v[16:17], v[18:19] offset0:16 offset1:20
	;; [unrolled: 2-line block ×6, first 2 shown]
	s_waitcnt vmcnt(0)
	ds_write_b64 v62, v[2:3] offset:28672
	s_waitcnt lgkmcnt(0)
	s_barrier
.LBB155_2:
	s_andn2_b64 vcc, exec, s[4:5]
	v_cmp_gt_u32_e64 s[4:5], s28, v0
	s_cbranch_vccnz .LBB155_34
; %bb.3:
	s_load_dwordx2 s[36:37], s[6:7], 0x0
	v_mov_b32_e32 v63, 0
	v_lshl_add_u64 v[34:35], s[6:7], 0, v[62:63]
	s_waitcnt lgkmcnt(0)
	s_mov_b32 s38, s36
	s_mov_b32 s39, s37
	;; [unrolled: 1-line block ×28, first 2 shown]
	v_mov_b64_e32 v[2:3], s[36:37]
	v_mov_b64_e32 v[4:5], s[38:39]
	;; [unrolled: 1-line block ×16, first 2 shown]
	s_and_saveexec_b64 s[6:7], s[4:5]
	s_cbranch_execz .LBB155_5
; %bb.4:
	global_load_dwordx2 v[2:3], v[34:35], off
	v_mov_b32_e32 v4, s36
	v_mov_b32_e32 v5, s37
	;; [unrolled: 1-line block ×28, first 2 shown]
.LBB155_5:
	s_or_b64 exec, exec, s[6:7]
	v_or_b32_e32 v1, 0x100, v0
	v_cmp_gt_u32_e32 vcc, s28, v1
	s_and_saveexec_b64 s[4:5], vcc
	s_cbranch_execz .LBB155_7
; %bb.6:
	global_load_dwordx2 v[4:5], v[34:35], off offset:2048
.LBB155_7:
	s_or_b64 exec, exec, s[4:5]
	v_or_b32_e32 v1, 0x200, v0
	v_cmp_gt_u32_e32 vcc, s28, v1
	s_and_saveexec_b64 s[4:5], vcc
	s_cbranch_execz .LBB155_9
; %bb.8:
	v_add_co_u32_e32 v6, vcc, 0x1000, v34
	s_nop 1
	v_addc_co_u32_e32 v7, vcc, 0, v35, vcc
	global_load_dwordx2 v[6:7], v[6:7], off
.LBB155_9:
	s_or_b64 exec, exec, s[4:5]
	v_or_b32_e32 v1, 0x300, v0
	v_cmp_gt_u32_e32 vcc, s28, v1
	s_and_saveexec_b64 s[4:5], vcc
	s_cbranch_execz .LBB155_11
; %bb.10:
	v_add_co_u32_e32 v8, vcc, 0x1000, v34
	s_nop 1
	v_addc_co_u32_e32 v9, vcc, 0, v35, vcc
	global_load_dwordx2 v[8:9], v[8:9], off offset:2048
.LBB155_11:
	s_or_b64 exec, exec, s[4:5]
	v_or_b32_e32 v1, 0x400, v0
	v_cmp_gt_u32_e32 vcc, s28, v1
	s_and_saveexec_b64 s[4:5], vcc
	s_cbranch_execz .LBB155_13
; %bb.12:
	v_add_co_u32_e32 v10, vcc, 0x2000, v34
	s_nop 1
	v_addc_co_u32_e32 v11, vcc, 0, v35, vcc
	global_load_dwordx2 v[10:11], v[10:11], off
.LBB155_13:
	s_or_b64 exec, exec, s[4:5]
	v_or_b32_e32 v1, 0x500, v0
	v_cmp_gt_u32_e32 vcc, s28, v1
	s_and_saveexec_b64 s[4:5], vcc
	s_cbranch_execz .LBB155_15
; %bb.14:
	v_add_co_u32_e32 v12, vcc, 0x2000, v34
	s_nop 1
	v_addc_co_u32_e32 v13, vcc, 0, v35, vcc
	global_load_dwordx2 v[12:13], v[12:13], off offset:2048
.LBB155_15:
	;; [unrolled: 22-line block ×6, first 2 shown]
	s_or_b64 exec, exec, s[4:5]
	v_or_b32_e32 v1, 0xe00, v0
	v_cmp_gt_u32_e32 vcc, s28, v1
	s_and_saveexec_b64 s[4:5], vcc
	s_cbranch_execz .LBB155_33
; %bb.32:
	v_add_co_u32_e32 v30, vcc, 0x7000, v34
	s_nop 1
	v_addc_co_u32_e32 v31, vcc, 0, v35, vcc
	global_load_dwordx2 v[30:31], v[30:31], off
.LBB155_33:
	s_or_b64 exec, exec, s[4:5]
	s_waitcnt vmcnt(0)
	ds_write2st64_b64 v62, v[2:3], v[4:5] offset1:4
	ds_write2st64_b64 v62, v[6:7], v[8:9] offset0:8 offset1:12
	ds_write2st64_b64 v62, v[10:11], v[12:13] offset0:16 offset1:20
	;; [unrolled: 1-line block ×6, first 2 shown]
	ds_write_b64 v62, v[30:31] offset:28672
	s_waitcnt lgkmcnt(0)
	s_barrier
.LBB155_34:
	s_load_dwordx2 s[24:25], s[0:1], 0x30
	v_mul_u32_u24_e32 v68, 15, v0
	v_lshlrev_b32_e32 v1, 3, v68
	s_waitcnt lgkmcnt(0)
	ds_read2_b64 v[34:37], v1 offset1:1
	ds_read2_b64 v[38:41], v1 offset0:2 offset1:3
	ds_read2_b64 v[42:45], v1 offset0:4 offset1:5
	ds_read2_b64 v[46:49], v1 offset0:6 offset1:7
	ds_read2_b64 v[50:53], v1 offset0:8 offset1:9
	ds_read2_b64 v[54:57], v1 offset0:10 offset1:11
	ds_read2_b64 v[58:61], v1 offset0:12 offset1:13
	ds_read_b64 v[64:65], v1 offset:112
	s_waitcnt lgkmcnt(7)
	v_lshl_add_u64 v[2:3], v[36:37], 0, v[34:35]
	s_cmp_lg_u32 s2, 0
	s_waitcnt lgkmcnt(6)
	v_lshl_add_u64 v[66:67], v[2:3], 0, v[38:39]
	v_lshrrev_b32_e32 v1, 5, v0
	v_cmp_gt_u32_e32 vcc, 64, v0
	s_waitcnt lgkmcnt(0)
	s_barrier
	s_cbranch_scc0 .LBB155_59
; %bb.35:
	v_lshl_add_u64 v[2:3], v[66:67], 0, v[40:41]
	v_lshl_add_u64 v[2:3], v[2:3], 0, v[42:43]
	;; [unrolled: 1-line block ×12, first 2 shown]
	v_add_lshl_u32 v4, v1, v0, 3
	ds_write_b64 v4, v[2:3]
	s_waitcnt lgkmcnt(0)
	s_barrier
	s_and_saveexec_b64 s[6:7], vcc
	s_cbranch_execz .LBB155_37
; %bb.36:
	v_lshlrev_b32_e32 v4, 2, v0
	v_lshrrev_b32_e32 v5, 3, v0
	v_add_lshl_u32 v20, v5, v4, 3
	ds_read2_b64 v[4:7], v20 offset1:1
	ds_read2_b64 v[8:11], v20 offset0:2 offset1:3
	v_mbcnt_lo_u32_b32 v13, -1, 0
	v_mov_b32_e32 v12, 0
	v_mbcnt_hi_u32_b32 v21, -1, v13
	s_waitcnt lgkmcnt(1)
	v_lshl_add_u64 v[14:15], v[6:7], 0, v[4:5]
	s_waitcnt lgkmcnt(0)
	v_lshl_add_u64 v[14:15], v[14:15], 0, v[8:9]
	v_lshl_add_u64 v[14:15], v[14:15], 0, v[10:11]
	v_and_b32_e32 v22, 15, v21
	v_mov_b32_e32 v17, v12
	v_mov_b32_dpp v16, v14 row_shr:1 row_mask:0xf bank_mask:0xf
	v_mov_b32_dpp v13, v15 row_shr:1 row_mask:0xf bank_mask:0xf
	v_lshl_add_u64 v[16:17], v[14:15], 0, v[16:17]
	v_cmp_eq_u32_e64 s[4:5], 0, v22
	v_lshl_add_u64 v[18:19], v[12:13], 0, v[16:17]
	v_mov_b32_e32 v17, v12
	v_cndmask_b32_e64 v23, v16, v14, s[4:5]
	v_cndmask_b32_e64 v15, v19, v15, s[4:5]
	v_cndmask_b32_e64 v14, v18, v14, s[4:5]
	v_mov_b32_dpp v16, v23 row_shr:2 row_mask:0xf bank_mask:0xf
	v_mov_b32_dpp v13, v15 row_shr:2 row_mask:0xf bank_mask:0xf
	v_lshl_add_u64 v[16:17], v[14:15], 0, v[16:17]
	v_cmp_lt_u32_e64 s[4:5], 1, v22
	v_lshl_add_u64 v[18:19], v[16:17], 0, v[12:13]
	v_mov_b32_e32 v17, v12
	v_cndmask_b32_e64 v23, v23, v16, s[4:5]
	v_cndmask_b32_e64 v15, v15, v19, s[4:5]
	v_cndmask_b32_e64 v14, v14, v18, s[4:5]
	v_mov_b32_dpp v16, v23 row_shr:4 row_mask:0xf bank_mask:0xf
	v_mov_b32_dpp v13, v15 row_shr:4 row_mask:0xf bank_mask:0xf
	v_lshl_add_u64 v[16:17], v[14:15], 0, v[16:17]
	v_cmp_lt_u32_e64 s[4:5], 3, v22
	;; [unrolled: 9-line block ×3, first 2 shown]
	v_lshl_add_u64 v[18:19], v[16:17], 0, v[12:13]
	v_mov_b32_e32 v17, v12
	v_cndmask_b32_e64 v22, v23, v16, s[4:5]
	v_cndmask_b32_e64 v15, v15, v19, s[4:5]
	;; [unrolled: 1-line block ×3, first 2 shown]
	v_mov_b32_dpp v16, v22 row_bcast:15 row_mask:0xf bank_mask:0xf
	v_and_b32_e32 v23, 16, v21
	v_mov_b32_dpp v13, v15 row_bcast:15 row_mask:0xf bank_mask:0xf
	v_lshl_add_u64 v[16:17], v[14:15], 0, v[16:17]
	v_cmp_eq_u32_e64 s[4:5], 0, v23
	v_lshl_add_u64 v[18:19], v[16:17], 0, v[12:13]
	v_mov_b32_e32 v17, v12
	v_cndmask_b32_e64 v13, v16, v22, s[4:5]
	v_cndmask_b32_e64 v15, v19, v15, s[4:5]
	;; [unrolled: 1-line block ×3, first 2 shown]
	v_mov_b32_dpp v16, v13 row_bcast:31 row_mask:0xf bank_mask:0xf
	v_mov_b32_dpp v18, v15 row_bcast:31 row_mask:0xf bank_mask:0xf
	v_lshl_add_u64 v[16:17], v[14:15], 0, v[16:17]
	v_add_u32_e32 v14, v18, v17
	v_cmp_lt_u32_e64 s[4:5], 31, v21
	s_nop 1
	v_cndmask_b32_e64 v13, v13, v16, s[4:5]
	v_cndmask_b32_e64 v15, v15, v14, s[4:5]
	v_add_u32_e32 v14, -1, v21
	v_and_b32_e32 v16, 64, v21
	v_cmp_lt_i32_e64 s[4:5], v14, v16
	s_nop 1
	v_cndmask_b32_e64 v14, v14, v21, s[4:5]
	v_lshlrev_b32_e32 v16, 2, v14
	ds_bpermute_b32 v14, v16, v13
	ds_bpermute_b32 v13, v16, v15
	v_mov_b32_e32 v15, v12
	v_cmp_eq_u32_e64 s[4:5], 0, v0
	s_waitcnt lgkmcnt(1)
	v_lshl_add_u64 v[4:5], v[4:5], 0, v[14:15]
	s_waitcnt lgkmcnt(0)
	v_lshl_add_u64 v[4:5], v[4:5], 0, v[12:13]
	v_cndmask_b32_e64 v3, v5, v3, s[4:5]
	v_cndmask_b32_e64 v2, v4, v2, s[4:5]
	v_lshl_add_u64 v[4:5], v[2:3], 0, v[6:7]
	ds_write2_b64 v20, v[2:3], v[4:5] offset1:1
	v_lshl_add_u64 v[2:3], v[4:5], 0, v[8:9]
	v_lshl_add_u64 v[4:5], v[2:3], 0, v[10:11]
	ds_write2_b64 v20, v[2:3], v[4:5] offset0:2 offset1:3
.LBB155_37:
	s_or_b64 exec, exec, s[6:7]
	v_cmp_eq_u32_e64 s[6:7], 0, v0
	v_cmp_ne_u32_e64 s[4:5], 0, v0
	v_mov_b64_e32 v[10:11], 0
	s_waitcnt lgkmcnt(0)
	s_barrier
	s_and_saveexec_b64 s[8:9], s[4:5]
	s_cbranch_execz .LBB155_39
; %bb.38:
	v_add_u32_e32 v2, -1, v0
	v_lshrrev_b32_e32 v3, 5, v2
	v_add_lshl_u32 v2, v3, v2, 3
	ds_read_b64 v[10:11], v2
.LBB155_39:
	s_or_b64 exec, exec, s[8:9]
	s_and_saveexec_b64 s[26:27], vcc
	s_cbranch_execz .LBB155_58
; %bb.40:
	v_mov_b32_e32 v5, 0
	ds_read_b64 v[2:3], v5 offset:2096
	v_mbcnt_lo_u32_b32 v4, -1, 0
	v_mbcnt_hi_u32_b32 v16, -1, v4
	s_mov_b32 s11, 0
	v_cmp_eq_u32_e64 s[4:5], 0, v16
	s_and_saveexec_b64 s[8:9], s[4:5]
	s_cbranch_execz .LBB155_42
; %bb.41:
	s_add_i32 s10, s2, 64
	s_lshl_b64 s[10:11], s[10:11], 4
	s_add_u32 s10, s24, s10
	s_addc_u32 s11, s25, s11
	v_mov_b32_e32 v4, 1
	v_mov_b64_e32 v[6:7], s[10:11]
	s_waitcnt lgkmcnt(0)
	;;#ASMSTART
	global_store_dwordx4 v[6:7], v[2:5] off sc1	
s_waitcnt vmcnt(0)
	;;#ASMEND
.LBB155_42:
	s_or_b64 exec, exec, s[8:9]
	v_xad_u32 v12, v16, -1, s2
	v_add_u32_e32 v4, 64, v12
	v_lshl_add_u64 v[14:15], v[4:5], 4, s[24:25]
	;;#ASMSTART
	global_load_dwordx4 v[6:9], v[14:15] off sc1	
s_waitcnt vmcnt(0)
	;;#ASMEND
	s_nop 0
	v_cmp_eq_u16_sdwa s[10:11], v8, v5 src0_sel:BYTE_0 src1_sel:DWORD
	s_and_saveexec_b64 s[8:9], s[10:11]
	s_cbranch_execz .LBB155_46
; %bb.43:
	s_mov_b64 s[10:11], 0
	v_mov_b32_e32 v4, 0
.LBB155_44:                             ; =>This Inner Loop Header: Depth=1
	;;#ASMSTART
	global_load_dwordx4 v[6:9], v[14:15] off sc1	
s_waitcnt vmcnt(0)
	;;#ASMEND
	s_nop 0
	v_cmp_ne_u16_sdwa s[12:13], v8, v4 src0_sel:BYTE_0 src1_sel:DWORD
	s_or_b64 s[10:11], s[12:13], s[10:11]
	s_andn2_b64 exec, exec, s[10:11]
	s_cbranch_execnz .LBB155_44
; %bb.45:
	s_or_b64 exec, exec, s[10:11]
.LBB155_46:
	s_or_b64 exec, exec, s[8:9]
	v_and_b32_e32 v17, 63, v16
	v_mov_b32_e32 v18, 2
	v_cmp_ne_u32_e32 vcc, 63, v17
	v_cmp_eq_u16_sdwa s[8:9], v8, v18 src0_sel:BYTE_0 src1_sel:DWORD
	v_lshlrev_b64 v[4:5], v16, -1
	v_addc_co_u32_e32 v14, vcc, 0, v16, vcc
	v_and_b32_e32 v9, s9, v5
	v_lshlrev_b32_e32 v19, 2, v14
	v_or_b32_e32 v9, 0x80000000, v9
	ds_bpermute_b32 v14, v19, v6
	v_and_b32_e32 v13, s8, v4
	v_ffbl_b32_e32 v9, v9
	ds_bpermute_b32 v23, v19, v7
	v_add_u32_e32 v9, 32, v9
	v_ffbl_b32_e32 v13, v13
	v_min_u32_e32 v9, v13, v9
	v_mov_b32_e32 v13, 0
	v_add_u32_e32 v20, 1, v16
	v_mov_b32_e32 v15, v13
	v_mov_b32_e32 v22, v13
	s_waitcnt lgkmcnt(1)
	v_lshl_add_u64 v[14:15], v[6:7], 0, v[14:15]
	v_cmp_le_u32_e32 vcc, v20, v9
	v_cmp_gt_u32_e64 s[8:9], 62, v17
	s_waitcnt lgkmcnt(0)
	v_lshl_add_u64 v[22:23], v[22:23], 0, v[14:15]
	v_cndmask_b32_e32 v26, v6, v14, vcc
	v_cndmask_b32_e64 v14, 0, 1, s[8:9]
	v_lshlrev_b32_e32 v14, 1, v14
	v_cndmask_b32_e32 v15, v7, v23, vcc
	v_add_lshl_u32 v21, v14, v16, 2
	ds_bpermute_b32 v24, v21, v26
	ds_bpermute_b32 v25, v21, v15
	v_cmp_gt_u32_e64 s[10:11], 60, v17
	v_cndmask_b32_e32 v14, v6, v22, vcc
	v_add_u32_e32 v22, 2, v16
	v_cndmask_b32_e64 v23, 0, 1, s[10:11]
	s_waitcnt lgkmcnt(0)
	v_lshl_add_u64 v[24:25], v[24:25], 0, v[14:15]
	v_cmp_le_u32_e64 s[8:9], v22, v9
	v_lshlrev_b32_e32 v23, 2, v23
	v_add_lshl_u32 v23, v23, v16, 2
	v_cndmask_b32_e64 v28, v26, v24, s[8:9]
	v_cndmask_b32_e64 v15, v15, v25, s[8:9]
	ds_bpermute_b32 v26, v23, v28
	ds_bpermute_b32 v27, v23, v15
	v_cmp_gt_u32_e64 s[12:13], 56, v17
	v_cndmask_b32_e64 v14, v14, v24, s[8:9]
	v_add_u32_e32 v24, 4, v16
	v_cndmask_b32_e64 v25, 0, 1, s[12:13]
	s_waitcnt lgkmcnt(0)
	v_lshl_add_u64 v[26:27], v[26:27], 0, v[14:15]
	v_cmp_le_u32_e64 s[10:11], v24, v9
	v_lshlrev_b32_e32 v25, 3, v25
	v_add_lshl_u32 v25, v25, v16, 2
	v_cndmask_b32_e64 v30, v28, v26, s[10:11]
	v_cndmask_b32_e64 v15, v15, v27, s[10:11]
	ds_bpermute_b32 v28, v25, v30
	ds_bpermute_b32 v29, v25, v15
	s_or_b64 s[12:13], vcc, s[8:9]
	v_cmp_gt_u32_e64 s[8:9], 48, v17
	v_cndmask_b32_e64 v14, v14, v26, s[10:11]
	v_add_u32_e32 v26, 8, v16
	v_cndmask_b32_e64 v27, 0, 1, s[8:9]
	s_waitcnt lgkmcnt(0)
	v_lshl_add_u64 v[28:29], v[28:29], 0, v[14:15]
	v_cmp_le_u32_e32 vcc, v26, v9
	v_lshlrev_b32_e32 v27, 4, v27
	v_add_lshl_u32 v27, v27, v16, 2
	v_cndmask_b32_e32 v63, v30, v28, vcc
	v_cndmask_b32_e32 v15, v15, v29, vcc
	ds_bpermute_b32 v30, v27, v63
	ds_bpermute_b32 v31, v27, v15
	s_or_b64 s[8:9], s[10:11], s[12:13]
	v_cndmask_b32_e32 v14, v14, v28, vcc
	v_add_u32_e32 v28, 16, v16
	s_or_b64 s[8:9], vcc, s[8:9]
	v_cmp_le_u32_e32 vcc, v28, v9
	s_or_b64 s[10:11], vcc, s[8:9]
	v_cmp_gt_u32_e64 s[8:9], 32, v17
	s_waitcnt lgkmcnt(0)
	v_lshl_add_u64 v[32:33], v[30:31], 0, v[14:15]
	v_cndmask_b32_e32 v30, v63, v32, vcc
	v_cndmask_b32_e64 v17, 0, 1, s[8:9]
	v_lshlrev_b32_e32 v17, 5, v17
	v_add_lshl_u32 v29, v17, v16, 2
	v_cndmask_b32_e32 v15, v15, v33, vcc
	ds_bpermute_b32 v17, v29, v15
	ds_bpermute_b32 v31, v29, v30
	v_add_u32_e32 v30, 32, v16
	v_cndmask_b32_e32 v14, v14, v32, vcc
	v_cmp_le_u32_e32 vcc, v30, v9
	s_waitcnt lgkmcnt(1)
	s_nop 0
	v_cndmask_b32_e32 v17, 0, v17, vcc
	s_waitcnt lgkmcnt(0)
	v_cndmask_b32_e32 v16, 0, v31, vcc
	v_lshl_add_u64 v[14:15], v[16:17], 0, v[14:15]
	s_or_b64 vcc, vcc, s[10:11]
	v_cndmask_b32_e32 v7, v7, v15, vcc
	v_cndmask_b32_e32 v6, v6, v14, vcc
	s_branch .LBB155_48
.LBB155_47:                             ;   in Loop: Header=BB155_48 Depth=1
	s_or_b64 exec, exec, s[8:9]
	v_cmp_eq_u16_sdwa s[8:9], v8, v18 src0_sel:BYTE_0 src1_sel:DWORD
	v_subrev_u32_e32 v9, 64, v12
	ds_bpermute_b32 v17, v19, v7
	v_and_b32_e32 v12, s9, v5
	v_or_b32_e32 v12, 0x80000000, v12
	v_ffbl_b32_e32 v12, v12
	v_add_u32_e32 v31, 32, v12
	ds_bpermute_b32 v12, v19, v6
	v_and_b32_e32 v16, s8, v4
	v_ffbl_b32_e32 v16, v16
	v_min_u32_e32 v31, v16, v31
	v_mov_b32_e32 v16, v13
	s_waitcnt lgkmcnt(0)
	v_lshl_add_u64 v[32:33], v[6:7], 0, v[12:13]
	v_lshl_add_u64 v[16:17], v[16:17], 0, v[32:33]
	v_cmp_le_u32_e32 vcc, v20, v31
	v_cmp_le_u32_e64 s[8:9], v22, v31
	v_cmp_le_u32_e64 s[10:11], v24, v31
	v_cndmask_b32_e32 v12, v6, v32, vcc
	v_cndmask_b32_e32 v17, v7, v17, vcc
	ds_bpermute_b32 v32, v21, v12
	ds_bpermute_b32 v33, v21, v17
	v_cndmask_b32_e32 v16, v6, v16, vcc
	v_cmp_le_u32_e64 s[12:13], v26, v31
	s_waitcnt lgkmcnt(0)
	v_lshl_add_u64 v[32:33], v[32:33], 0, v[16:17]
	v_cndmask_b32_e64 v12, v12, v32, s[8:9]
	v_cndmask_b32_e64 v17, v17, v33, s[8:9]
	ds_bpermute_b32 v70, v23, v12
	ds_bpermute_b32 v71, v23, v17
	v_cndmask_b32_e64 v16, v16, v32, s[8:9]
	s_or_b64 s[8:9], vcc, s[8:9]
	v_cmp_le_u32_e32 vcc, v28, v31
	s_or_b64 s[8:9], s[10:11], s[8:9]
	s_waitcnt lgkmcnt(0)
	v_lshl_add_u64 v[32:33], v[70:71], 0, v[16:17]
	v_cndmask_b32_e64 v12, v12, v32, s[10:11]
	v_cndmask_b32_e64 v17, v17, v33, s[10:11]
	ds_bpermute_b32 v70, v25, v12
	ds_bpermute_b32 v71, v25, v17
	v_cndmask_b32_e64 v16, v16, v32, s[10:11]
	s_or_b64 s[8:9], s[12:13], s[8:9]
	s_or_b64 s[8:9], vcc, s[8:9]
	s_waitcnt lgkmcnt(0)
	v_lshl_add_u64 v[32:33], v[70:71], 0, v[16:17]
	v_cndmask_b32_e64 v12, v12, v32, s[12:13]
	v_cndmask_b32_e64 v17, v17, v33, s[12:13]
	ds_bpermute_b32 v70, v27, v12
	ds_bpermute_b32 v71, v27, v17
	v_cndmask_b32_e64 v16, v16, v32, s[12:13]
	s_waitcnt lgkmcnt(0)
	v_lshl_add_u64 v[32:33], v[70:71], 0, v[16:17]
	v_cndmask_b32_e32 v12, v12, v32, vcc
	v_cndmask_b32_e32 v17, v17, v33, vcc
	ds_bpermute_b32 v33, v29, v17
	ds_bpermute_b32 v12, v29, v12
	v_cndmask_b32_e32 v16, v16, v32, vcc
	v_cmp_le_u32_e32 vcc, v30, v31
	s_waitcnt lgkmcnt(1)
	s_nop 0
	v_cndmask_b32_e32 v33, 0, v33, vcc
	s_waitcnt lgkmcnt(0)
	v_cndmask_b32_e32 v32, 0, v12, vcc
	v_lshl_add_u64 v[16:17], v[32:33], 0, v[16:17]
	s_or_b64 vcc, vcc, s[8:9]
	v_cndmask_b32_e32 v7, v7, v17, vcc
	v_cndmask_b32_e32 v6, v6, v16, vcc
	v_lshl_add_u64 v[6:7], v[6:7], 0, v[14:15]
	v_mov_b32_e32 v12, v9
.LBB155_48:                             ; =>This Loop Header: Depth=1
                                        ;     Child Loop BB155_51 Depth 2
	v_cmp_ne_u16_sdwa s[8:9], v8, v18 src0_sel:BYTE_0 src1_sel:DWORD
	v_mov_b64_e32 v[14:15], v[6:7]
	s_nop 0
	v_cndmask_b32_e64 v8, 0, 1, s[8:9]
	;;#ASMSTART
	;;#ASMEND
	s_nop 0
	v_cmp_ne_u32_e32 vcc, 0, v8
	s_cmp_lg_u64 vcc, exec
	s_cbranch_scc1 .LBB155_53
; %bb.49:                               ;   in Loop: Header=BB155_48 Depth=1
	v_lshl_add_u64 v[16:17], v[12:13], 4, s[24:25]
	;;#ASMSTART
	global_load_dwordx4 v[6:9], v[16:17] off sc1	
s_waitcnt vmcnt(0)
	;;#ASMEND
	s_nop 0
	v_cmp_eq_u16_sdwa s[10:11], v8, v13 src0_sel:BYTE_0 src1_sel:DWORD
	s_and_saveexec_b64 s[8:9], s[10:11]
	s_cbranch_execz .LBB155_47
; %bb.50:                               ;   in Loop: Header=BB155_48 Depth=1
	s_mov_b64 s[10:11], 0
.LBB155_51:                             ;   Parent Loop BB155_48 Depth=1
                                        ; =>  This Inner Loop Header: Depth=2
	;;#ASMSTART
	global_load_dwordx4 v[6:9], v[16:17] off sc1	
s_waitcnt vmcnt(0)
	;;#ASMEND
	s_nop 0
	v_cmp_ne_u16_sdwa s[12:13], v8, v13 src0_sel:BYTE_0 src1_sel:DWORD
	s_or_b64 s[10:11], s[12:13], s[10:11]
	s_andn2_b64 exec, exec, s[10:11]
	s_cbranch_execnz .LBB155_51
; %bb.52:                               ;   in Loop: Header=BB155_48 Depth=1
	s_or_b64 exec, exec, s[10:11]
	s_branch .LBB155_47
.LBB155_53:                             ;   in Loop: Header=BB155_48 Depth=1
                                        ; implicit-def: $vgpr6_vgpr7
                                        ; implicit-def: $vgpr8
	s_cbranch_execz .LBB155_48
; %bb.54:
	s_and_saveexec_b64 s[8:9], s[4:5]
	s_cbranch_execz .LBB155_56
; %bb.55:
	s_add_i32 s2, s2, 64
	s_mov_b32 s3, 0
	s_lshl_b64 s[2:3], s[2:3], 4
	s_add_u32 s2, s24, s2
	s_addc_u32 s3, s25, s3
	v_lshl_add_u64 v[2:3], v[14:15], 0, v[2:3]
	v_mov_b32_e32 v4, 2
	v_mov_b32_e32 v5, 0
	v_mov_b64_e32 v[6:7], s[2:3]
	;;#ASMSTART
	global_store_dwordx4 v[6:7], v[2:5] off sc1	
s_waitcnt vmcnt(0)
	;;#ASMEND
.LBB155_56:
	s_or_b64 exec, exec, s[8:9]
	s_and_b64 exec, exec, s[6:7]
	s_cbranch_execz .LBB155_58
; %bb.57:
	v_mov_b32_e32 v2, 0
	ds_write_b64 v2, v[14:15]
.LBB155_58:
	s_or_b64 exec, exec, s[26:27]
	v_mov_b32_e32 v2, 0
	s_waitcnt lgkmcnt(0)
	s_barrier
	ds_read_b64 v[2:3], v2
	s_waitcnt lgkmcnt(0)
	v_lshl_add_u64 v[2:3], v[2:3], 0, v[10:11]
	v_lshl_add_u64 v[4:5], v[2:3], 0, v[34:35]
	;; [unrolled: 1-line block ×15, first 2 shown]
	s_load_dwordx4 s[4:7], s[0:1], 0x40
	s_branch .LBB155_69
.LBB155_59:
                                        ; implicit-def: $vgpr2_vgpr3_vgpr4_vgpr5_vgpr6_vgpr7_vgpr8_vgpr9_vgpr10_vgpr11_vgpr12_vgpr13_vgpr14_vgpr15_vgpr16_vgpr17_vgpr18_vgpr19_vgpr20_vgpr21_vgpr22_vgpr23_vgpr24_vgpr25_vgpr26_vgpr27_vgpr28_vgpr29_vgpr30_vgpr31_vgpr32_vgpr33
	s_load_dwordx4 s[4:7], s[0:1], 0x40
	s_cbranch_execz .LBB155_69
; %bb.60:
	s_load_dword s2, s[0:1], 0x50
	v_mov_b64_e32 v[32:33], s[22:23]
	s_waitcnt lgkmcnt(0)
	s_bitcmp0_b32 s2, 0
	s_cbranch_scc1 .LBB155_62
; %bb.61:
	v_mov_b32_e32 v2, 0
	global_load_dwordx2 v[2:3], v2, s[20:21] offset:-8
	s_load_dwordx2 s[2:3], s[4:5], 0x0
	s_waitcnt vmcnt(0) lgkmcnt(0)
	v_lshl_add_u64 v[32:33], s[2:3], 0, v[2:3]
.LBB155_62:
	v_lshl_add_u64 v[2:3], v[66:67], 0, v[40:41]
	v_lshl_add_u64 v[2:3], v[2:3], 0, v[42:43]
	;; [unrolled: 1-line block ×12, first 2 shown]
	v_add_lshl_u32 v1, v1, v0, 3
	v_cmp_gt_u32_e32 vcc, 64, v0
	ds_write_b64 v1, v[2:3]
	s_waitcnt lgkmcnt(0)
	s_barrier
	s_and_saveexec_b64 s[2:3], vcc
	s_cbranch_execz .LBB155_64
; %bb.63:
	v_lshlrev_b32_e32 v1, 2, v0
	v_lshrrev_b32_e32 v4, 3, v0
	v_add_lshl_u32 v1, v4, v1, 3
	ds_read2_b64 v[4:7], v1 offset1:1
	ds_read2_b64 v[8:11], v1 offset0:2 offset1:3
	v_mbcnt_lo_u32_b32 v13, -1, 0
	v_mov_b32_e32 v12, 0
	v_mbcnt_hi_u32_b32 v20, -1, v13
	s_waitcnt lgkmcnt(1)
	v_lshl_add_u64 v[14:15], v[6:7], 0, v[4:5]
	s_waitcnt lgkmcnt(0)
	v_lshl_add_u64 v[14:15], v[14:15], 0, v[8:9]
	v_lshl_add_u64 v[14:15], v[14:15], 0, v[10:11]
	v_and_b32_e32 v21, 15, v20
	v_mov_b32_e32 v17, v12
	v_mov_b32_dpp v16, v14 row_shr:1 row_mask:0xf bank_mask:0xf
	v_mov_b32_dpp v13, v15 row_shr:1 row_mask:0xf bank_mask:0xf
	v_lshl_add_u64 v[16:17], v[14:15], 0, v[16:17]
	v_cmp_eq_u32_e32 vcc, 0, v21
	v_lshl_add_u64 v[18:19], v[12:13], 0, v[16:17]
	v_mov_b32_e32 v17, v12
	v_cndmask_b32_e32 v22, v16, v14, vcc
	v_cndmask_b32_e32 v15, v19, v15, vcc
	v_cndmask_b32_e32 v14, v18, v14, vcc
	v_mov_b32_dpp v16, v22 row_shr:2 row_mask:0xf bank_mask:0xf
	v_mov_b32_dpp v13, v15 row_shr:2 row_mask:0xf bank_mask:0xf
	v_lshl_add_u64 v[16:17], v[14:15], 0, v[16:17]
	v_cmp_lt_u32_e32 vcc, 1, v21
	v_lshl_add_u64 v[18:19], v[16:17], 0, v[12:13]
	v_mov_b32_e32 v17, v12
	v_cndmask_b32_e32 v22, v22, v16, vcc
	v_cndmask_b32_e32 v15, v15, v19, vcc
	v_cndmask_b32_e32 v14, v14, v18, vcc
	v_mov_b32_dpp v16, v22 row_shr:4 row_mask:0xf bank_mask:0xf
	v_mov_b32_dpp v13, v15 row_shr:4 row_mask:0xf bank_mask:0xf
	v_lshl_add_u64 v[16:17], v[14:15], 0, v[16:17]
	v_cmp_lt_u32_e32 vcc, 3, v21
	v_lshl_add_u64 v[18:19], v[16:17], 0, v[12:13]
	v_mov_b32_e32 v17, v12
	v_cndmask_b32_e32 v22, v22, v16, vcc
	v_cndmask_b32_e32 v15, v15, v19, vcc
	v_cndmask_b32_e32 v14, v14, v18, vcc
	v_mov_b32_dpp v16, v22 row_shr:8 row_mask:0xf bank_mask:0xf
	v_mov_b32_dpp v13, v15 row_shr:8 row_mask:0xf bank_mask:0xf
	v_lshl_add_u64 v[16:17], v[14:15], 0, v[16:17]
	v_cmp_lt_u32_e32 vcc, 7, v21
	v_lshl_add_u64 v[18:19], v[16:17], 0, v[12:13]
	v_mov_b32_e32 v17, v12
	v_cndmask_b32_e32 v21, v22, v16, vcc
	v_cndmask_b32_e32 v15, v15, v19, vcc
	v_cndmask_b32_e32 v14, v14, v18, vcc
	v_mov_b32_dpp v16, v21 row_bcast:15 row_mask:0xf bank_mask:0xf
	v_and_b32_e32 v22, 16, v20
	v_mov_b32_dpp v13, v15 row_bcast:15 row_mask:0xf bank_mask:0xf
	v_lshl_add_u64 v[16:17], v[14:15], 0, v[16:17]
	v_cmp_eq_u32_e32 vcc, 0, v22
	v_lshl_add_u64 v[18:19], v[16:17], 0, v[12:13]
	v_mov_b32_e32 v17, v12
	v_cndmask_b32_e32 v13, v16, v21, vcc
	v_cndmask_b32_e32 v15, v19, v15, vcc
	;; [unrolled: 1-line block ×3, first 2 shown]
	v_mov_b32_dpp v16, v13 row_bcast:31 row_mask:0xf bank_mask:0xf
	v_mov_b32_dpp v18, v15 row_bcast:31 row_mask:0xf bank_mask:0xf
	v_lshl_add_u64 v[16:17], v[14:15], 0, v[16:17]
	v_add_u32_e32 v14, v18, v17
	v_cmp_lt_u32_e32 vcc, 31, v20
	s_nop 1
	v_cndmask_b32_e32 v13, v13, v16, vcc
	v_cndmask_b32_e32 v15, v15, v14, vcc
	v_add_u32_e32 v14, -1, v20
	v_and_b32_e32 v16, 64, v20
	v_cmp_lt_i32_e32 vcc, v14, v16
	s_nop 1
	v_cndmask_b32_e32 v14, v14, v20, vcc
	v_lshlrev_b32_e32 v16, 2, v14
	ds_bpermute_b32 v14, v16, v13
	ds_bpermute_b32 v13, v16, v15
	v_mov_b32_e32 v15, v12
	v_cmp_eq_u32_e32 vcc, 0, v0
	s_waitcnt lgkmcnt(1)
	v_lshl_add_u64 v[4:5], v[4:5], 0, v[14:15]
	s_waitcnt lgkmcnt(0)
	v_lshl_add_u64 v[4:5], v[4:5], 0, v[12:13]
	v_cndmask_b32_e32 v3, v5, v3, vcc
	v_cndmask_b32_e32 v2, v4, v2, vcc
	v_lshl_add_u64 v[4:5], v[2:3], 0, v[6:7]
	ds_write2_b64 v1, v[2:3], v[4:5] offset1:1
	v_lshl_add_u64 v[2:3], v[4:5], 0, v[8:9]
	v_lshl_add_u64 v[4:5], v[2:3], 0, v[10:11]
	ds_write2_b64 v1, v[2:3], v[4:5] offset0:2 offset1:3
.LBB155_64:
	s_or_b64 exec, exec, s[2:3]
	v_cmp_eq_u32_e32 vcc, 0, v0
	v_cmp_ne_u32_e64 s[2:3], 0, v0
	v_mov_b64_e32 v[2:3], v[32:33]
	s_waitcnt lgkmcnt(0)
	s_barrier
	s_and_saveexec_b64 s[4:5], s[2:3]
	s_cbranch_execz .LBB155_66
; %bb.65:
	v_add_u32_e32 v1, -1, v0
	v_lshrrev_b32_e32 v2, 5, v1
	v_add_lshl_u32 v1, v2, v1, 3
	ds_read_b64 v[2:3], v1
	s_waitcnt lgkmcnt(0)
	v_lshl_add_u64 v[2:3], v[2:3], 0, v[32:33]
.LBB155_66:
	s_or_b64 exec, exec, s[4:5]
	v_lshl_add_u64 v[4:5], v[2:3], 0, v[34:35]
	v_lshl_add_u64 v[6:7], v[4:5], 0, v[36:37]
	;; [unrolled: 1-line block ×14, first 2 shown]
	s_and_saveexec_b64 s[2:3], vcc
	s_cbranch_execz .LBB155_68
; %bb.67:
	v_mov_b32_e32 v35, 0
	ds_read_b64 v[36:37], v35 offset:2096
	s_add_u32 s4, s24, 0x400
	s_addc_u32 s5, s25, 0
	v_mov_b32_e32 v34, 2
	s_waitcnt lgkmcnt(0)
	v_lshl_add_u64 v[32:33], v[36:37], 0, v[32:33]
	v_mov_b64_e32 v[36:37], s[4:5]
	;;#ASMSTART
	global_store_dwordx4 v[36:37], v[32:35] off sc1	
s_waitcnt vmcnt(0)
	;;#ASMEND
.LBB155_68:
	s_or_b64 exec, exec, s[2:3]
.LBB155_69:
	s_add_u32 s2, s16, s18
	s_addc_u32 s3, s17, s19
	s_waitcnt lgkmcnt(0)
	s_mov_b64 s[4:5], -1
	s_and_b64 vcc, exec, s[14:15]
	s_barrier
	s_cbranch_vccz .LBB155_71
; %bb.70:
	v_mul_u32_u24_e32 v1, 0x78, v0
	s_movk_i32 s4, 0x78
	ds_write2_b64 v1, v[2:3], v[4:5] offset1:1
	ds_write2_b64 v1, v[6:7], v[8:9] offset0:2 offset1:3
	ds_write2_b64 v1, v[10:11], v[12:13] offset0:4 offset1:5
	;; [unrolled: 1-line block ×6, first 2 shown]
	ds_write_b64 v1, v[30:31] offset:112
	v_mul_i32_i24_e32 v1, 0xffffff90, v0
	v_mad_u32_u24 v1, v0, s4, v1
	v_mov_b32_e32 v63, 0
	s_waitcnt lgkmcnt(0)
	s_barrier
	ds_read2st64_b64 v[32:35], v1 offset1:4
	ds_read2st64_b64 v[36:39], v1 offset0:8 offset1:12
	ds_read2st64_b64 v[40:43], v1 offset0:16 offset1:20
	;; [unrolled: 1-line block ×6, first 2 shown]
	ds_read_b64 v[60:61], v1 offset:28672
	v_lshl_add_u64 v[64:65], s[2:3], 0, v[62:63]
	s_movk_i32 s4, 0x1000
	s_waitcnt lgkmcnt(7)
	global_store_dwordx2 v62, v[32:33], s[2:3]
	global_store_dwordx2 v62, v[34:35], s[2:3] offset:2048
	v_add_co_u32_e32 v32, vcc, s4, v64
	s_movk_i32 s4, 0x2000
	s_nop 0
	v_addc_co_u32_e32 v33, vcc, 0, v65, vcc
	v_add_co_u32_e32 v34, vcc, s4, v64
	s_movk_i32 s4, 0x3000
	s_nop 0
	v_addc_co_u32_e32 v35, vcc, 0, v65, vcc
	s_waitcnt lgkmcnt(6)
	global_store_dwordx2 v[34:35], v[36:37], off offset:-4096
	global_store_dwordx2 v[32:33], v[38:39], off offset:2048
	s_waitcnt lgkmcnt(5)
	global_store_dwordx2 v[34:35], v[40:41], off
	global_store_dwordx2 v[34:35], v[42:43], off offset:2048
	v_add_co_u32_e32 v32, vcc, s4, v64
	s_movk_i32 s4, 0x4000
	s_nop 0
	v_addc_co_u32_e32 v33, vcc, 0, v65, vcc
	v_add_co_u32_e32 v34, vcc, s4, v64
	s_movk_i32 s4, 0x5000
	s_nop 0
	v_addc_co_u32_e32 v35, vcc, 0, v65, vcc
	s_waitcnt lgkmcnt(4)
	global_store_dwordx2 v[34:35], v[44:45], off offset:-4096
	global_store_dwordx2 v[32:33], v[46:47], off offset:2048
	s_waitcnt lgkmcnt(3)
	global_store_dwordx2 v[34:35], v[48:49], off
	global_store_dwordx2 v[34:35], v[50:51], off offset:2048
	v_add_co_u32_e32 v32, vcc, s4, v64
	s_mov_b64 s[4:5], 0
	s_nop 0
	v_addc_co_u32_e32 v33, vcc, 0, v65, vcc
	s_waitcnt lgkmcnt(2)
	global_store_dwordx2 v[32:33], v[52:53], off
	global_store_dwordx2 v[32:33], v[54:55], off offset:2048
	v_add_co_u32_e32 v32, vcc, 0x6000, v64
	s_nop 1
	v_addc_co_u32_e32 v33, vcc, 0, v65, vcc
	s_waitcnt lgkmcnt(1)
	global_store_dwordx2 v[32:33], v[56:57], off
	global_store_dwordx2 v[32:33], v[58:59], off offset:2048
	v_add_co_u32_e32 v32, vcc, 0x7000, v64
	s_nop 1
	v_addc_co_u32_e32 v33, vcc, 0, v65, vcc
	s_waitcnt lgkmcnt(0)
	global_store_dwordx2 v[32:33], v[60:61], off
.LBB155_71:
	s_andn2_b64 vcc, exec, s[4:5]
	s_cbranch_vccnz .LBB155_157
; %bb.72:
	v_mul_u32_u24_e32 v1, 0x78, v0
	s_movk_i32 s4, 0x78
	ds_write2_b64 v1, v[2:3], v[4:5] offset1:1
	ds_write2_b64 v1, v[6:7], v[8:9] offset0:2 offset1:3
	ds_write2_b64 v1, v[10:11], v[12:13] offset0:4 offset1:5
	;; [unrolled: 1-line block ×6, first 2 shown]
	ds_write_b64 v1, v[30:31] offset:112
	v_mul_i32_i24_e32 v1, 0xffffff90, v0
	v_mad_u32_u24 v1, v0, s4, v1
	s_waitcnt lgkmcnt(0)
	s_barrier
	ds_read2st64_b64 v[6:9], v1 offset1:4
	ds_read2st64_b64 v[14:17], v1 offset0:8 offset1:12
	ds_read2st64_b64 v[10:13], v1 offset0:16 offset1:20
	;; [unrolled: 1-line block ×6, first 2 shown]
	ds_read_b64 v[30:31], v1 offset:28672
	v_mov_b32_e32 v63, 0
	v_lshl_add_u64 v[32:33], s[2:3], 0, v[62:63]
	v_cmp_gt_u32_e32 vcc, s28, v0
	s_and_saveexec_b64 s[2:3], vcc
	s_cbranch_execz .LBB155_74
; %bb.73:
	s_waitcnt lgkmcnt(7)
	global_store_dwordx2 v[32:33], v[6:7], off
.LBB155_74:
	s_or_b64 exec, exec, s[2:3]
	v_or_b32_e32 v1, 0x100, v0
	v_cmp_gt_u32_e32 vcc, s28, v1
	s_and_saveexec_b64 s[2:3], vcc
	s_cbranch_execz .LBB155_76
; %bb.75:
	s_waitcnt lgkmcnt(7)
	global_store_dwordx2 v[32:33], v[8:9], off offset:2048
.LBB155_76:
	s_or_b64 exec, exec, s[2:3]
	v_or_b32_e32 v1, 0x200, v0
	v_cmp_gt_u32_e32 vcc, s28, v1
	s_and_saveexec_b64 s[2:3], vcc
	s_cbranch_execz .LBB155_78
; %bb.77:
	v_add_co_u32_e32 v34, vcc, 0x1000, v32
	s_nop 1
	v_addc_co_u32_e32 v35, vcc, 0, v33, vcc
	s_waitcnt lgkmcnt(6)
	global_store_dwordx2 v[34:35], v[14:15], off
.LBB155_78:
	s_or_b64 exec, exec, s[2:3]
	v_or_b32_e32 v1, 0x300, v0
	v_cmp_gt_u32_e32 vcc, s28, v1
	s_and_saveexec_b64 s[2:3], vcc
	s_cbranch_execz .LBB155_80
; %bb.79:
	v_add_co_u32_e32 v34, vcc, 0x1000, v32
	s_nop 1
	v_addc_co_u32_e32 v35, vcc, 0, v33, vcc
	s_waitcnt lgkmcnt(6)
	global_store_dwordx2 v[34:35], v[16:17], off offset:2048
.LBB155_80:
	s_or_b64 exec, exec, s[2:3]
	v_or_b32_e32 v1, 0x400, v0
	v_cmp_gt_u32_e32 vcc, s28, v1
	s_and_saveexec_b64 s[2:3], vcc
	s_cbranch_execz .LBB155_82
; %bb.81:
	v_add_co_u32_e32 v34, vcc, 0x2000, v32
	s_nop 1
	v_addc_co_u32_e32 v35, vcc, 0, v33, vcc
	s_waitcnt lgkmcnt(5)
	global_store_dwordx2 v[34:35], v[10:11], off
.LBB155_82:
	s_or_b64 exec, exec, s[2:3]
	v_or_b32_e32 v1, 0x500, v0
	v_cmp_gt_u32_e32 vcc, s28, v1
	s_and_saveexec_b64 s[2:3], vcc
	s_cbranch_execz .LBB155_84
; %bb.83:
	v_add_co_u32_e32 v34, vcc, 0x2000, v32
	s_nop 1
	v_addc_co_u32_e32 v35, vcc, 0, v33, vcc
	s_waitcnt lgkmcnt(5)
	global_store_dwordx2 v[34:35], v[12:13], off offset:2048
.LBB155_84:
	s_or_b64 exec, exec, s[2:3]
	v_or_b32_e32 v1, 0x600, v0
	v_cmp_gt_u32_e32 vcc, s28, v1
	s_and_saveexec_b64 s[2:3], vcc
	s_cbranch_execz .LBB155_86
; %bb.85:
	v_add_co_u32_e32 v34, vcc, 0x3000, v32
	s_nop 1
	v_addc_co_u32_e32 v35, vcc, 0, v33, vcc
	s_waitcnt lgkmcnt(4)
	global_store_dwordx2 v[34:35], v[26:27], off
.LBB155_86:
	s_or_b64 exec, exec, s[2:3]
	v_or_b32_e32 v1, 0x700, v0
	v_cmp_gt_u32_e32 vcc, s28, v1
	s_and_saveexec_b64 s[2:3], vcc
	s_cbranch_execz .LBB155_88
; %bb.87:
	v_add_co_u32_e32 v34, vcc, 0x3000, v32
	s_nop 1
	v_addc_co_u32_e32 v35, vcc, 0, v33, vcc
	s_waitcnt lgkmcnt(4)
	global_store_dwordx2 v[34:35], v[28:29], off offset:2048
.LBB155_88:
	s_or_b64 exec, exec, s[2:3]
	v_or_b32_e32 v1, 0x800, v0
	v_cmp_gt_u32_e32 vcc, s28, v1
	s_and_saveexec_b64 s[2:3], vcc
	s_cbranch_execz .LBB155_90
; %bb.89:
	v_add_co_u32_e32 v34, vcc, 0x4000, v32
	s_nop 1
	v_addc_co_u32_e32 v35, vcc, 0, v33, vcc
	s_waitcnt lgkmcnt(3)
	global_store_dwordx2 v[34:35], v[18:19], off
.LBB155_90:
	s_or_b64 exec, exec, s[2:3]
	v_or_b32_e32 v1, 0x900, v0
	v_cmp_gt_u32_e32 vcc, s28, v1
	s_and_saveexec_b64 s[2:3], vcc
	s_cbranch_execz .LBB155_92
; %bb.91:
	v_add_co_u32_e32 v34, vcc, 0x4000, v32
	s_nop 1
	v_addc_co_u32_e32 v35, vcc, 0, v33, vcc
	s_waitcnt lgkmcnt(3)
	global_store_dwordx2 v[34:35], v[20:21], off offset:2048
.LBB155_92:
	s_or_b64 exec, exec, s[2:3]
	v_or_b32_e32 v1, 0xa00, v0
	v_cmp_gt_u32_e32 vcc, s28, v1
	s_and_saveexec_b64 s[2:3], vcc
	s_cbranch_execz .LBB155_94
; %bb.93:
	v_add_co_u32_e32 v34, vcc, 0x5000, v32
	s_nop 1
	v_addc_co_u32_e32 v35, vcc, 0, v33, vcc
	s_waitcnt lgkmcnt(2)
	global_store_dwordx2 v[34:35], v[2:3], off
.LBB155_94:
	s_or_b64 exec, exec, s[2:3]
	v_or_b32_e32 v1, 0xb00, v0
	v_cmp_gt_u32_e32 vcc, s28, v1
	s_and_saveexec_b64 s[2:3], vcc
	s_cbranch_execz .LBB155_96
; %bb.95:
	v_add_co_u32_e32 v34, vcc, 0x5000, v32
	s_nop 1
	v_addc_co_u32_e32 v35, vcc, 0, v33, vcc
	s_waitcnt lgkmcnt(2)
	global_store_dwordx2 v[34:35], v[4:5], off offset:2048
.LBB155_96:
	s_or_b64 exec, exec, s[2:3]
	v_or_b32_e32 v1, 0xc00, v0
	v_cmp_gt_u32_e32 vcc, s28, v1
	s_and_saveexec_b64 s[2:3], vcc
	s_cbranch_execz .LBB155_98
; %bb.97:
	v_add_co_u32_e32 v34, vcc, 0x6000, v32
	s_nop 1
	v_addc_co_u32_e32 v35, vcc, 0, v33, vcc
	s_waitcnt lgkmcnt(1)
	global_store_dwordx2 v[34:35], v[22:23], off
.LBB155_98:
	s_or_b64 exec, exec, s[2:3]
	v_or_b32_e32 v1, 0xd00, v0
	v_cmp_gt_u32_e32 vcc, s28, v1
	s_and_saveexec_b64 s[2:3], vcc
	s_cbranch_execz .LBB155_100
; %bb.99:
	v_add_co_u32_e32 v34, vcc, 0x6000, v32
	s_nop 1
	v_addc_co_u32_e32 v35, vcc, 0, v33, vcc
	s_waitcnt lgkmcnt(1)
	global_store_dwordx2 v[34:35], v[24:25], off offset:2048
.LBB155_100:
	s_or_b64 exec, exec, s[2:3]
	v_or_b32_e32 v1, 0xe00, v0
	v_cmp_gt_u32_e32 vcc, s28, v1
	s_and_saveexec_b64 s[2:3], vcc
	s_cbranch_execz .LBB155_102
; %bb.101:
	v_add_co_u32_e32 v32, vcc, 0x7000, v32
	s_nop 1
	v_addc_co_u32_e32 v33, vcc, 0, v33, vcc
	s_waitcnt lgkmcnt(0)
	global_store_dwordx2 v[32:33], v[30:31], off
.LBB155_102:
	s_or_b64 exec, exec, s[2:3]
	s_load_dword s0, s[0:1], 0x50
	s_waitcnt lgkmcnt(0)
	s_bfe_u32 s0, s0, 0x10008
	s_cmp_eq_u32 s0, 0
	s_cbranch_scc1 .LBB155_157
; %bb.103:
	s_add_u32 s0, s28, -1
	s_addc_u32 s1, s29, -1
	s_add_u32 s2, 0, 0x11108400
	s_addc_u32 s3, 0, 49
	s_add_i32 s3, s3, 0x111110e0
	s_mul_hi_u32 s9, s2, -15
	s_sub_i32 s9, s9, s2
	s_mul_i32 s10, s3, -15
	s_mul_i32 s4, s2, -15
	s_add_i32 s9, s9, s10
	s_mul_hi_u32 s5, s3, s4
	s_mul_i32 s8, s3, s4
	s_mul_i32 s11, s2, s9
	s_mul_hi_u32 s4, s2, s4
	s_mul_hi_u32 s10, s2, s9
	s_add_u32 s4, s4, s11
	s_addc_u32 s10, 0, s10
	s_add_u32 s4, s4, s8
	s_mul_hi_u32 s11, s3, s9
	s_addc_u32 s4, s10, s5
	s_addc_u32 s5, s11, 0
	s_mul_i32 s8, s3, s9
	s_add_u32 s4, s4, s8
	v_mov_b32_e32 v32, s4
	s_addc_u32 s5, 0, s5
	v_add_co_u32_e32 v32, vcc, s2, v32
	s_cmp_lg_u64 vcc, 0
	s_addc_u32 s2, s3, s5
	v_readfirstlane_b32 s5, v32
	s_mul_i32 s4, s0, s2
	s_mul_hi_u32 s8, s0, s5
	s_mul_hi_u32 s3, s0, s2
	s_add_u32 s4, s8, s4
	s_addc_u32 s3, 0, s3
	s_mul_hi_u32 s9, s1, s5
	s_mul_i32 s5, s1, s5
	s_add_u32 s4, s4, s5
	s_mul_hi_u32 s8, s1, s2
	s_addc_u32 s3, s3, s9
	s_addc_u32 s4, s8, 0
	s_mul_i32 s2, s1, s2
	s_add_u32 s2, s3, s2
	s_addc_u32 s3, 0, s4
	s_add_u32 s4, s2, 1
	s_addc_u32 s5, s3, 0
	s_add_u32 s8, s2, 2
	s_mul_i32 s10, s3, 15
	s_mul_hi_u32 s11, s2, 15
	s_addc_u32 s9, s3, 0
	s_add_i32 s11, s11, s10
	s_mul_i32 s10, s2, 15
	v_mov_b32_e32 v32, s10
	v_sub_co_u32_e32 v32, vcc, s0, v32
	s_cmp_lg_u64 vcc, 0
	s_subb_u32 s10, s1, s11
	v_subrev_co_u32_e32 v33, vcc, 15, v32
	s_cmp_lg_u64 vcc, 0
	s_subb_u32 s11, s10, 0
	v_readfirstlane_b32 s12, v33
	s_cmp_gt_u32 s12, 14
	s_cselect_b32 s12, -1, 0
	s_cmp_eq_u32 s11, 0
	s_cselect_b32 s11, s12, -1
	s_cmp_lg_u32 s11, 0
	s_cselect_b32 s4, s8, s4
	v_readfirstlane_b32 s8, v32
	s_cselect_b32 s5, s9, s5
	s_cmp_gt_u32 s8, 14
	s_cselect_b32 s8, -1, 0
	s_cmp_eq_u32 s10, 0
	s_cselect_b32 s8, s8, -1
	s_cmp_lg_u32 s8, 0
	v_mov_b32_e32 v1, v63
	s_cselect_b32 s3, s5, s3
	s_cselect_b32 s2, s4, s2
	v_cmp_eq_u64_e32 vcc, s[2:3], v[0:1]
	s_and_saveexec_b64 s[2:3], vcc
	s_cbranch_execz .LBB155_157
; %bb.104:
	v_mul_hi_u32_u24_e32 v1, 15, v0
	v_mov_b32_e32 v32, s1
	v_sub_co_u32_e32 v0, vcc, s0, v68
	s_nop 1
	v_subb_co_u32_e32 v1, vcc, v32, v1, vcc
	v_cmp_lt_i64_e32 vcc, 7, v[0:1]
	s_and_saveexec_b64 s[0:1], vcc
	s_xor_b64 s[0:1], exec, s[0:1]
	s_cbranch_execz .LBB155_130
; %bb.105:
	v_cmp_lt_i64_e32 vcc, 10, v[0:1]
	s_and_saveexec_b64 s[2:3], vcc
	s_xor_b64 s[2:3], exec, s[2:3]
	s_cbranch_execz .LBB155_119
; %bb.106:
	;; [unrolled: 5-line block ×4, first 2 shown]
	v_mov_b32_e32 v0, 0
	global_store_dwordx2 v0, v[30:31], s[6:7]
                                        ; implicit-def: $vgpr22_vgpr23_vgpr24_vgpr25
.LBB155_109:
	s_andn2_saveexec_b64 s[8:9], s[8:9]
	s_cbranch_execz .LBB155_111
; %bb.110:
	v_mov_b32_e32 v0, 0
	global_store_dwordx2 v0, v[24:25], s[6:7]
.LBB155_111:
	s_or_b64 exec, exec, s[8:9]
                                        ; implicit-def: $vgpr2_vgpr3_vgpr4_vgpr5
                                        ; implicit-def: $vgpr0_vgpr1
                                        ; implicit-def: $vgpr22_vgpr23_vgpr24_vgpr25
.LBB155_112:
	s_andn2_saveexec_b64 s[4:5], s[4:5]
	s_cbranch_execz .LBB155_118
; %bb.113:
	v_cmp_lt_i64_e32 vcc, 11, v[0:1]
	s_and_saveexec_b64 s[8:9], vcc
	s_xor_b64 s[8:9], exec, s[8:9]
	s_cbranch_execz .LBB155_115
; %bb.114:
	v_mov_b32_e32 v0, 0
	global_store_dwordx2 v0, v[22:23], s[6:7]
                                        ; implicit-def: $vgpr2_vgpr3_vgpr4_vgpr5
.LBB155_115:
	s_andn2_saveexec_b64 s[8:9], s[8:9]
	s_cbranch_execz .LBB155_117
; %bb.116:
	v_mov_b32_e32 v0, 0
	global_store_dwordx2 v0, v[4:5], s[6:7]
.LBB155_117:
	s_or_b64 exec, exec, s[8:9]
.LBB155_118:
	s_or_b64 exec, exec, s[4:5]
                                        ; implicit-def: $vgpr18_vgpr19_vgpr20_vgpr21
                                        ; implicit-def: $vgpr0_vgpr1
                                        ; implicit-def: $vgpr2_vgpr3_vgpr4_vgpr5
.LBB155_119:
	s_andn2_saveexec_b64 s[2:3], s[2:3]
	s_cbranch_execz .LBB155_129
; %bb.120:
	v_cmp_lt_i64_e32 vcc, 8, v[0:1]
	s_and_saveexec_b64 s[4:5], vcc
	s_xor_b64 s[4:5], exec, s[4:5]
	s_cbranch_execz .LBB155_126
; %bb.121:
	v_cmp_lt_i64_e32 vcc, 9, v[0:1]
	s_and_saveexec_b64 s[8:9], vcc
	s_xor_b64 s[8:9], exec, s[8:9]
	s_cbranch_execz .LBB155_123
; %bb.122:
	v_mov_b32_e32 v0, 0
	global_store_dwordx2 v0, v[2:3], s[6:7]
                                        ; implicit-def: $vgpr18_vgpr19_vgpr20_vgpr21
.LBB155_123:
	s_andn2_saveexec_b64 s[8:9], s[8:9]
	s_cbranch_execz .LBB155_125
; %bb.124:
	v_mov_b32_e32 v0, 0
	global_store_dwordx2 v0, v[20:21], s[6:7]
.LBB155_125:
	s_or_b64 exec, exec, s[8:9]
                                        ; implicit-def: $vgpr18_vgpr19_vgpr20_vgpr21
.LBB155_126:
	s_andn2_saveexec_b64 s[4:5], s[4:5]
	s_cbranch_execz .LBB155_128
; %bb.127:
	v_mov_b32_e32 v0, 0
	global_store_dwordx2 v0, v[18:19], s[6:7]
.LBB155_128:
	s_or_b64 exec, exec, s[4:5]
.LBB155_129:
	s_or_b64 exec, exec, s[2:3]
                                        ; implicit-def: $vgpr0_vgpr1
                                        ; implicit-def: $vgpr6_vgpr7_vgpr8_vgpr9
                                        ; implicit-def: $vgpr10_vgpr11_vgpr12_vgpr13
                                        ; implicit-def: $vgpr14_vgpr15_vgpr16_vgpr17
                                        ; implicit-def: $vgpr26_vgpr27_vgpr28_vgpr29
.LBB155_130:
	s_andn2_saveexec_b64 s[0:1], s[0:1]
	s_cbranch_execz .LBB155_157
; %bb.131:
	v_cmp_lt_i64_e32 vcc, 3, v[0:1]
	s_and_saveexec_b64 s[0:1], vcc
	s_xor_b64 s[0:1], exec, s[0:1]
	s_cbranch_execz .LBB155_145
; %bb.132:
	v_cmp_lt_i64_e32 vcc, 5, v[0:1]
	s_and_saveexec_b64 s[2:3], vcc
	s_xor_b64 s[2:3], exec, s[2:3]
	;; [unrolled: 5-line block ×3, first 2 shown]
	s_cbranch_execz .LBB155_135
; %bb.134:
	v_mov_b32_e32 v0, 0
	global_store_dwordx2 v0, v[28:29], s[6:7]
                                        ; implicit-def: $vgpr26_vgpr27_vgpr28_vgpr29
.LBB155_135:
	s_andn2_saveexec_b64 s[4:5], s[4:5]
	s_cbranch_execz .LBB155_137
; %bb.136:
	v_mov_b32_e32 v0, 0
	global_store_dwordx2 v0, v[26:27], s[6:7]
.LBB155_137:
	s_or_b64 exec, exec, s[4:5]
                                        ; implicit-def: $vgpr10_vgpr11_vgpr12_vgpr13
                                        ; implicit-def: $vgpr0_vgpr1
.LBB155_138:
	s_andn2_saveexec_b64 s[2:3], s[2:3]
	s_cbranch_execz .LBB155_144
; %bb.139:
	v_cmp_lt_i64_e32 vcc, 4, v[0:1]
	s_and_saveexec_b64 s[4:5], vcc
	s_xor_b64 s[4:5], exec, s[4:5]
	s_cbranch_execz .LBB155_141
; %bb.140:
	v_mov_b32_e32 v0, 0
	global_store_dwordx2 v0, v[12:13], s[6:7]
                                        ; implicit-def: $vgpr10_vgpr11_vgpr12_vgpr13
.LBB155_141:
	s_andn2_saveexec_b64 s[4:5], s[4:5]
	s_cbranch_execz .LBB155_143
; %bb.142:
	v_mov_b32_e32 v0, 0
	global_store_dwordx2 v0, v[10:11], s[6:7]
.LBB155_143:
	s_or_b64 exec, exec, s[4:5]
.LBB155_144:
	s_or_b64 exec, exec, s[2:3]
                                        ; implicit-def: $vgpr0_vgpr1
                                        ; implicit-def: $vgpr6_vgpr7_vgpr8_vgpr9
                                        ; implicit-def: $vgpr14_vgpr15_vgpr16_vgpr17
.LBB155_145:
	s_andn2_saveexec_b64 s[0:1], s[0:1]
	s_cbranch_execz .LBB155_157
; %bb.146:
	v_cmp_lt_i64_e32 vcc, 1, v[0:1]
	s_and_saveexec_b64 s[0:1], vcc
	s_xor_b64 s[0:1], exec, s[0:1]
	s_cbranch_execz .LBB155_152
; %bb.147:
	v_cmp_lt_i64_e32 vcc, 2, v[0:1]
	s_and_saveexec_b64 s[2:3], vcc
	s_xor_b64 s[2:3], exec, s[2:3]
	s_cbranch_execz .LBB155_149
; %bb.148:
	v_mov_b32_e32 v0, 0
	global_store_dwordx2 v0, v[16:17], s[6:7]
                                        ; implicit-def: $vgpr14_vgpr15_vgpr16_vgpr17
.LBB155_149:
	s_andn2_saveexec_b64 s[2:3], s[2:3]
	s_cbranch_execz .LBB155_151
; %bb.150:
	v_mov_b32_e32 v0, 0
	global_store_dwordx2 v0, v[14:15], s[6:7]
.LBB155_151:
	s_or_b64 exec, exec, s[2:3]
                                        ; implicit-def: $vgpr6_vgpr7_vgpr8_vgpr9
                                        ; implicit-def: $vgpr0_vgpr1
.LBB155_152:
	s_andn2_saveexec_b64 s[0:1], s[0:1]
	s_cbranch_execz .LBB155_157
; %bb.153:
	v_cmp_ne_u64_e32 vcc, 1, v[0:1]
	s_and_saveexec_b64 s[0:1], vcc
	s_xor_b64 s[0:1], exec, s[0:1]
	s_cbranch_execz .LBB155_155
; %bb.154:
	v_mov_b32_e32 v0, 0
	global_store_dwordx2 v0, v[6:7], s[6:7]
                                        ; implicit-def: $vgpr6_vgpr7_vgpr8_vgpr9
.LBB155_155:
	s_andn2_saveexec_b64 s[0:1], s[0:1]
	s_cbranch_execz .LBB155_157
; %bb.156:
	v_mov_b32_e32 v0, 0
	global_store_dwordx2 v0, v[8:9], s[6:7]
.LBB155_157:
	s_endpgm
	.section	.rodata,"a",@progbits
	.p2align	6, 0x0
	.amdhsa_kernel _ZN7rocprim6detail20lookback_scan_kernelILNS0_25lookback_scan_determinismE0ELb1ENS0_19wrapped_scan_configINS_14default_configEmEEN6hipcub22TransformInputIteratorImNS6_6CastOpImEEPmlEESA_NS6_3SumENS_12future_valueImSA_EEmNS0_19lookback_scan_stateImLb0ELb1EEEEEvT2_T3_mT5_T4_T7_jPT6_SN_bb
		.amdhsa_group_segment_fixed_size 30720
		.amdhsa_private_segment_fixed_size 0
		.amdhsa_kernarg_size 84
		.amdhsa_user_sgpr_count 2
		.amdhsa_user_sgpr_dispatch_ptr 0
		.amdhsa_user_sgpr_queue_ptr 0
		.amdhsa_user_sgpr_kernarg_segment_ptr 1
		.amdhsa_user_sgpr_dispatch_id 0
		.amdhsa_user_sgpr_kernarg_preload_length 0
		.amdhsa_user_sgpr_kernarg_preload_offset 0
		.amdhsa_user_sgpr_private_segment_size 0
		.amdhsa_uses_dynamic_stack 0
		.amdhsa_enable_private_segment 0
		.amdhsa_system_sgpr_workgroup_id_x 1
		.amdhsa_system_sgpr_workgroup_id_y 0
		.amdhsa_system_sgpr_workgroup_id_z 0
		.amdhsa_system_sgpr_workgroup_info 0
		.amdhsa_system_vgpr_workitem_id 0
		.amdhsa_next_free_vgpr 72
		.amdhsa_next_free_sgpr 68
		.amdhsa_accum_offset 72
		.amdhsa_reserve_vcc 1
		.amdhsa_float_round_mode_32 0
		.amdhsa_float_round_mode_16_64 0
		.amdhsa_float_denorm_mode_32 3
		.amdhsa_float_denorm_mode_16_64 3
		.amdhsa_dx10_clamp 1
		.amdhsa_ieee_mode 1
		.amdhsa_fp16_overflow 0
		.amdhsa_tg_split 0
		.amdhsa_exception_fp_ieee_invalid_op 0
		.amdhsa_exception_fp_denorm_src 0
		.amdhsa_exception_fp_ieee_div_zero 0
		.amdhsa_exception_fp_ieee_overflow 0
		.amdhsa_exception_fp_ieee_underflow 0
		.amdhsa_exception_fp_ieee_inexact 0
		.amdhsa_exception_int_div_zero 0
	.end_amdhsa_kernel
	.section	.text._ZN7rocprim6detail20lookback_scan_kernelILNS0_25lookback_scan_determinismE0ELb1ENS0_19wrapped_scan_configINS_14default_configEmEEN6hipcub22TransformInputIteratorImNS6_6CastOpImEEPmlEESA_NS6_3SumENS_12future_valueImSA_EEmNS0_19lookback_scan_stateImLb0ELb1EEEEEvT2_T3_mT5_T4_T7_jPT6_SN_bb,"axG",@progbits,_ZN7rocprim6detail20lookback_scan_kernelILNS0_25lookback_scan_determinismE0ELb1ENS0_19wrapped_scan_configINS_14default_configEmEEN6hipcub22TransformInputIteratorImNS6_6CastOpImEEPmlEESA_NS6_3SumENS_12future_valueImSA_EEmNS0_19lookback_scan_stateImLb0ELb1EEEEEvT2_T3_mT5_T4_T7_jPT6_SN_bb,comdat
.Lfunc_end155:
	.size	_ZN7rocprim6detail20lookback_scan_kernelILNS0_25lookback_scan_determinismE0ELb1ENS0_19wrapped_scan_configINS_14default_configEmEEN6hipcub22TransformInputIteratorImNS6_6CastOpImEEPmlEESA_NS6_3SumENS_12future_valueImSA_EEmNS0_19lookback_scan_stateImLb0ELb1EEEEEvT2_T3_mT5_T4_T7_jPT6_SN_bb, .Lfunc_end155-_ZN7rocprim6detail20lookback_scan_kernelILNS0_25lookback_scan_determinismE0ELb1ENS0_19wrapped_scan_configINS_14default_configEmEEN6hipcub22TransformInputIteratorImNS6_6CastOpImEEPmlEESA_NS6_3SumENS_12future_valueImSA_EEmNS0_19lookback_scan_stateImLb0ELb1EEEEEvT2_T3_mT5_T4_T7_jPT6_SN_bb
                                        ; -- End function
	.section	.AMDGPU.csdata,"",@progbits
; Kernel info:
; codeLenInByte = 7412
; NumSgprs: 74
; NumVgprs: 72
; NumAgprs: 0
; TotalNumVgprs: 72
; ScratchSize: 0
; MemoryBound: 1
; FloatMode: 240
; IeeeMode: 1
; LDSByteSize: 30720 bytes/workgroup (compile time only)
; SGPRBlocks: 9
; VGPRBlocks: 8
; NumSGPRsForWavesPerEU: 74
; NumVGPRsForWavesPerEU: 72
; AccumOffset: 72
; Occupancy: 2
; WaveLimiterHint : 1
; COMPUTE_PGM_RSRC2:SCRATCH_EN: 0
; COMPUTE_PGM_RSRC2:USER_SGPR: 2
; COMPUTE_PGM_RSRC2:TRAP_HANDLER: 0
; COMPUTE_PGM_RSRC2:TGID_X_EN: 1
; COMPUTE_PGM_RSRC2:TGID_Y_EN: 0
; COMPUTE_PGM_RSRC2:TGID_Z_EN: 0
; COMPUTE_PGM_RSRC2:TIDIG_COMP_CNT: 0
; COMPUTE_PGM_RSRC3_GFX90A:ACCUM_OFFSET: 17
; COMPUTE_PGM_RSRC3_GFX90A:TG_SPLIT: 0
	.section	.text._ZN7rocprim6detail18single_scan_kernelILb1ENS0_19wrapped_scan_configINS_14default_configEmEEN6hipcub22TransformInputIteratorImNS5_6CastOpImEEPmlEES9_NS5_3SumENS_12future_valueImS9_EEmEEvT1_mT4_T2_T3_,"axG",@progbits,_ZN7rocprim6detail18single_scan_kernelILb1ENS0_19wrapped_scan_configINS_14default_configEmEEN6hipcub22TransformInputIteratorImNS5_6CastOpImEEPmlEES9_NS5_3SumENS_12future_valueImS9_EEmEEvT1_mT4_T2_T3_,comdat
	.protected	_ZN7rocprim6detail18single_scan_kernelILb1ENS0_19wrapped_scan_configINS_14default_configEmEEN6hipcub22TransformInputIteratorImNS5_6CastOpImEEPmlEES9_NS5_3SumENS_12future_valueImS9_EEmEEvT1_mT4_T2_T3_ ; -- Begin function _ZN7rocprim6detail18single_scan_kernelILb1ENS0_19wrapped_scan_configINS_14default_configEmEEN6hipcub22TransformInputIteratorImNS5_6CastOpImEEPmlEES9_NS5_3SumENS_12future_valueImS9_EEmEEvT1_mT4_T2_T3_
	.globl	_ZN7rocprim6detail18single_scan_kernelILb1ENS0_19wrapped_scan_configINS_14default_configEmEEN6hipcub22TransformInputIteratorImNS5_6CastOpImEEPmlEES9_NS5_3SumENS_12future_valueImS9_EEmEEvT1_mT4_T2_T3_
	.p2align	8
	.type	_ZN7rocprim6detail18single_scan_kernelILb1ENS0_19wrapped_scan_configINS_14default_configEmEEN6hipcub22TransformInputIteratorImNS5_6CastOpImEEPmlEES9_NS5_3SumENS_12future_valueImS9_EEmEEvT1_mT4_T2_T3_,@function
_ZN7rocprim6detail18single_scan_kernelILb1ENS0_19wrapped_scan_configINS_14default_configEmEEN6hipcub22TransformInputIteratorImNS5_6CastOpImEEPmlEES9_NS5_3SumENS_12future_valueImS9_EEmEEvT1_mT4_T2_T3_: ; @_ZN7rocprim6detail18single_scan_kernelILb1ENS0_19wrapped_scan_configINS_14default_configEmEEN6hipcub22TransformInputIteratorImNS5_6CastOpImEEPmlEES9_NS5_3SumENS_12future_valueImS9_EEmEEvT1_mT4_T2_T3_
; %bb.0:
	s_load_dwordx2 s[2:3], s[0:1], 0x0
	s_load_dwordx4 s[68:71], s[0:1], 0x10
	v_mov_b32_e32 v35, 0
	v_lshlrev_b32_e32 v34, 3, v0
	s_waitcnt lgkmcnt(0)
	s_load_dwordx2 s[36:37], s[2:3], 0x0
	v_lshl_add_u64 v[36:37], s[2:3], 0, v[34:35]
	v_cmp_gt_u32_e64 s[24:25], s68, v0
	s_waitcnt lgkmcnt(0)
	s_mov_b32 s38, s36
	s_mov_b32 s39, s37
	;; [unrolled: 1-line block ×28, first 2 shown]
	v_mov_b64_e32 v[2:3], s[36:37]
	v_mov_b64_e32 v[4:5], s[38:39]
	;; [unrolled: 1-line block ×16, first 2 shown]
	s_and_saveexec_b64 s[2:3], s[24:25]
	s_cbranch_execz .LBB156_2
; %bb.1:
	global_load_dwordx2 v[2:3], v[36:37], off
	v_mov_b32_e32 v4, s36
	v_mov_b32_e32 v5, s37
	;; [unrolled: 1-line block ×28, first 2 shown]
.LBB156_2:
	s_or_b64 exec, exec, s[2:3]
	v_or_b32_e32 v1, 0x100, v0
	v_cmp_gt_u32_e64 s[2:3], s68, v1
	s_and_saveexec_b64 s[4:5], s[2:3]
	s_cbranch_execz .LBB156_4
; %bb.3:
	global_load_dwordx2 v[4:5], v[36:37], off offset:2048
.LBB156_4:
	s_or_b64 exec, exec, s[4:5]
	v_or_b32_e32 v1, 0x200, v0
	v_cmp_gt_u32_e64 s[4:5], s68, v1
	s_and_saveexec_b64 s[6:7], s[4:5]
	s_cbranch_execz .LBB156_6
; %bb.5:
	v_add_co_u32_e32 v6, vcc, 0x1000, v36
	s_nop 1
	v_addc_co_u32_e32 v7, vcc, 0, v37, vcc
	global_load_dwordx2 v[6:7], v[6:7], off
.LBB156_6:
	s_or_b64 exec, exec, s[6:7]
	v_or_b32_e32 v1, 0x300, v0
	v_cmp_gt_u32_e64 s[6:7], s68, v1
	s_and_saveexec_b64 s[8:9], s[6:7]
	s_cbranch_execz .LBB156_8
; %bb.7:
	v_add_co_u32_e32 v8, vcc, 0x1000, v36
	s_nop 1
	v_addc_co_u32_e32 v9, vcc, 0, v37, vcc
	global_load_dwordx2 v[8:9], v[8:9], off offset:2048
.LBB156_8:
	s_or_b64 exec, exec, s[8:9]
	v_or_b32_e32 v1, 0x400, v0
	v_cmp_gt_u32_e64 s[8:9], s68, v1
	s_and_saveexec_b64 s[10:11], s[8:9]
	s_cbranch_execz .LBB156_10
; %bb.9:
	v_add_co_u32_e32 v10, vcc, 0x2000, v36
	s_nop 1
	v_addc_co_u32_e32 v11, vcc, 0, v37, vcc
	global_load_dwordx2 v[10:11], v[10:11], off
.LBB156_10:
	s_or_b64 exec, exec, s[10:11]
	v_or_b32_e32 v1, 0x500, v0
	v_cmp_gt_u32_e64 s[10:11], s68, v1
	s_and_saveexec_b64 s[12:13], s[10:11]
	s_cbranch_execz .LBB156_12
; %bb.11:
	v_add_co_u32_e32 v12, vcc, 0x2000, v36
	s_nop 1
	v_addc_co_u32_e32 v13, vcc, 0, v37, vcc
	global_load_dwordx2 v[12:13], v[12:13], off offset:2048
.LBB156_12:
	;; [unrolled: 22-line block ×6, first 2 shown]
	s_or_b64 exec, exec, s[30:31]
	s_load_dwordx2 s[30:31], s[0:1], 0x20
	s_load_dwordx2 s[34:35], s[70:71], 0x0
	v_or_b32_e32 v1, 0xe00, v0
	v_cmp_gt_u32_e64 s[0:1], s68, v1
	s_and_saveexec_b64 s[36:37], s[0:1]
	s_cbranch_execz .LBB156_30
; %bb.29:
	v_add_co_u32_e32 v30, vcc, 0x7000, v36
	s_nop 1
	v_addc_co_u32_e32 v31, vcc, 0, v37, vcc
	global_load_dwordx2 v[30:31], v[30:31], off
.LBB156_30:
	s_or_b64 exec, exec, s[36:37]
	s_movk_i32 s33, 0x70
	v_mad_u32_u24 v1, v0, s33, v34
	s_waitcnt vmcnt(0)
	ds_write2st64_b64 v34, v[2:3], v[4:5] offset1:4
	ds_write2st64_b64 v34, v[6:7], v[8:9] offset0:8 offset1:12
	ds_write2st64_b64 v34, v[10:11], v[12:13] offset0:16 offset1:20
	;; [unrolled: 1-line block ×6, first 2 shown]
	ds_write_b64 v34, v[30:31] offset:28672
	s_waitcnt lgkmcnt(0)
	s_barrier
	ds_read2_b64 v[2:5], v1 offset1:1
	ds_read2_b64 v[6:9], v1 offset0:2 offset1:3
	ds_read2_b64 v[10:13], v1 offset0:4 offset1:5
	;; [unrolled: 1-line block ×6, first 2 shown]
	ds_read_b64 v[30:31], v1 offset:112
	s_waitcnt lgkmcnt(7)
	v_lshl_add_u64 v[32:33], v[4:5], 0, v[2:3]
	s_waitcnt lgkmcnt(6)
	v_lshl_add_u64 v[32:33], v[32:33], 0, v[6:7]
	v_lshl_add_u64 v[32:33], v[32:33], 0, v[8:9]
	s_waitcnt lgkmcnt(5)
	v_lshl_add_u64 v[32:33], v[32:33], 0, v[10:11]
	;; [unrolled: 3-line block ×6, first 2 shown]
	v_lshrrev_b32_e32 v1, 2, v0
	v_lshl_add_u64 v[32:33], v[32:33], 0, v[28:29]
	v_and_b32_e32 v1, 56, v1
	s_waitcnt lgkmcnt(0)
	v_lshl_add_u64 v[30:31], v[32:33], 0, v[30:31]
	v_add_u32_e32 v1, v34, v1
	v_cmp_gt_u32_e32 vcc, 64, v0
	s_barrier
	ds_write_b64 v1, v[30:31]
	s_waitcnt lgkmcnt(0)
	s_barrier
	s_and_saveexec_b64 s[36:37], vcc
	s_cbranch_execz .LBB156_32
; %bb.31:
	v_lshlrev_b32_e32 v1, 2, v0
	v_lshrrev_b32_e32 v32, 3, v0
	v_add_lshl_u32 v1, v32, v1, 3
	ds_read2_b64 v[36:39], v1 offset1:1
	ds_read2_b64 v[40:43], v1 offset0:2 offset1:3
	v_mbcnt_lo_u32_b32 v33, -1, 0
	v_mov_b32_e32 v32, 0
	v_mbcnt_hi_u32_b32 v35, -1, v33
	s_waitcnt lgkmcnt(1)
	v_lshl_add_u64 v[44:45], v[38:39], 0, v[36:37]
	s_waitcnt lgkmcnt(0)
	v_lshl_add_u64 v[44:45], v[44:45], 0, v[40:41]
	v_lshl_add_u64 v[44:45], v[44:45], 0, v[42:43]
	v_and_b32_e32 v50, 15, v35
	v_mov_b32_e32 v47, v32
	v_mov_b32_dpp v46, v44 row_shr:1 row_mask:0xf bank_mask:0xf
	v_mov_b32_dpp v33, v45 row_shr:1 row_mask:0xf bank_mask:0xf
	v_lshl_add_u64 v[46:47], v[44:45], 0, v[46:47]
	v_cmp_eq_u32_e32 vcc, 0, v50
	v_lshl_add_u64 v[48:49], v[32:33], 0, v[46:47]
	v_mov_b32_e32 v47, v32
	v_cndmask_b32_e32 v51, v46, v44, vcc
	v_cndmask_b32_e32 v45, v49, v45, vcc
	v_cndmask_b32_e32 v44, v48, v44, vcc
	v_mov_b32_dpp v46, v51 row_shr:2 row_mask:0xf bank_mask:0xf
	v_mov_b32_dpp v33, v45 row_shr:2 row_mask:0xf bank_mask:0xf
	v_lshl_add_u64 v[46:47], v[44:45], 0, v[46:47]
	v_cmp_lt_u32_e32 vcc, 1, v50
	v_lshl_add_u64 v[48:49], v[46:47], 0, v[32:33]
	v_mov_b32_e32 v47, v32
	v_cndmask_b32_e32 v51, v51, v46, vcc
	v_cndmask_b32_e32 v45, v45, v49, vcc
	v_cndmask_b32_e32 v44, v44, v48, vcc
	v_mov_b32_dpp v46, v51 row_shr:4 row_mask:0xf bank_mask:0xf
	v_mov_b32_dpp v33, v45 row_shr:4 row_mask:0xf bank_mask:0xf
	v_lshl_add_u64 v[46:47], v[44:45], 0, v[46:47]
	v_cmp_lt_u32_e32 vcc, 3, v50
	;; [unrolled: 9-line block ×3, first 2 shown]
	v_lshl_add_u64 v[48:49], v[46:47], 0, v[32:33]
	v_mov_b32_e32 v47, v32
	v_cndmask_b32_e32 v50, v51, v46, vcc
	v_cndmask_b32_e32 v45, v45, v49, vcc
	;; [unrolled: 1-line block ×3, first 2 shown]
	v_mov_b32_dpp v46, v50 row_bcast:15 row_mask:0xf bank_mask:0xf
	v_and_b32_e32 v51, 16, v35
	v_mov_b32_dpp v33, v45 row_bcast:15 row_mask:0xf bank_mask:0xf
	v_lshl_add_u64 v[46:47], v[44:45], 0, v[46:47]
	v_cmp_eq_u32_e32 vcc, 0, v51
	v_lshl_add_u64 v[48:49], v[46:47], 0, v[32:33]
	v_mov_b32_e32 v47, v32
	v_cndmask_b32_e32 v33, v46, v50, vcc
	v_cndmask_b32_e32 v45, v49, v45, vcc
	;; [unrolled: 1-line block ×3, first 2 shown]
	v_mov_b32_dpp v46, v33 row_bcast:31 row_mask:0xf bank_mask:0xf
	v_mov_b32_dpp v48, v45 row_bcast:31 row_mask:0xf bank_mask:0xf
	v_lshl_add_u64 v[46:47], v[44:45], 0, v[46:47]
	v_add_u32_e32 v44, v48, v47
	v_cmp_lt_u32_e32 vcc, 31, v35
	s_nop 1
	v_cndmask_b32_e32 v33, v33, v46, vcc
	v_cndmask_b32_e32 v45, v45, v44, vcc
	v_add_u32_e32 v44, -1, v35
	v_and_b32_e32 v46, 64, v35
	v_cmp_lt_i32_e32 vcc, v44, v46
	s_nop 1
	v_cndmask_b32_e32 v35, v44, v35, vcc
	v_lshlrev_b32_e32 v35, 2, v35
	ds_bpermute_b32 v44, v35, v33
	ds_bpermute_b32 v33, v35, v45
	v_mov_b32_e32 v45, v32
	v_cmp_eq_u32_e32 vcc, 0, v0
	s_waitcnt lgkmcnt(1)
	v_lshl_add_u64 v[36:37], v[36:37], 0, v[44:45]
	s_waitcnt lgkmcnt(0)
	v_lshl_add_u64 v[32:33], v[36:37], 0, v[32:33]
	v_cndmask_b32_e32 v31, v33, v31, vcc
	v_cndmask_b32_e32 v30, v32, v30, vcc
	v_lshl_add_u64 v[32:33], v[30:31], 0, v[38:39]
	ds_write2_b64 v1, v[30:31], v[32:33] offset1:1
	v_lshl_add_u64 v[30:31], v[32:33], 0, v[40:41]
	v_lshl_add_u64 v[32:33], v[30:31], 0, v[42:43]
	ds_write2_b64 v1, v[30:31], v[32:33] offset0:2 offset1:3
.LBB156_32:
	s_or_b64 exec, exec, s[36:37]
	v_mul_u32_u24_e32 v1, 0x70, v0
	v_cmp_ne_u32_e32 vcc, 0, v0
	v_mov_b64_e32 v[30:31], s[34:35]
	s_waitcnt lgkmcnt(0)
	s_barrier
	s_and_saveexec_b64 s[36:37], vcc
	s_cbranch_execz .LBB156_34
; %bb.33:
	v_add_u32_e32 v0, -1, v0
	v_lshrrev_b32_e32 v30, 5, v0
	v_add_lshl_u32 v0, v30, v0, 3
	ds_read_b64 v[30:31], v0
	s_waitcnt lgkmcnt(0)
	v_lshl_add_u64 v[30:31], v[30:31], 0, s[34:35]
.LBB156_34:
	s_or_b64 exec, exec, s[36:37]
	v_lshl_add_u64 v[2:3], v[30:31], 0, v[2:3]
	v_lshl_add_u64 v[4:5], v[2:3], 0, v[4:5]
	;; [unrolled: 1-line block ×13, first 2 shown]
	v_add_u32_e32 v0, v34, v1
	v_lshl_add_u64 v[28:29], v[26:27], 0, v[28:29]
	s_barrier
	ds_write2_b64 v0, v[30:31], v[2:3] offset1:1
	ds_write2_b64 v0, v[4:5], v[6:7] offset0:2 offset1:3
	ds_write2_b64 v0, v[8:9], v[10:11] offset0:4 offset1:5
	;; [unrolled: 1-line block ×6, first 2 shown]
	ds_write_b64 v0, v[28:29] offset:112
	s_waitcnt lgkmcnt(0)
	s_barrier
	ds_read2st64_b64 v[24:27], v34 offset0:4 offset1:8
	ds_read2st64_b64 v[20:23], v34 offset0:12 offset1:16
	;; [unrolled: 1-line block ×7, first 2 shown]
	v_mov_b32_e32 v35, 0
	v_lshl_add_u64 v[28:29], s[30:31], 0, v[34:35]
	s_and_saveexec_b64 s[30:31], s[24:25]
	s_cbranch_execnz .LBB156_50
; %bb.35:
	s_or_b64 exec, exec, s[30:31]
	s_and_saveexec_b64 s[24:25], s[2:3]
	s_cbranch_execnz .LBB156_51
.LBB156_36:
	s_or_b64 exec, exec, s[24:25]
	s_and_saveexec_b64 s[2:3], s[4:5]
	s_cbranch_execnz .LBB156_52
.LBB156_37:
	s_or_b64 exec, exec, s[2:3]
	s_and_saveexec_b64 s[2:3], s[6:7]
	s_cbranch_execnz .LBB156_53
.LBB156_38:
	s_or_b64 exec, exec, s[2:3]
	s_and_saveexec_b64 s[2:3], s[8:9]
	s_cbranch_execnz .LBB156_54
.LBB156_39:
	s_or_b64 exec, exec, s[2:3]
	s_and_saveexec_b64 s[2:3], s[10:11]
	s_cbranch_execnz .LBB156_55
.LBB156_40:
	s_or_b64 exec, exec, s[2:3]
	s_and_saveexec_b64 s[2:3], s[12:13]
	s_cbranch_execnz .LBB156_56
.LBB156_41:
	s_or_b64 exec, exec, s[2:3]
	s_and_saveexec_b64 s[2:3], s[14:15]
	s_cbranch_execnz .LBB156_57
.LBB156_42:
	s_or_b64 exec, exec, s[2:3]
	s_and_saveexec_b64 s[2:3], s[16:17]
	s_cbranch_execnz .LBB156_58
.LBB156_43:
	s_or_b64 exec, exec, s[2:3]
	s_and_saveexec_b64 s[2:3], s[18:19]
	s_cbranch_execnz .LBB156_59
.LBB156_44:
	s_or_b64 exec, exec, s[2:3]
	s_and_saveexec_b64 s[2:3], s[20:21]
	s_cbranch_execnz .LBB156_60
.LBB156_45:
	s_or_b64 exec, exec, s[2:3]
	s_and_saveexec_b64 s[2:3], s[22:23]
	s_cbranch_execnz .LBB156_61
.LBB156_46:
	s_or_b64 exec, exec, s[2:3]
	s_and_saveexec_b64 s[2:3], s[26:27]
	s_cbranch_execnz .LBB156_62
.LBB156_47:
	s_or_b64 exec, exec, s[2:3]
	s_and_saveexec_b64 s[2:3], s[28:29]
	s_cbranch_execnz .LBB156_63
.LBB156_48:
	s_or_b64 exec, exec, s[2:3]
	s_and_saveexec_b64 s[2:3], s[0:1]
	s_cbranch_execnz .LBB156_64
.LBB156_49:
	s_endpgm
.LBB156_50:
	ds_read_b64 v[30:31], v34
	s_waitcnt lgkmcnt(0)
	global_store_dwordx2 v[28:29], v[30:31], off
	s_or_b64 exec, exec, s[30:31]
	s_and_saveexec_b64 s[24:25], s[2:3]
	s_cbranch_execz .LBB156_36
.LBB156_51:
	s_waitcnt lgkmcnt(6)
	global_store_dwordx2 v[28:29], v[24:25], off offset:2048
	s_or_b64 exec, exec, s[24:25]
	s_and_saveexec_b64 s[2:3], s[4:5]
	s_cbranch_execz .LBB156_37
.LBB156_52:
	s_waitcnt lgkmcnt(6)
	v_add_co_u32_e32 v24, vcc, 0x1000, v28
	s_nop 1
	v_addc_co_u32_e32 v25, vcc, 0, v29, vcc
	global_store_dwordx2 v[24:25], v[26:27], off
	s_or_b64 exec, exec, s[2:3]
	s_and_saveexec_b64 s[2:3], s[6:7]
	s_cbranch_execz .LBB156_38
.LBB156_53:
	s_waitcnt lgkmcnt(6)
	v_add_co_u32_e32 v24, vcc, 0x1000, v28
	s_nop 1
	v_addc_co_u32_e32 v25, vcc, 0, v29, vcc
	s_waitcnt lgkmcnt(5)
	global_store_dwordx2 v[24:25], v[20:21], off offset:2048
	s_or_b64 exec, exec, s[2:3]
	s_and_saveexec_b64 s[2:3], s[8:9]
	s_cbranch_execz .LBB156_39
.LBB156_54:
	s_waitcnt lgkmcnt(5)
	v_add_co_u32_e32 v20, vcc, 0x2000, v28
	s_nop 1
	v_addc_co_u32_e32 v21, vcc, 0, v29, vcc
	global_store_dwordx2 v[20:21], v[22:23], off
	s_or_b64 exec, exec, s[2:3]
	s_and_saveexec_b64 s[2:3], s[10:11]
	s_cbranch_execz .LBB156_40
.LBB156_55:
	s_waitcnt lgkmcnt(5)
	v_add_co_u32_e32 v20, vcc, 0x2000, v28
	s_nop 1
	v_addc_co_u32_e32 v21, vcc, 0, v29, vcc
	s_waitcnt lgkmcnt(4)
	global_store_dwordx2 v[20:21], v[16:17], off offset:2048
	s_or_b64 exec, exec, s[2:3]
	s_and_saveexec_b64 s[2:3], s[12:13]
	s_cbranch_execz .LBB156_41
.LBB156_56:
	s_waitcnt lgkmcnt(4)
	v_add_co_u32_e32 v16, vcc, 0x3000, v28
	s_nop 1
	v_addc_co_u32_e32 v17, vcc, 0, v29, vcc
	global_store_dwordx2 v[16:17], v[18:19], off
	s_or_b64 exec, exec, s[2:3]
	s_and_saveexec_b64 s[2:3], s[14:15]
	s_cbranch_execz .LBB156_42
.LBB156_57:
	s_waitcnt lgkmcnt(4)
	v_add_co_u32_e32 v16, vcc, 0x3000, v28
	s_nop 1
	v_addc_co_u32_e32 v17, vcc, 0, v29, vcc
	s_waitcnt lgkmcnt(3)
	global_store_dwordx2 v[16:17], v[12:13], off offset:2048
	s_or_b64 exec, exec, s[2:3]
	s_and_saveexec_b64 s[2:3], s[16:17]
	s_cbranch_execz .LBB156_43
.LBB156_58:
	s_waitcnt lgkmcnt(3)
	v_add_co_u32_e32 v12, vcc, 0x4000, v28
	s_nop 1
	v_addc_co_u32_e32 v13, vcc, 0, v29, vcc
	global_store_dwordx2 v[12:13], v[14:15], off
	s_or_b64 exec, exec, s[2:3]
	s_and_saveexec_b64 s[2:3], s[18:19]
	s_cbranch_execz .LBB156_44
.LBB156_59:
	s_waitcnt lgkmcnt(3)
	v_add_co_u32_e32 v12, vcc, 0x4000, v28
	s_nop 1
	v_addc_co_u32_e32 v13, vcc, 0, v29, vcc
	s_waitcnt lgkmcnt(2)
	global_store_dwordx2 v[12:13], v[8:9], off offset:2048
	s_or_b64 exec, exec, s[2:3]
	s_and_saveexec_b64 s[2:3], s[20:21]
	s_cbranch_execz .LBB156_45
.LBB156_60:
	s_waitcnt lgkmcnt(2)
	v_add_co_u32_e32 v8, vcc, 0x5000, v28
	s_nop 1
	v_addc_co_u32_e32 v9, vcc, 0, v29, vcc
	global_store_dwordx2 v[8:9], v[10:11], off
	s_or_b64 exec, exec, s[2:3]
	s_and_saveexec_b64 s[2:3], s[22:23]
	s_cbranch_execz .LBB156_46
.LBB156_61:
	s_waitcnt lgkmcnt(2)
	v_add_co_u32_e32 v8, vcc, 0x5000, v28
	s_nop 1
	v_addc_co_u32_e32 v9, vcc, 0, v29, vcc
	s_waitcnt lgkmcnt(1)
	global_store_dwordx2 v[8:9], v[4:5], off offset:2048
	s_or_b64 exec, exec, s[2:3]
	s_and_saveexec_b64 s[2:3], s[26:27]
	s_cbranch_execz .LBB156_47
.LBB156_62:
	s_waitcnt lgkmcnt(1)
	v_add_co_u32_e32 v4, vcc, 0x6000, v28
	s_nop 1
	v_addc_co_u32_e32 v5, vcc, 0, v29, vcc
	global_store_dwordx2 v[4:5], v[6:7], off
	s_or_b64 exec, exec, s[2:3]
	s_and_saveexec_b64 s[2:3], s[28:29]
	s_cbranch_execz .LBB156_48
.LBB156_63:
	s_waitcnt lgkmcnt(1)
	v_add_co_u32_e32 v4, vcc, 0x6000, v28
	s_nop 1
	v_addc_co_u32_e32 v5, vcc, 0, v29, vcc
	s_waitcnt lgkmcnt(0)
	global_store_dwordx2 v[4:5], v[0:1], off offset:2048
	s_or_b64 exec, exec, s[2:3]
	s_and_saveexec_b64 s[2:3], s[0:1]
	s_cbranch_execz .LBB156_49
.LBB156_64:
	s_waitcnt lgkmcnt(0)
	v_add_co_u32_e32 v0, vcc, 0x7000, v28
	s_nop 1
	v_addc_co_u32_e32 v1, vcc, 0, v29, vcc
	global_store_dwordx2 v[0:1], v[2:3], off
	s_endpgm
	.section	.rodata,"a",@progbits
	.p2align	6, 0x0
	.amdhsa_kernel _ZN7rocprim6detail18single_scan_kernelILb1ENS0_19wrapped_scan_configINS_14default_configEmEEN6hipcub22TransformInputIteratorImNS5_6CastOpImEEPmlEES9_NS5_3SumENS_12future_valueImS9_EEmEEvT1_mT4_T2_T3_
		.amdhsa_group_segment_fixed_size 30720
		.amdhsa_private_segment_fixed_size 0
		.amdhsa_kernarg_size 44
		.amdhsa_user_sgpr_count 2
		.amdhsa_user_sgpr_dispatch_ptr 0
		.amdhsa_user_sgpr_queue_ptr 0
		.amdhsa_user_sgpr_kernarg_segment_ptr 1
		.amdhsa_user_sgpr_dispatch_id 0
		.amdhsa_user_sgpr_kernarg_preload_length 0
		.amdhsa_user_sgpr_kernarg_preload_offset 0
		.amdhsa_user_sgpr_private_segment_size 0
		.amdhsa_uses_dynamic_stack 0
		.amdhsa_enable_private_segment 0
		.amdhsa_system_sgpr_workgroup_id_x 1
		.amdhsa_system_sgpr_workgroup_id_y 0
		.amdhsa_system_sgpr_workgroup_id_z 0
		.amdhsa_system_sgpr_workgroup_info 0
		.amdhsa_system_vgpr_workitem_id 0
		.amdhsa_next_free_vgpr 52
		.amdhsa_next_free_sgpr 72
		.amdhsa_accum_offset 52
		.amdhsa_reserve_vcc 1
		.amdhsa_float_round_mode_32 0
		.amdhsa_float_round_mode_16_64 0
		.amdhsa_float_denorm_mode_32 3
		.amdhsa_float_denorm_mode_16_64 3
		.amdhsa_dx10_clamp 1
		.amdhsa_ieee_mode 1
		.amdhsa_fp16_overflow 0
		.amdhsa_tg_split 0
		.amdhsa_exception_fp_ieee_invalid_op 0
		.amdhsa_exception_fp_denorm_src 0
		.amdhsa_exception_fp_ieee_div_zero 0
		.amdhsa_exception_fp_ieee_overflow 0
		.amdhsa_exception_fp_ieee_underflow 0
		.amdhsa_exception_fp_ieee_inexact 0
		.amdhsa_exception_int_div_zero 0
	.end_amdhsa_kernel
	.section	.text._ZN7rocprim6detail18single_scan_kernelILb1ENS0_19wrapped_scan_configINS_14default_configEmEEN6hipcub22TransformInputIteratorImNS5_6CastOpImEEPmlEES9_NS5_3SumENS_12future_valueImS9_EEmEEvT1_mT4_T2_T3_,"axG",@progbits,_ZN7rocprim6detail18single_scan_kernelILb1ENS0_19wrapped_scan_configINS_14default_configEmEEN6hipcub22TransformInputIteratorImNS5_6CastOpImEEPmlEES9_NS5_3SumENS_12future_valueImS9_EEmEEvT1_mT4_T2_T3_,comdat
.Lfunc_end156:
	.size	_ZN7rocprim6detail18single_scan_kernelILb1ENS0_19wrapped_scan_configINS_14default_configEmEEN6hipcub22TransformInputIteratorImNS5_6CastOpImEEPmlEES9_NS5_3SumENS_12future_valueImS9_EEmEEvT1_mT4_T2_T3_, .Lfunc_end156-_ZN7rocprim6detail18single_scan_kernelILb1ENS0_19wrapped_scan_configINS_14default_configEmEEN6hipcub22TransformInputIteratorImNS5_6CastOpImEEPmlEES9_NS5_3SumENS_12future_valueImS9_EEmEEvT1_mT4_T2_T3_
                                        ; -- End function
	.section	.AMDGPU.csdata,"",@progbits
; Kernel info:
; codeLenInByte = 3060
; NumSgprs: 78
; NumVgprs: 52
; NumAgprs: 0
; TotalNumVgprs: 52
; ScratchSize: 0
; MemoryBound: 1
; FloatMode: 240
; IeeeMode: 1
; LDSByteSize: 30720 bytes/workgroup (compile time only)
; SGPRBlocks: 9
; VGPRBlocks: 6
; NumSGPRsForWavesPerEU: 78
; NumVGPRsForWavesPerEU: 52
; AccumOffset: 52
; Occupancy: 2
; WaveLimiterHint : 0
; COMPUTE_PGM_RSRC2:SCRATCH_EN: 0
; COMPUTE_PGM_RSRC2:USER_SGPR: 2
; COMPUTE_PGM_RSRC2:TRAP_HANDLER: 0
; COMPUTE_PGM_RSRC2:TGID_X_EN: 1
; COMPUTE_PGM_RSRC2:TGID_Y_EN: 0
; COMPUTE_PGM_RSRC2:TGID_Z_EN: 0
; COMPUTE_PGM_RSRC2:TIDIG_COMP_CNT: 0
; COMPUTE_PGM_RSRC3_GFX90A:ACCUM_OFFSET: 12
; COMPUTE_PGM_RSRC3_GFX90A:TG_SPLIT: 0
	.section	.text._ZL18fill_initial_valueImEvPT_S0_,"axG",@progbits,_ZL18fill_initial_valueImEvPT_S0_,comdat
	.globl	_ZL18fill_initial_valueImEvPT_S0_ ; -- Begin function _ZL18fill_initial_valueImEvPT_S0_
	.p2align	8
	.type	_ZL18fill_initial_valueImEvPT_S0_,@function
_ZL18fill_initial_valueImEvPT_S0_:      ; @_ZL18fill_initial_valueImEvPT_S0_
; %bb.0:
	s_load_dwordx4 s[0:3], s[0:1], 0x0
	v_mov_b32_e32 v2, 0
	s_waitcnt lgkmcnt(0)
	v_mov_b32_e32 v0, s2
	v_mov_b32_e32 v1, s3
	global_store_dwordx2 v2, v[0:1], s[0:1]
	s_endpgm
	.section	.rodata,"a",@progbits
	.p2align	6, 0x0
	.amdhsa_kernel _ZL18fill_initial_valueImEvPT_S0_
		.amdhsa_group_segment_fixed_size 0
		.amdhsa_private_segment_fixed_size 0
		.amdhsa_kernarg_size 16
		.amdhsa_user_sgpr_count 2
		.amdhsa_user_sgpr_dispatch_ptr 0
		.amdhsa_user_sgpr_queue_ptr 0
		.amdhsa_user_sgpr_kernarg_segment_ptr 1
		.amdhsa_user_sgpr_dispatch_id 0
		.amdhsa_user_sgpr_kernarg_preload_length 0
		.amdhsa_user_sgpr_kernarg_preload_offset 0
		.amdhsa_user_sgpr_private_segment_size 0
		.amdhsa_uses_dynamic_stack 0
		.amdhsa_enable_private_segment 0
		.amdhsa_system_sgpr_workgroup_id_x 1
		.amdhsa_system_sgpr_workgroup_id_y 0
		.amdhsa_system_sgpr_workgroup_id_z 0
		.amdhsa_system_sgpr_workgroup_info 0
		.amdhsa_system_vgpr_workitem_id 0
		.amdhsa_next_free_vgpr 3
		.amdhsa_next_free_sgpr 4
		.amdhsa_accum_offset 4
		.amdhsa_reserve_vcc 0
		.amdhsa_float_round_mode_32 0
		.amdhsa_float_round_mode_16_64 0
		.amdhsa_float_denorm_mode_32 3
		.amdhsa_float_denorm_mode_16_64 3
		.amdhsa_dx10_clamp 1
		.amdhsa_ieee_mode 1
		.amdhsa_fp16_overflow 0
		.amdhsa_tg_split 0
		.amdhsa_exception_fp_ieee_invalid_op 0
		.amdhsa_exception_fp_denorm_src 0
		.amdhsa_exception_fp_ieee_div_zero 0
		.amdhsa_exception_fp_ieee_overflow 0
		.amdhsa_exception_fp_ieee_underflow 0
		.amdhsa_exception_fp_ieee_inexact 0
		.amdhsa_exception_int_div_zero 0
	.end_amdhsa_kernel
	.section	.text._ZL18fill_initial_valueImEvPT_S0_,"axG",@progbits,_ZL18fill_initial_valueImEvPT_S0_,comdat
.Lfunc_end157:
	.size	_ZL18fill_initial_valueImEvPT_S0_, .Lfunc_end157-_ZL18fill_initial_valueImEvPT_S0_
                                        ; -- End function
	.section	.AMDGPU.csdata,"",@progbits
; Kernel info:
; codeLenInByte = 36
; NumSgprs: 10
; NumVgprs: 3
; NumAgprs: 0
; TotalNumVgprs: 3
; ScratchSize: 0
; MemoryBound: 0
; FloatMode: 240
; IeeeMode: 1
; LDSByteSize: 0 bytes/workgroup (compile time only)
; SGPRBlocks: 1
; VGPRBlocks: 0
; NumSGPRsForWavesPerEU: 10
; NumVGPRsForWavesPerEU: 3
; AccumOffset: 4
; Occupancy: 8
; WaveLimiterHint : 0
; COMPUTE_PGM_RSRC2:SCRATCH_EN: 0
; COMPUTE_PGM_RSRC2:USER_SGPR: 2
; COMPUTE_PGM_RSRC2:TRAP_HANDLER: 0
; COMPUTE_PGM_RSRC2:TGID_X_EN: 1
; COMPUTE_PGM_RSRC2:TGID_Y_EN: 0
; COMPUTE_PGM_RSRC2:TGID_Z_EN: 0
; COMPUTE_PGM_RSRC2:TIDIG_COMP_CNT: 0
; COMPUTE_PGM_RSRC3_GFX90A:ACCUM_OFFSET: 0
; COMPUTE_PGM_RSRC3_GFX90A:TG_SPLIT: 0
	.section	.text._ZN7rocprim6detail20lookback_scan_kernelILNS0_25lookback_scan_determinismE0ELb1ENS0_19wrapped_scan_configINS_14default_configEyEEN6hipcub22TransformInputIteratorIyNS6_6CastOpIyEEPylEESA_NS6_3MinENS_12future_valueIySA_EEyNS0_19lookback_scan_stateIyLb1ELb1EEEEEvT2_T3_mT5_T4_T7_jPT6_SN_bb,"axG",@progbits,_ZN7rocprim6detail20lookback_scan_kernelILNS0_25lookback_scan_determinismE0ELb1ENS0_19wrapped_scan_configINS_14default_configEyEEN6hipcub22TransformInputIteratorIyNS6_6CastOpIyEEPylEESA_NS6_3MinENS_12future_valueIySA_EEyNS0_19lookback_scan_stateIyLb1ELb1EEEEEvT2_T3_mT5_T4_T7_jPT6_SN_bb,comdat
	.protected	_ZN7rocprim6detail20lookback_scan_kernelILNS0_25lookback_scan_determinismE0ELb1ENS0_19wrapped_scan_configINS_14default_configEyEEN6hipcub22TransformInputIteratorIyNS6_6CastOpIyEEPylEESA_NS6_3MinENS_12future_valueIySA_EEyNS0_19lookback_scan_stateIyLb1ELb1EEEEEvT2_T3_mT5_T4_T7_jPT6_SN_bb ; -- Begin function _ZN7rocprim6detail20lookback_scan_kernelILNS0_25lookback_scan_determinismE0ELb1ENS0_19wrapped_scan_configINS_14default_configEyEEN6hipcub22TransformInputIteratorIyNS6_6CastOpIyEEPylEESA_NS6_3MinENS_12future_valueIySA_EEyNS0_19lookback_scan_stateIyLb1ELb1EEEEEvT2_T3_mT5_T4_T7_jPT6_SN_bb
	.globl	_ZN7rocprim6detail20lookback_scan_kernelILNS0_25lookback_scan_determinismE0ELb1ENS0_19wrapped_scan_configINS_14default_configEyEEN6hipcub22TransformInputIteratorIyNS6_6CastOpIyEEPylEESA_NS6_3MinENS_12future_valueIySA_EEyNS0_19lookback_scan_stateIyLb1ELb1EEEEEvT2_T3_mT5_T4_T7_jPT6_SN_bb
	.p2align	8
	.type	_ZN7rocprim6detail20lookback_scan_kernelILNS0_25lookback_scan_determinismE0ELb1ENS0_19wrapped_scan_configINS_14default_configEyEEN6hipcub22TransformInputIteratorIyNS6_6CastOpIyEEPylEESA_NS6_3MinENS_12future_valueIySA_EEyNS0_19lookback_scan_stateIyLb1ELb1EEEEEvT2_T3_mT5_T4_T7_jPT6_SN_bb,@function
_ZN7rocprim6detail20lookback_scan_kernelILNS0_25lookback_scan_determinismE0ELb1ENS0_19wrapped_scan_configINS_14default_configEyEEN6hipcub22TransformInputIteratorIyNS6_6CastOpIyEEPylEESA_NS6_3MinENS_12future_valueIySA_EEyNS0_19lookback_scan_stateIyLb1ELb1EEEEEvT2_T3_mT5_T4_T7_jPT6_SN_bb: ; @_ZN7rocprim6detail20lookback_scan_kernelILNS0_25lookback_scan_determinismE0ELb1ENS0_19wrapped_scan_configINS_14default_configEyEEN6hipcub22TransformInputIteratorIyNS6_6CastOpIyEEPylEESA_NS6_3MinENS_12future_valueIySA_EEyNS0_19lookback_scan_stateIyLb1ELb1EEEEEvT2_T3_mT5_T4_T7_jPT6_SN_bb
; %bb.0:
	s_endpgm
	.section	.rodata,"a",@progbits
	.p2align	6, 0x0
	.amdhsa_kernel _ZN7rocprim6detail20lookback_scan_kernelILNS0_25lookback_scan_determinismE0ELb1ENS0_19wrapped_scan_configINS_14default_configEyEEN6hipcub22TransformInputIteratorIyNS6_6CastOpIyEEPylEESA_NS6_3MinENS_12future_valueIySA_EEyNS0_19lookback_scan_stateIyLb1ELb1EEEEEvT2_T3_mT5_T4_T7_jPT6_SN_bb
		.amdhsa_group_segment_fixed_size 0
		.amdhsa_private_segment_fixed_size 0
		.amdhsa_kernarg_size 84
		.amdhsa_user_sgpr_count 2
		.amdhsa_user_sgpr_dispatch_ptr 0
		.amdhsa_user_sgpr_queue_ptr 0
		.amdhsa_user_sgpr_kernarg_segment_ptr 1
		.amdhsa_user_sgpr_dispatch_id 0
		.amdhsa_user_sgpr_kernarg_preload_length 0
		.amdhsa_user_sgpr_kernarg_preload_offset 0
		.amdhsa_user_sgpr_private_segment_size 0
		.amdhsa_uses_dynamic_stack 0
		.amdhsa_enable_private_segment 0
		.amdhsa_system_sgpr_workgroup_id_x 1
		.amdhsa_system_sgpr_workgroup_id_y 0
		.amdhsa_system_sgpr_workgroup_id_z 0
		.amdhsa_system_sgpr_workgroup_info 0
		.amdhsa_system_vgpr_workitem_id 0
		.amdhsa_next_free_vgpr 1
		.amdhsa_next_free_sgpr 0
		.amdhsa_accum_offset 4
		.amdhsa_reserve_vcc 0
		.amdhsa_float_round_mode_32 0
		.amdhsa_float_round_mode_16_64 0
		.amdhsa_float_denorm_mode_32 3
		.amdhsa_float_denorm_mode_16_64 3
		.amdhsa_dx10_clamp 1
		.amdhsa_ieee_mode 1
		.amdhsa_fp16_overflow 0
		.amdhsa_tg_split 0
		.amdhsa_exception_fp_ieee_invalid_op 0
		.amdhsa_exception_fp_denorm_src 0
		.amdhsa_exception_fp_ieee_div_zero 0
		.amdhsa_exception_fp_ieee_overflow 0
		.amdhsa_exception_fp_ieee_underflow 0
		.amdhsa_exception_fp_ieee_inexact 0
		.amdhsa_exception_int_div_zero 0
	.end_amdhsa_kernel
	.section	.text._ZN7rocprim6detail20lookback_scan_kernelILNS0_25lookback_scan_determinismE0ELb1ENS0_19wrapped_scan_configINS_14default_configEyEEN6hipcub22TransformInputIteratorIyNS6_6CastOpIyEEPylEESA_NS6_3MinENS_12future_valueIySA_EEyNS0_19lookback_scan_stateIyLb1ELb1EEEEEvT2_T3_mT5_T4_T7_jPT6_SN_bb,"axG",@progbits,_ZN7rocprim6detail20lookback_scan_kernelILNS0_25lookback_scan_determinismE0ELb1ENS0_19wrapped_scan_configINS_14default_configEyEEN6hipcub22TransformInputIteratorIyNS6_6CastOpIyEEPylEESA_NS6_3MinENS_12future_valueIySA_EEyNS0_19lookback_scan_stateIyLb1ELb1EEEEEvT2_T3_mT5_T4_T7_jPT6_SN_bb,comdat
.Lfunc_end158:
	.size	_ZN7rocprim6detail20lookback_scan_kernelILNS0_25lookback_scan_determinismE0ELb1ENS0_19wrapped_scan_configINS_14default_configEyEEN6hipcub22TransformInputIteratorIyNS6_6CastOpIyEEPylEESA_NS6_3MinENS_12future_valueIySA_EEyNS0_19lookback_scan_stateIyLb1ELb1EEEEEvT2_T3_mT5_T4_T7_jPT6_SN_bb, .Lfunc_end158-_ZN7rocprim6detail20lookback_scan_kernelILNS0_25lookback_scan_determinismE0ELb1ENS0_19wrapped_scan_configINS_14default_configEyEEN6hipcub22TransformInputIteratorIyNS6_6CastOpIyEEPylEESA_NS6_3MinENS_12future_valueIySA_EEyNS0_19lookback_scan_stateIyLb1ELb1EEEEEvT2_T3_mT5_T4_T7_jPT6_SN_bb
                                        ; -- End function
	.section	.AMDGPU.csdata,"",@progbits
; Kernel info:
; codeLenInByte = 4
; NumSgprs: 6
; NumVgprs: 0
; NumAgprs: 0
; TotalNumVgprs: 0
; ScratchSize: 0
; MemoryBound: 0
; FloatMode: 240
; IeeeMode: 1
; LDSByteSize: 0 bytes/workgroup (compile time only)
; SGPRBlocks: 0
; VGPRBlocks: 0
; NumSGPRsForWavesPerEU: 6
; NumVGPRsForWavesPerEU: 1
; AccumOffset: 4
; Occupancy: 8
; WaveLimiterHint : 0
; COMPUTE_PGM_RSRC2:SCRATCH_EN: 0
; COMPUTE_PGM_RSRC2:USER_SGPR: 2
; COMPUTE_PGM_RSRC2:TRAP_HANDLER: 0
; COMPUTE_PGM_RSRC2:TGID_X_EN: 1
; COMPUTE_PGM_RSRC2:TGID_Y_EN: 0
; COMPUTE_PGM_RSRC2:TGID_Z_EN: 0
; COMPUTE_PGM_RSRC2:TIDIG_COMP_CNT: 0
; COMPUTE_PGM_RSRC3_GFX90A:ACCUM_OFFSET: 0
; COMPUTE_PGM_RSRC3_GFX90A:TG_SPLIT: 0
	.section	.text._ZN7rocprim6detail20lookback_scan_kernelILNS0_25lookback_scan_determinismE0ELb1ENS0_19wrapped_scan_configINS_14default_configEyEEN6hipcub22TransformInputIteratorIyNS6_6CastOpIyEEPylEESA_NS6_3MinENS_12future_valueIySA_EEyNS0_19lookback_scan_stateIyLb0ELb1EEEEEvT2_T3_mT5_T4_T7_jPT6_SN_bb,"axG",@progbits,_ZN7rocprim6detail20lookback_scan_kernelILNS0_25lookback_scan_determinismE0ELb1ENS0_19wrapped_scan_configINS_14default_configEyEEN6hipcub22TransformInputIteratorIyNS6_6CastOpIyEEPylEESA_NS6_3MinENS_12future_valueIySA_EEyNS0_19lookback_scan_stateIyLb0ELb1EEEEEvT2_T3_mT5_T4_T7_jPT6_SN_bb,comdat
	.protected	_ZN7rocprim6detail20lookback_scan_kernelILNS0_25lookback_scan_determinismE0ELb1ENS0_19wrapped_scan_configINS_14default_configEyEEN6hipcub22TransformInputIteratorIyNS6_6CastOpIyEEPylEESA_NS6_3MinENS_12future_valueIySA_EEyNS0_19lookback_scan_stateIyLb0ELb1EEEEEvT2_T3_mT5_T4_T7_jPT6_SN_bb ; -- Begin function _ZN7rocprim6detail20lookback_scan_kernelILNS0_25lookback_scan_determinismE0ELb1ENS0_19wrapped_scan_configINS_14default_configEyEEN6hipcub22TransformInputIteratorIyNS6_6CastOpIyEEPylEESA_NS6_3MinENS_12future_valueIySA_EEyNS0_19lookback_scan_stateIyLb0ELb1EEEEEvT2_T3_mT5_T4_T7_jPT6_SN_bb
	.globl	_ZN7rocprim6detail20lookback_scan_kernelILNS0_25lookback_scan_determinismE0ELb1ENS0_19wrapped_scan_configINS_14default_configEyEEN6hipcub22TransformInputIteratorIyNS6_6CastOpIyEEPylEESA_NS6_3MinENS_12future_valueIySA_EEyNS0_19lookback_scan_stateIyLb0ELb1EEEEEvT2_T3_mT5_T4_T7_jPT6_SN_bb
	.p2align	8
	.type	_ZN7rocprim6detail20lookback_scan_kernelILNS0_25lookback_scan_determinismE0ELb1ENS0_19wrapped_scan_configINS_14default_configEyEEN6hipcub22TransformInputIteratorIyNS6_6CastOpIyEEPylEESA_NS6_3MinENS_12future_valueIySA_EEyNS0_19lookback_scan_stateIyLb0ELb1EEEEEvT2_T3_mT5_T4_T7_jPT6_SN_bb,@function
_ZN7rocprim6detail20lookback_scan_kernelILNS0_25lookback_scan_determinismE0ELb1ENS0_19wrapped_scan_configINS_14default_configEyEEN6hipcub22TransformInputIteratorIyNS6_6CastOpIyEEPylEESA_NS6_3MinENS_12future_valueIySA_EEyNS0_19lookback_scan_stateIyLb0ELb1EEEEEvT2_T3_mT5_T4_T7_jPT6_SN_bb: ; @_ZN7rocprim6detail20lookback_scan_kernelILNS0_25lookback_scan_determinismE0ELb1ENS0_19wrapped_scan_configINS_14default_configEyEEN6hipcub22TransformInputIteratorIyNS6_6CastOpIyEEPylEESA_NS6_3MinENS_12future_valueIySA_EEyNS0_19lookback_scan_stateIyLb0ELb1EEEEEvT2_T3_mT5_T4_T7_jPT6_SN_bb
; %bb.0:
	s_load_dwordx2 s[4:5], s[0:1], 0x20
	s_load_dword s3, s[0:1], 0x38
	s_load_dwordx2 s[16:17], s[0:1], 0x0
	s_load_dwordx4 s[12:15], s[0:1], 0x10
	v_lshlrev_b32_e32 v62, 3, v0
	s_waitcnt lgkmcnt(0)
	s_load_dwordx2 s[18:19], s[4:5], 0x0
	s_add_i32 s3, s3, -1
	s_mul_i32 s6, s3, 0xf00
	s_sub_u32 s26, s14, s6
	s_subb_u32 s27, s15, 0
	s_mul_i32 s4, s2, 0xf00
	s_mov_b32 s5, 0
	s_cmp_lg_u32 s2, s3
	s_cselect_b64 s[10:11], -1, 0
	s_lshl_b64 s[14:15], s[4:5], 3
	s_add_u32 s6, s16, s14
	s_addc_u32 s7, s17, s15
	s_mov_b64 s[4:5], -1
	s_and_b64 vcc, exec, s[10:11]
	s_cbranch_vccz .LBB159_2
; %bb.1:
	v_mov_b32_e32 v63, 0
	v_lshl_add_u64 v[2:3], s[6:7], 0, v[62:63]
	v_add_co_u32_e32 v8, vcc, 0x1000, v2
	global_load_dwordx2 v[4:5], v62, s[6:7]
	global_load_dwordx2 v[6:7], v62, s[6:7] offset:2048
	v_addc_co_u32_e32 v9, vcc, 0, v3, vcc
	v_add_co_u32_e32 v10, vcc, 0x2000, v2
	s_mov_b64 s[4:5], 0
	s_nop 0
	v_addc_co_u32_e32 v11, vcc, 0, v3, vcc
	global_load_dwordx2 v[12:13], v[8:9], off
	global_load_dwordx2 v[14:15], v[8:9], off offset:2048
	global_load_dwordx2 v[16:17], v[10:11], off
	global_load_dwordx2 v[18:19], v[10:11], off offset:2048
	v_add_co_u32_e32 v8, vcc, 0x3000, v2
	s_nop 1
	v_addc_co_u32_e32 v9, vcc, 0, v3, vcc
	v_add_co_u32_e32 v10, vcc, 0x4000, v2
	s_nop 1
	v_addc_co_u32_e32 v11, vcc, 0, v3, vcc
	global_load_dwordx2 v[20:21], v[8:9], off
	global_load_dwordx2 v[22:23], v[8:9], off offset:2048
	global_load_dwordx2 v[24:25], v[10:11], off
	global_load_dwordx2 v[26:27], v[10:11], off offset:2048
	v_add_co_u32_e32 v8, vcc, 0x5000, v2
	s_nop 1
	v_addc_co_u32_e32 v9, vcc, 0, v3, vcc
	v_add_co_u32_e32 v10, vcc, 0x6000, v2
	s_nop 1
	v_addc_co_u32_e32 v11, vcc, 0, v3, vcc
	global_load_dwordx2 v[28:29], v[8:9], off
	global_load_dwordx2 v[30:31], v[8:9], off offset:2048
	global_load_dwordx2 v[32:33], v[10:11], off
	global_load_dwordx2 v[34:35], v[10:11], off offset:2048
	v_add_co_u32_e32 v2, vcc, 0x7000, v2
	s_nop 1
	v_addc_co_u32_e32 v3, vcc, 0, v3, vcc
	global_load_dwordx2 v[2:3], v[2:3], off
	s_waitcnt vmcnt(13)
	ds_write2st64_b64 v62, v[4:5], v[6:7] offset1:4
	s_waitcnt vmcnt(11)
	ds_write2st64_b64 v62, v[12:13], v[14:15] offset0:8 offset1:12
	s_waitcnt vmcnt(9)
	ds_write2st64_b64 v62, v[16:17], v[18:19] offset0:16 offset1:20
	;; [unrolled: 2-line block ×6, first 2 shown]
	s_waitcnt vmcnt(0)
	ds_write_b64 v62, v[2:3] offset:28672
	s_waitcnt lgkmcnt(0)
	s_barrier
.LBB159_2:
	s_andn2_b64 vcc, exec, s[4:5]
	v_cmp_gt_u32_e64 s[4:5], s26, v0
	s_cbranch_vccnz .LBB159_34
; %bb.3:
	s_load_dwordx2 s[36:37], s[6:7], 0x0
	v_mov_b32_e32 v63, 0
	v_lshl_add_u64 v[34:35], s[6:7], 0, v[62:63]
	s_waitcnt lgkmcnt(0)
	s_mov_b32 s38, s36
	s_mov_b32 s39, s37
	;; [unrolled: 1-line block ×28, first 2 shown]
	v_mov_b64_e32 v[2:3], s[36:37]
	v_mov_b64_e32 v[4:5], s[38:39]
	;; [unrolled: 1-line block ×16, first 2 shown]
	s_and_saveexec_b64 s[6:7], s[4:5]
	s_cbranch_execz .LBB159_5
; %bb.4:
	global_load_dwordx2 v[2:3], v[34:35], off
	v_mov_b32_e32 v4, s36
	v_mov_b32_e32 v5, s37
	;; [unrolled: 1-line block ×28, first 2 shown]
.LBB159_5:
	s_or_b64 exec, exec, s[6:7]
	v_or_b32_e32 v1, 0x100, v0
	v_cmp_gt_u32_e32 vcc, s26, v1
	s_and_saveexec_b64 s[4:5], vcc
	s_cbranch_execz .LBB159_7
; %bb.6:
	global_load_dwordx2 v[4:5], v[34:35], off offset:2048
.LBB159_7:
	s_or_b64 exec, exec, s[4:5]
	v_or_b32_e32 v1, 0x200, v0
	v_cmp_gt_u32_e32 vcc, s26, v1
	s_and_saveexec_b64 s[4:5], vcc
	s_cbranch_execz .LBB159_9
; %bb.8:
	v_add_co_u32_e32 v6, vcc, 0x1000, v34
	s_nop 1
	v_addc_co_u32_e32 v7, vcc, 0, v35, vcc
	global_load_dwordx2 v[6:7], v[6:7], off
.LBB159_9:
	s_or_b64 exec, exec, s[4:5]
	v_or_b32_e32 v1, 0x300, v0
	v_cmp_gt_u32_e32 vcc, s26, v1
	s_and_saveexec_b64 s[4:5], vcc
	s_cbranch_execz .LBB159_11
; %bb.10:
	v_add_co_u32_e32 v8, vcc, 0x1000, v34
	s_nop 1
	v_addc_co_u32_e32 v9, vcc, 0, v35, vcc
	global_load_dwordx2 v[8:9], v[8:9], off offset:2048
.LBB159_11:
	s_or_b64 exec, exec, s[4:5]
	v_or_b32_e32 v1, 0x400, v0
	v_cmp_gt_u32_e32 vcc, s26, v1
	s_and_saveexec_b64 s[4:5], vcc
	s_cbranch_execz .LBB159_13
; %bb.12:
	v_add_co_u32_e32 v10, vcc, 0x2000, v34
	s_nop 1
	v_addc_co_u32_e32 v11, vcc, 0, v35, vcc
	global_load_dwordx2 v[10:11], v[10:11], off
.LBB159_13:
	s_or_b64 exec, exec, s[4:5]
	v_or_b32_e32 v1, 0x500, v0
	v_cmp_gt_u32_e32 vcc, s26, v1
	s_and_saveexec_b64 s[4:5], vcc
	s_cbranch_execz .LBB159_15
; %bb.14:
	v_add_co_u32_e32 v12, vcc, 0x2000, v34
	s_nop 1
	v_addc_co_u32_e32 v13, vcc, 0, v35, vcc
	global_load_dwordx2 v[12:13], v[12:13], off offset:2048
.LBB159_15:
	;; [unrolled: 22-line block ×6, first 2 shown]
	s_or_b64 exec, exec, s[4:5]
	v_or_b32_e32 v1, 0xe00, v0
	v_cmp_gt_u32_e32 vcc, s26, v1
	s_and_saveexec_b64 s[4:5], vcc
	s_cbranch_execz .LBB159_33
; %bb.32:
	v_add_co_u32_e32 v30, vcc, 0x7000, v34
	s_nop 1
	v_addc_co_u32_e32 v31, vcc, 0, v35, vcc
	global_load_dwordx2 v[30:31], v[30:31], off
.LBB159_33:
	s_or_b64 exec, exec, s[4:5]
	s_waitcnt vmcnt(0)
	ds_write2st64_b64 v62, v[2:3], v[4:5] offset1:4
	ds_write2st64_b64 v62, v[6:7], v[8:9] offset0:8 offset1:12
	ds_write2st64_b64 v62, v[10:11], v[12:13] offset0:16 offset1:20
	;; [unrolled: 1-line block ×6, first 2 shown]
	ds_write_b64 v62, v[30:31] offset:28672
	s_waitcnt lgkmcnt(0)
	s_barrier
.LBB159_34:
	s_load_dwordx2 s[20:21], s[0:1], 0x30
	v_mul_u32_u24_e32 v66, 15, v0
	v_lshlrev_b32_e32 v1, 3, v66
	s_waitcnt lgkmcnt(0)
	ds_read2_b64 v[58:61], v1 offset1:1
	ds_read2_b64 v[54:57], v1 offset0:2 offset1:3
	ds_read2_b64 v[50:53], v1 offset0:4 offset1:5
	;; [unrolled: 1-line block ×6, first 2 shown]
	ds_read_b64 v[64:65], v1 offset:112
	s_cmp_lg_u32 s2, 0
	s_waitcnt lgkmcnt(7)
	v_cmp_lt_u64_e64 s[4:5], v[58:59], v[60:61]
	v_lshrrev_b32_e32 v63, 5, v0
	v_cmp_gt_u32_e32 vcc, 64, v0
	s_waitcnt lgkmcnt(0)
	s_barrier
	s_cbranch_scc0 .LBB159_59
; %bb.35:
	v_cndmask_b32_e64 v3, v61, v59, s[4:5]
	v_cndmask_b32_e64 v2, v60, v58, s[4:5]
	v_cmp_lt_u64_e64 s[4:5], v[2:3], v[54:55]
	s_nop 1
	v_cndmask_b32_e64 v3, v55, v3, s[4:5]
	v_cndmask_b32_e64 v2, v54, v2, s[4:5]
	v_cmp_lt_u64_e64 s[4:5], v[2:3], v[56:57]
	s_nop 1
	;; [unrolled: 4-line block ×13, first 2 shown]
	v_cndmask_b32_e64 v11, v65, v3, s[4:5]
	v_cndmask_b32_e64 v10, v64, v2, s[4:5]
	v_add_lshl_u32 v2, v63, v0, 3
	ds_write_b64 v2, v[10:11]
	s_waitcnt lgkmcnt(0)
	s_barrier
	s_and_saveexec_b64 s[6:7], vcc
	s_cbranch_execz .LBB159_37
; %bb.36:
	v_lshlrev_b32_e32 v2, 2, v0
	v_lshrrev_b32_e32 v3, 3, v0
	v_add_lshl_u32 v16, v3, v2, 3
	ds_read2_b64 v[2:5], v16 offset1:1
	ds_read2_b64 v[6:9], v16 offset0:2 offset1:3
	v_mbcnt_lo_u32_b32 v14, -1, 0
	v_mbcnt_hi_u32_b32 v17, -1, v14
	v_and_b32_e32 v18, 15, v17
	s_waitcnt lgkmcnt(1)
	v_cmp_lt_u64_e64 s[4:5], v[2:3], v[4:5]
	s_nop 1
	v_cndmask_b32_e64 v13, v5, v3, s[4:5]
	v_cndmask_b32_e64 v12, v4, v2, s[4:5]
	s_waitcnt lgkmcnt(0)
	v_cmp_lt_u64_e64 s[4:5], v[12:13], v[6:7]
	s_nop 1
	v_cndmask_b32_e64 v13, v7, v13, s[4:5]
	v_cndmask_b32_e64 v12, v6, v12, s[4:5]
	v_cmp_lt_u64_e64 s[4:5], v[12:13], v[8:9]
	s_nop 1
	v_cndmask_b32_e64 v13, v9, v13, s[4:5]
	v_cndmask_b32_e64 v12, v8, v12, s[4:5]
	s_nop 0
	v_mov_b32_dpp v15, v13 row_shr:1 row_mask:0xf bank_mask:0xf
	v_mov_b32_dpp v14, v12 row_shr:1 row_mask:0xf bank_mask:0xf
	v_cmp_lt_u64_e64 s[4:5], v[14:15], v[12:13]
	s_nop 1
	v_cndmask_b32_e64 v14, v12, v14, s[4:5]
	v_cndmask_b32_e64 v15, v13, v15, s[4:5]
	v_cmp_eq_u32_e64 s[4:5], 0, v18
	s_nop 1
	v_cndmask_b32_e64 v13, v15, v13, s[4:5]
	v_cndmask_b32_e64 v12, v14, v12, s[4:5]
	s_nop 0
	v_mov_b32_dpp v15, v13 row_shr:2 row_mask:0xf bank_mask:0xf
	v_mov_b32_dpp v14, v12 row_shr:2 row_mask:0xf bank_mask:0xf
	v_cmp_lt_u64_e64 s[4:5], v[14:15], v[12:13]
	s_nop 1
	v_cndmask_b32_e64 v14, v12, v14, s[4:5]
	v_cndmask_b32_e64 v15, v13, v15, s[4:5]
	v_cmp_lt_u32_e64 s[4:5], 1, v18
	s_nop 1
	v_cndmask_b32_e64 v13, v13, v15, s[4:5]
	v_cndmask_b32_e64 v12, v12, v14, s[4:5]
	s_nop 0
	v_mov_b32_dpp v15, v13 row_shr:4 row_mask:0xf bank_mask:0xf
	v_mov_b32_dpp v14, v12 row_shr:4 row_mask:0xf bank_mask:0xf
	v_cmp_lt_u64_e64 s[4:5], v[14:15], v[12:13]
	s_nop 1
	v_cndmask_b32_e64 v14, v12, v14, s[4:5]
	v_cndmask_b32_e64 v15, v13, v15, s[4:5]
	v_cmp_lt_u32_e64 s[4:5], 3, v18
	;; [unrolled: 11-line block ×3, first 2 shown]
	v_and_b32_e32 v18, 16, v17
	s_nop 0
	v_cndmask_b32_e64 v13, v13, v15, s[4:5]
	v_cndmask_b32_e64 v12, v12, v14, s[4:5]
	s_nop 0
	v_mov_b32_dpp v15, v13 row_bcast:15 row_mask:0xf bank_mask:0xf
	v_mov_b32_dpp v14, v12 row_bcast:15 row_mask:0xf bank_mask:0xf
	v_cmp_lt_u64_e64 s[4:5], v[14:15], v[12:13]
	s_nop 1
	v_cndmask_b32_e64 v14, v12, v14, s[4:5]
	v_cndmask_b32_e64 v15, v13, v15, s[4:5]
	v_cmp_eq_u32_e64 s[4:5], 0, v18
	s_nop 1
	v_cndmask_b32_e64 v13, v15, v13, s[4:5]
	v_cndmask_b32_e64 v12, v14, v12, s[4:5]
	s_nop 0
	v_mov_b32_dpp v15, v13 row_bcast:31 row_mask:0xf bank_mask:0xf
	v_mov_b32_dpp v14, v12 row_bcast:31 row_mask:0xf bank_mask:0xf
	v_cmp_lt_u64_e64 s[4:5], v[14:15], v[12:13]
	s_nop 1
	v_cndmask_b32_e64 v15, v13, v15, s[4:5]
	v_cndmask_b32_e64 v14, v12, v14, s[4:5]
	v_cmp_lt_u32_e64 s[4:5], 31, v17
	s_nop 1
	v_cndmask_b32_e64 v12, v12, v14, s[4:5]
	v_cndmask_b32_e64 v13, v13, v15, s[4:5]
	v_add_u32_e32 v14, -1, v17
	v_and_b32_e32 v15, 64, v17
	v_cmp_lt_i32_e64 s[4:5], v14, v15
	s_nop 1
	v_cndmask_b32_e64 v14, v14, v17, s[4:5]
	v_lshlrev_b32_e32 v14, 2, v14
	ds_bpermute_b32 v12, v14, v12
	ds_bpermute_b32 v13, v14, v13
	s_waitcnt lgkmcnt(0)
	v_cmp_lt_u64_e64 s[4:5], v[12:13], v[2:3]
	s_nop 1
	v_cndmask_b32_e64 v2, v2, v12, s[4:5]
	v_cndmask_b32_e64 v3, v3, v13, s[4:5]
	v_cmp_eq_u32_e64 s[4:5], 0, v0
	s_nop 1
	v_cndmask_b32_e64 v3, v3, v11, s[4:5]
	v_cndmask_b32_e64 v2, v2, v10, s[4:5]
	v_cmp_lt_u64_e64 s[4:5], v[2:3], v[4:5]
	s_nop 1
	v_cndmask_b32_e64 v5, v5, v3, s[4:5]
	v_cndmask_b32_e64 v4, v4, v2, s[4:5]
	v_cmp_lt_u64_e64 s[4:5], v[4:5], v[6:7]
	ds_write2_b64 v16, v[2:3], v[4:5] offset1:1
	s_nop 0
	v_cndmask_b32_e64 v3, v7, v5, s[4:5]
	v_cndmask_b32_e64 v2, v6, v4, s[4:5]
	v_cmp_lt_u64_e64 s[4:5], v[2:3], v[8:9]
	s_nop 1
	v_cndmask_b32_e64 v5, v9, v3, s[4:5]
	v_cndmask_b32_e64 v4, v8, v2, s[4:5]
	ds_write2_b64 v16, v[2:3], v[4:5] offset0:2 offset1:3
.LBB159_37:
	s_or_b64 exec, exec, s[6:7]
	v_cmp_eq_u32_e64 s[6:7], 0, v0
	v_cmp_ne_u32_e64 s[4:5], 0, v0
	s_waitcnt lgkmcnt(0)
	s_barrier
	s_and_saveexec_b64 s[8:9], s[4:5]
	s_cbranch_execz .LBB159_39
; %bb.38:
	v_add_u32_e32 v2, -1, v0
	v_lshrrev_b32_e32 v3, 5, v2
	v_add_lshl_u32 v2, v3, v2, 3
	ds_read_b64 v[10:11], v2
.LBB159_39:
	s_or_b64 exec, exec, s[8:9]
	s_and_saveexec_b64 s[22:23], vcc
	s_cbranch_execz .LBB159_58
; %bb.40:
	v_mov_b32_e32 v5, 0
	ds_read_b64 v[2:3], v5 offset:2096
	v_mbcnt_lo_u32_b32 v4, -1, 0
	v_mbcnt_hi_u32_b32 v13, -1, v4
	s_mov_b32 s25, 0
	v_cmp_eq_u32_e64 s[4:5], 0, v13
	s_and_saveexec_b64 s[8:9], s[4:5]
	s_cbranch_execz .LBB159_42
; %bb.41:
	s_add_i32 s24, s2, 64
	s_lshl_b64 s[24:25], s[24:25], 4
	s_add_u32 s24, s20, s24
	s_addc_u32 s25, s21, s25
	v_mov_b32_e32 v4, 1
	v_mov_b64_e32 v[6:7], s[24:25]
	s_waitcnt lgkmcnt(0)
	;;#ASMSTART
	global_store_dwordx4 v[6:7], v[2:5] off sc1	
s_waitcnt vmcnt(0)
	;;#ASMEND
.LBB159_42:
	s_or_b64 exec, exec, s[8:9]
	v_xad_u32 v12, v13, -1, s2
	v_add_u32_e32 v4, 64, v12
	v_lshl_add_u64 v[14:15], v[4:5], 4, s[20:21]
	;;#ASMSTART
	global_load_dwordx4 v[6:9], v[14:15] off sc1	
s_waitcnt vmcnt(0)
	;;#ASMEND
	s_nop 0
	v_cmp_eq_u16_sdwa s[24:25], v8, v5 src0_sel:BYTE_0 src1_sel:DWORD
	s_and_saveexec_b64 s[8:9], s[24:25]
	s_cbranch_execz .LBB159_46
; %bb.43:
	s_mov_b64 s[24:25], 0
	v_mov_b32_e32 v4, 0
.LBB159_44:                             ; =>This Inner Loop Header: Depth=1
	;;#ASMSTART
	global_load_dwordx4 v[6:9], v[14:15] off sc1	
s_waitcnt vmcnt(0)
	;;#ASMEND
	s_nop 0
	v_cmp_ne_u16_sdwa s[28:29], v8, v4 src0_sel:BYTE_0 src1_sel:DWORD
	s_or_b64 s[24:25], s[28:29], s[24:25]
	s_andn2_b64 exec, exec, s[24:25]
	s_cbranch_execnz .LBB159_44
; %bb.45:
	s_or_b64 exec, exec, s[24:25]
.LBB159_46:
	s_or_b64 exec, exec, s[8:9]
	v_and_b32_e32 v17, 63, v13
	v_cmp_ne_u32_e32 vcc, 63, v17
	v_mov_b32_e32 v18, 2
	v_cmp_eq_u16_sdwa s[8:9], v8, v18 src0_sel:BYTE_0 src1_sel:DWORD
	v_addc_co_u32_e32 v14, vcc, 0, v13, vcc
	v_lshlrev_b32_e32 v19, 2, v14
	v_lshlrev_b64 v[4:5], v13, -1
	ds_bpermute_b32 v14, v19, v6
	ds_bpermute_b32 v15, v19, v7
	v_and_b32_e32 v9, s9, v5
	v_or_b32_e32 v9, 0x80000000, v9
	v_and_b32_e32 v16, s8, v4
	v_ffbl_b32_e32 v9, v9
	v_add_u32_e32 v9, 32, v9
	v_ffbl_b32_e32 v16, v16
	v_min_u32_e32 v9, v16, v9
	v_add_u32_e32 v20, 1, v13
	s_waitcnt lgkmcnt(0)
	v_cmp_lt_u64_e32 vcc, v[14:15], v[6:7]
	v_add_u32_e32 v22, 2, v13
	v_add_u32_e32 v24, 4, v13
	v_cndmask_b32_e32 v15, v7, v15, vcc
	v_cndmask_b32_e32 v14, v6, v14, vcc
	v_cmp_gt_u32_e32 vcc, v20, v9
	v_add_u32_e32 v26, 8, v13
	v_add_u32_e32 v28, 16, v13
	v_cndmask_b32_e32 v6, v14, v6, vcc
	v_cndmask_b32_e32 v7, v15, v7, vcc
	v_cmp_gt_u32_e32 vcc, 62, v17
	v_cmp_gt_u32_e64 s[8:9], 32, v17
	v_add_u32_e32 v30, 32, v13
	v_cndmask_b32_e64 v14, 0, 1, vcc
	v_lshlrev_b32_e32 v14, 1, v14
	v_add_lshl_u32 v21, v14, v13, 2
	ds_bpermute_b32 v14, v21, v6
	ds_bpermute_b32 v15, v21, v7
	s_waitcnt lgkmcnt(0)
	v_cmp_lt_u64_e32 vcc, v[14:15], v[6:7]
	s_nop 1
	v_cndmask_b32_e32 v15, v7, v15, vcc
	v_cndmask_b32_e32 v14, v6, v14, vcc
	v_cmp_gt_u32_e32 vcc, v22, v9
	s_nop 1
	v_cndmask_b32_e32 v6, v14, v6, vcc
	v_cndmask_b32_e32 v7, v15, v7, vcc
	v_cmp_gt_u32_e32 vcc, 60, v17
	s_nop 1
	v_cndmask_b32_e64 v14, 0, 1, vcc
	v_lshlrev_b32_e32 v14, 2, v14
	v_add_lshl_u32 v23, v14, v13, 2
	ds_bpermute_b32 v14, v23, v6
	ds_bpermute_b32 v15, v23, v7
	s_waitcnt lgkmcnt(0)
	v_cmp_lt_u64_e32 vcc, v[14:15], v[6:7]
	s_nop 1
	v_cndmask_b32_e32 v15, v7, v15, vcc
	v_cndmask_b32_e32 v14, v6, v14, vcc
	v_cmp_gt_u32_e32 vcc, v24, v9
	s_nop 1
	v_cndmask_b32_e32 v6, v14, v6, vcc
	v_cndmask_b32_e32 v7, v15, v7, vcc
	v_cmp_gt_u32_e32 vcc, 56, v17
	s_nop 1
	;; [unrolled: 16-line block ×3, first 2 shown]
	v_cndmask_b32_e64 v14, 0, 1, vcc
	v_lshlrev_b32_e32 v14, 4, v14
	v_add_lshl_u32 v27, v14, v13, 2
	ds_bpermute_b32 v14, v27, v6
	ds_bpermute_b32 v15, v27, v7
	s_waitcnt lgkmcnt(0)
	v_cmp_lt_u64_e32 vcc, v[14:15], v[6:7]
	s_nop 1
	v_cndmask_b32_e32 v15, v7, v15, vcc
	v_cndmask_b32_e32 v14, v6, v14, vcc
	v_cmp_gt_u32_e32 vcc, v28, v9
	s_nop 1
	v_cndmask_b32_e32 v6, v14, v6, vcc
	v_cndmask_b32_e64 v14, 0, 1, s[8:9]
	v_lshlrev_b32_e32 v14, 5, v14
	v_add_lshl_u32 v29, v14, v13, 2
	v_cndmask_b32_e32 v7, v15, v7, vcc
	ds_bpermute_b32 v14, v29, v6
	ds_bpermute_b32 v15, v29, v7
	s_waitcnt lgkmcnt(0)
	v_cmp_lt_u64_e32 vcc, v[14:15], v[6:7]
	s_nop 1
	v_cndmask_b32_e32 v13, v6, v14, vcc
	v_cndmask_b32_e32 v14, v7, v15, vcc
	v_cmp_gt_u32_e32 vcc, v30, v9
	s_nop 1
	v_cndmask_b32_e32 v7, v14, v7, vcc
	v_cndmask_b32_e32 v6, v13, v6, vcc
	v_mov_b32_e32 v13, 0
	s_branch .LBB159_48
.LBB159_47:                             ;   in Loop: Header=BB159_48 Depth=1
	s_or_b64 exec, exec, s[8:9]
	v_cmp_eq_u16_sdwa s[8:9], v8, v18 src0_sel:BYTE_0 src1_sel:DWORD
	ds_bpermute_b32 v16, v19, v6
	ds_bpermute_b32 v17, v19, v7
	v_and_b32_e32 v9, s9, v5
	v_or_b32_e32 v9, 0x80000000, v9
	v_and_b32_e32 v31, s8, v4
	v_ffbl_b32_e32 v9, v9
	v_add_u32_e32 v9, 32, v9
	v_ffbl_b32_e32 v31, v31
	v_min_u32_e32 v9, v31, v9
	s_waitcnt lgkmcnt(0)
	v_cmp_lt_u64_e32 vcc, v[16:17], v[6:7]
	v_subrev_u32_e32 v12, 64, v12
	s_nop 0
	v_cndmask_b32_e32 v17, v7, v17, vcc
	v_cndmask_b32_e32 v16, v6, v16, vcc
	v_cmp_gt_u32_e32 vcc, v20, v9
	s_nop 1
	v_cndmask_b32_e32 v6, v16, v6, vcc
	v_cndmask_b32_e32 v7, v17, v7, vcc
	ds_bpermute_b32 v16, v21, v6
	ds_bpermute_b32 v17, v21, v7
	s_waitcnt lgkmcnt(0)
	v_cmp_lt_u64_e32 vcc, v[16:17], v[6:7]
	s_nop 1
	v_cndmask_b32_e32 v17, v7, v17, vcc
	v_cndmask_b32_e32 v16, v6, v16, vcc
	v_cmp_gt_u32_e32 vcc, v22, v9
	s_nop 1
	v_cndmask_b32_e32 v6, v16, v6, vcc
	v_cndmask_b32_e32 v7, v17, v7, vcc
	ds_bpermute_b32 v16, v23, v6
	ds_bpermute_b32 v17, v23, v7
	s_waitcnt lgkmcnt(0)
	v_cmp_lt_u64_e32 vcc, v[16:17], v[6:7]
	;; [unrolled: 11-line block ×5, first 2 shown]
	s_nop 1
	v_cndmask_b32_e32 v16, v6, v16, vcc
	v_cndmask_b32_e32 v17, v7, v17, vcc
	v_cmp_gt_u32_e32 vcc, v30, v9
	s_nop 1
	v_cndmask_b32_e32 v7, v17, v7, vcc
	v_cndmask_b32_e32 v6, v16, v6, vcc
	v_cmp_lt_u64_e32 vcc, v[6:7], v[14:15]
	s_nop 1
	v_cndmask_b32_e32 v7, v15, v7, vcc
	v_cndmask_b32_e32 v6, v14, v6, vcc
.LBB159_48:                             ; =>This Loop Header: Depth=1
                                        ;     Child Loop BB159_51 Depth 2
	v_cmp_ne_u16_sdwa s[8:9], v8, v18 src0_sel:BYTE_0 src1_sel:DWORD
	v_mov_b64_e32 v[14:15], v[6:7]
	s_nop 0
	v_cndmask_b32_e64 v8, 0, 1, s[8:9]
	;;#ASMSTART
	;;#ASMEND
	s_nop 0
	v_cmp_ne_u32_e32 vcc, 0, v8
	s_cmp_lg_u64 vcc, exec
	s_cbranch_scc1 .LBB159_53
; %bb.49:                               ;   in Loop: Header=BB159_48 Depth=1
	v_lshl_add_u64 v[16:17], v[12:13], 4, s[20:21]
	;;#ASMSTART
	global_load_dwordx4 v[6:9], v[16:17] off sc1	
s_waitcnt vmcnt(0)
	;;#ASMEND
	s_nop 0
	v_cmp_eq_u16_sdwa s[24:25], v8, v13 src0_sel:BYTE_0 src1_sel:DWORD
	s_and_saveexec_b64 s[8:9], s[24:25]
	s_cbranch_execz .LBB159_47
; %bb.50:                               ;   in Loop: Header=BB159_48 Depth=1
	s_mov_b64 s[24:25], 0
.LBB159_51:                             ;   Parent Loop BB159_48 Depth=1
                                        ; =>  This Inner Loop Header: Depth=2
	;;#ASMSTART
	global_load_dwordx4 v[6:9], v[16:17] off sc1	
s_waitcnt vmcnt(0)
	;;#ASMEND
	s_nop 0
	v_cmp_ne_u16_sdwa s[28:29], v8, v13 src0_sel:BYTE_0 src1_sel:DWORD
	s_or_b64 s[24:25], s[28:29], s[24:25]
	s_andn2_b64 exec, exec, s[24:25]
	s_cbranch_execnz .LBB159_51
; %bb.52:                               ;   in Loop: Header=BB159_48 Depth=1
	s_or_b64 exec, exec, s[24:25]
	s_branch .LBB159_47
.LBB159_53:                             ;   in Loop: Header=BB159_48 Depth=1
                                        ; implicit-def: $vgpr6_vgpr7
                                        ; implicit-def: $vgpr8
	s_cbranch_execz .LBB159_48
; %bb.54:
	s_and_saveexec_b64 s[8:9], s[4:5]
	s_cbranch_execz .LBB159_56
; %bb.55:
	s_add_i32 s2, s2, 64
	s_mov_b32 s3, 0
	s_lshl_b64 s[2:3], s[2:3], 4
	s_add_u32 s2, s20, s2
	v_cmp_lt_u64_e32 vcc, v[14:15], v[2:3]
	s_addc_u32 s3, s21, s3
	v_mov_b32_e32 v4, 2
	v_cndmask_b32_e32 v3, v3, v15, vcc
	v_cndmask_b32_e32 v2, v2, v14, vcc
	v_mov_b32_e32 v5, 0
	v_mov_b64_e32 v[6:7], s[2:3]
	;;#ASMSTART
	global_store_dwordx4 v[6:7], v[2:5] off sc1	
s_waitcnt vmcnt(0)
	;;#ASMEND
.LBB159_56:
	s_or_b64 exec, exec, s[8:9]
	s_and_b64 exec, exec, s[6:7]
	s_cbranch_execz .LBB159_58
; %bb.57:
	v_mov_b32_e32 v2, 0
	ds_write_b64 v2, v[14:15]
.LBB159_58:
	s_or_b64 exec, exec, s[22:23]
	v_mov_b32_e32 v2, 0
	s_waitcnt lgkmcnt(0)
	s_barrier
	ds_read_b64 v[2:3], v2
	s_waitcnt lgkmcnt(0)
	v_cmp_lt_u64_e32 vcc, v[2:3], v[10:11]
	s_or_b64 vcc, s[6:7], vcc
	s_nop 0
	v_cndmask_b32_e32 v3, v11, v3, vcc
	v_cndmask_b32_e32 v2, v10, v2, vcc
	v_cmp_lt_u64_e32 vcc, v[2:3], v[58:59]
	s_nop 1
	v_cndmask_b32_e32 v5, v59, v3, vcc
	v_cndmask_b32_e32 v4, v58, v2, vcc
	v_cmp_lt_u64_e32 vcc, v[4:5], v[60:61]
	;; [unrolled: 4-line block ×14, first 2 shown]
	s_nop 1
	v_cndmask_b32_e32 v31, v37, v29, vcc
	v_cndmask_b32_e32 v30, v36, v28, vcc
	s_load_dwordx4 s[4:7], s[0:1], 0x40
	s_branch .LBB159_69
.LBB159_59:
                                        ; implicit-def: $vgpr2_vgpr3_vgpr4_vgpr5_vgpr6_vgpr7_vgpr8_vgpr9_vgpr10_vgpr11_vgpr12_vgpr13_vgpr14_vgpr15_vgpr16_vgpr17_vgpr18_vgpr19_vgpr20_vgpr21_vgpr22_vgpr23_vgpr24_vgpr25_vgpr26_vgpr27_vgpr28_vgpr29_vgpr30_vgpr31_vgpr32_vgpr33
	s_load_dwordx4 s[4:7], s[0:1], 0x40
	s_cbranch_execz .LBB159_69
; %bb.60:
	s_load_dword s2, s[0:1], 0x50
	v_mov_b64_e32 v[32:33], s[18:19]
	s_waitcnt lgkmcnt(0)
	s_bitcmp0_b32 s2, 0
	s_cbranch_scc1 .LBB159_62
; %bb.61:
	v_mov_b32_e32 v2, 0
	global_load_dwordx2 v[2:3], v2, s[16:17] offset:-8
	s_load_dwordx2 s[2:3], s[4:5], 0x0
	s_waitcnt lgkmcnt(0)
	v_mov_b32_e32 v4, s3
	s_waitcnt vmcnt(0)
	v_cmp_lt_u64_e32 vcc, s[2:3], v[2:3]
	s_nop 1
	v_cndmask_b32_e32 v33, v3, v4, vcc
	v_mov_b32_e32 v3, s2
	v_cndmask_b32_e32 v32, v2, v3, vcc
.LBB159_62:
	v_cmp_lt_u64_e32 vcc, v[58:59], v[60:61]
	v_add_lshl_u32 v4, v63, v0, 3
	s_nop 0
	v_cndmask_b32_e32 v3, v61, v59, vcc
	v_cndmask_b32_e32 v2, v60, v58, vcc
	v_cmp_lt_u64_e32 vcc, v[2:3], v[54:55]
	s_nop 1
	v_cndmask_b32_e32 v3, v55, v3, vcc
	v_cndmask_b32_e32 v2, v54, v2, vcc
	v_cmp_lt_u64_e32 vcc, v[2:3], v[56:57]
	;; [unrolled: 4-line block ×13, first 2 shown]
	s_nop 1
	v_cndmask_b32_e32 v3, v65, v3, vcc
	v_cndmask_b32_e32 v2, v64, v2, vcc
	v_cmp_gt_u32_e32 vcc, 64, v0
	ds_write_b64 v4, v[2:3]
	s_waitcnt lgkmcnt(0)
	s_barrier
	s_and_saveexec_b64 s[2:3], vcc
	s_cbranch_execz .LBB159_64
; %bb.63:
	v_lshlrev_b32_e32 v4, 2, v0
	v_lshrrev_b32_e32 v5, 3, v0
	v_add_lshl_u32 v16, v5, v4, 3
	ds_read2_b64 v[4:7], v16 offset1:1
	ds_read2_b64 v[8:11], v16 offset0:2 offset1:3
	v_mbcnt_lo_u32_b32 v14, -1, 0
	v_mbcnt_hi_u32_b32 v17, -1, v14
	v_and_b32_e32 v18, 15, v17
	s_waitcnt lgkmcnt(1)
	v_cmp_lt_u64_e32 vcc, v[4:5], v[6:7]
	s_nop 1
	v_cndmask_b32_e32 v13, v7, v5, vcc
	v_cndmask_b32_e32 v12, v6, v4, vcc
	s_waitcnt lgkmcnt(0)
	v_cmp_lt_u64_e32 vcc, v[12:13], v[8:9]
	s_nop 1
	v_cndmask_b32_e32 v13, v9, v13, vcc
	v_cndmask_b32_e32 v12, v8, v12, vcc
	v_cmp_lt_u64_e32 vcc, v[12:13], v[10:11]
	s_nop 1
	v_cndmask_b32_e32 v13, v11, v13, vcc
	v_cndmask_b32_e32 v12, v10, v12, vcc
	s_nop 0
	v_mov_b32_dpp v15, v13 row_shr:1 row_mask:0xf bank_mask:0xf
	v_mov_b32_dpp v14, v12 row_shr:1 row_mask:0xf bank_mask:0xf
	v_cmp_lt_u64_e32 vcc, v[14:15], v[12:13]
	s_nop 1
	v_cndmask_b32_e32 v14, v12, v14, vcc
	v_cndmask_b32_e32 v15, v13, v15, vcc
	v_cmp_eq_u32_e32 vcc, 0, v18
	s_nop 1
	v_cndmask_b32_e32 v13, v15, v13, vcc
	v_cndmask_b32_e32 v12, v14, v12, vcc
	s_nop 0
	v_mov_b32_dpp v15, v13 row_shr:2 row_mask:0xf bank_mask:0xf
	v_mov_b32_dpp v14, v12 row_shr:2 row_mask:0xf bank_mask:0xf
	v_cmp_lt_u64_e32 vcc, v[14:15], v[12:13]
	s_nop 1
	v_cndmask_b32_e32 v14, v12, v14, vcc
	v_cndmask_b32_e32 v15, v13, v15, vcc
	v_cmp_lt_u32_e32 vcc, 1, v18
	s_nop 1
	v_cndmask_b32_e32 v13, v13, v15, vcc
	v_cndmask_b32_e32 v12, v12, v14, vcc
	s_nop 0
	v_mov_b32_dpp v15, v13 row_shr:4 row_mask:0xf bank_mask:0xf
	v_mov_b32_dpp v14, v12 row_shr:4 row_mask:0xf bank_mask:0xf
	v_cmp_lt_u64_e32 vcc, v[14:15], v[12:13]
	s_nop 1
	v_cndmask_b32_e32 v14, v12, v14, vcc
	v_cndmask_b32_e32 v15, v13, v15, vcc
	v_cmp_lt_u32_e32 vcc, 3, v18
	;; [unrolled: 11-line block ×3, first 2 shown]
	v_and_b32_e32 v18, 16, v17
	s_nop 0
	v_cndmask_b32_e32 v13, v13, v15, vcc
	v_cndmask_b32_e32 v12, v12, v14, vcc
	s_nop 0
	v_mov_b32_dpp v15, v13 row_bcast:15 row_mask:0xf bank_mask:0xf
	v_mov_b32_dpp v14, v12 row_bcast:15 row_mask:0xf bank_mask:0xf
	v_cmp_lt_u64_e32 vcc, v[14:15], v[12:13]
	s_nop 1
	v_cndmask_b32_e32 v14, v12, v14, vcc
	v_cndmask_b32_e32 v15, v13, v15, vcc
	v_cmp_eq_u32_e32 vcc, 0, v18
	s_nop 1
	v_cndmask_b32_e32 v13, v15, v13, vcc
	v_cndmask_b32_e32 v12, v14, v12, vcc
	s_nop 0
	v_mov_b32_dpp v15, v13 row_bcast:31 row_mask:0xf bank_mask:0xf
	v_mov_b32_dpp v14, v12 row_bcast:31 row_mask:0xf bank_mask:0xf
	v_cmp_lt_u64_e32 vcc, v[14:15], v[12:13]
	s_nop 1
	v_cndmask_b32_e32 v15, v13, v15, vcc
	v_cndmask_b32_e32 v14, v12, v14, vcc
	v_cmp_lt_u32_e32 vcc, 31, v17
	s_nop 1
	v_cndmask_b32_e32 v12, v12, v14, vcc
	v_cndmask_b32_e32 v13, v13, v15, vcc
	v_add_u32_e32 v14, -1, v17
	v_and_b32_e32 v15, 64, v17
	v_cmp_lt_i32_e32 vcc, v14, v15
	s_nop 1
	v_cndmask_b32_e32 v14, v14, v17, vcc
	v_lshlrev_b32_e32 v14, 2, v14
	ds_bpermute_b32 v12, v14, v12
	ds_bpermute_b32 v13, v14, v13
	s_waitcnt lgkmcnt(0)
	v_cmp_lt_u64_e32 vcc, v[12:13], v[4:5]
	s_nop 1
	v_cndmask_b32_e32 v4, v4, v12, vcc
	v_cndmask_b32_e32 v5, v5, v13, vcc
	v_cmp_eq_u32_e32 vcc, 0, v0
	s_nop 1
	v_cndmask_b32_e32 v3, v5, v3, vcc
	v_cndmask_b32_e32 v2, v4, v2, vcc
	v_cmp_lt_u64_e32 vcc, v[2:3], v[6:7]
	s_nop 1
	v_cndmask_b32_e32 v5, v7, v3, vcc
	v_cndmask_b32_e32 v4, v6, v2, vcc
	v_cmp_lt_u64_e32 vcc, v[4:5], v[8:9]
	ds_write2_b64 v16, v[2:3], v[4:5] offset1:1
	s_nop 0
	v_cndmask_b32_e32 v3, v9, v5, vcc
	v_cndmask_b32_e32 v2, v8, v4, vcc
	v_cmp_lt_u64_e32 vcc, v[2:3], v[10:11]
	s_nop 1
	v_cndmask_b32_e32 v5, v11, v3, vcc
	v_cndmask_b32_e32 v4, v10, v2, vcc
	ds_write2_b64 v16, v[2:3], v[4:5] offset0:2 offset1:3
.LBB159_64:
	s_or_b64 exec, exec, s[2:3]
	v_cmp_eq_u32_e32 vcc, 0, v0
	v_cmp_ne_u32_e64 s[2:3], 0, v0
	v_mov_b64_e32 v[2:3], v[32:33]
	s_waitcnt lgkmcnt(0)
	s_barrier
	s_and_saveexec_b64 s[4:5], s[2:3]
	s_cbranch_execz .LBB159_66
; %bb.65:
	v_add_u32_e32 v2, -1, v0
	v_lshrrev_b32_e32 v3, 5, v2
	v_add_lshl_u32 v2, v3, v2, 3
	ds_read_b64 v[2:3], v2
	s_waitcnt lgkmcnt(0)
	v_cmp_lt_u64_e64 s[2:3], v[32:33], v[2:3]
	s_nop 1
	v_cndmask_b32_e64 v3, v3, v33, s[2:3]
	v_cndmask_b32_e64 v2, v2, v32, s[2:3]
.LBB159_66:
	s_or_b64 exec, exec, s[4:5]
	v_cmp_lt_u64_e64 s[2:3], v[2:3], v[58:59]
	s_nop 1
	v_cndmask_b32_e64 v5, v59, v3, s[2:3]
	v_cndmask_b32_e64 v4, v58, v2, s[2:3]
	v_cmp_lt_u64_e64 s[2:3], v[4:5], v[60:61]
	s_nop 1
	v_cndmask_b32_e64 v7, v61, v5, s[2:3]
	v_cndmask_b32_e64 v6, v60, v4, s[2:3]
	;; [unrolled: 4-line block ×14, first 2 shown]
	s_and_saveexec_b64 s[2:3], vcc
	s_cbranch_execz .LBB159_68
; %bb.67:
	v_mov_b32_e32 v35, 0
	ds_read_b64 v[36:37], v35 offset:2096
	s_add_u32 s4, s20, 0x400
	s_addc_u32 s5, s21, 0
	v_mov_b32_e32 v34, 2
	s_waitcnt lgkmcnt(0)
	v_cmp_lt_u64_e32 vcc, v[32:33], v[36:37]
	s_nop 1
	v_cndmask_b32_e32 v33, v37, v33, vcc
	v_cndmask_b32_e32 v32, v36, v32, vcc
	v_mov_b64_e32 v[36:37], s[4:5]
	;;#ASMSTART
	global_store_dwordx4 v[36:37], v[32:35] off sc1	
s_waitcnt vmcnt(0)
	;;#ASMEND
.LBB159_68:
	s_or_b64 exec, exec, s[2:3]
.LBB159_69:
	s_add_u32 s2, s12, s14
	s_addc_u32 s3, s13, s15
	s_waitcnt lgkmcnt(0)
	s_mov_b64 s[4:5], -1
	s_and_b64 vcc, exec, s[10:11]
	s_barrier
	s_cbranch_vccz .LBB159_71
; %bb.70:
	v_mul_u32_u24_e32 v32, 0x78, v0
	s_movk_i32 s4, 0x78
	ds_write2_b64 v32, v[2:3], v[4:5] offset1:1
	ds_write2_b64 v32, v[6:7], v[8:9] offset0:2 offset1:3
	ds_write2_b64 v32, v[10:11], v[12:13] offset0:4 offset1:5
	;; [unrolled: 1-line block ×6, first 2 shown]
	ds_write_b64 v32, v[30:31] offset:112
	v_mul_i32_i24_e32 v32, 0xffffff90, v0
	v_mad_u32_u24 v60, v0, s4, v32
	v_mov_b32_e32 v63, 0
	s_waitcnt lgkmcnt(0)
	s_barrier
	ds_read2st64_b64 v[32:35], v60 offset1:4
	ds_read2st64_b64 v[36:39], v60 offset0:8 offset1:12
	ds_read2st64_b64 v[40:43], v60 offset0:16 offset1:20
	;; [unrolled: 1-line block ×6, first 2 shown]
	ds_read_b64 v[60:61], v60 offset:28672
	v_lshl_add_u64 v[64:65], s[2:3], 0, v[62:63]
	s_movk_i32 s4, 0x1000
	s_waitcnt lgkmcnt(7)
	global_store_dwordx2 v62, v[32:33], s[2:3]
	global_store_dwordx2 v62, v[34:35], s[2:3] offset:2048
	v_add_co_u32_e32 v32, vcc, s4, v64
	s_movk_i32 s4, 0x2000
	s_nop 0
	v_addc_co_u32_e32 v33, vcc, 0, v65, vcc
	v_add_co_u32_e32 v34, vcc, s4, v64
	s_movk_i32 s4, 0x3000
	s_nop 0
	v_addc_co_u32_e32 v35, vcc, 0, v65, vcc
	s_waitcnt lgkmcnt(6)
	global_store_dwordx2 v[34:35], v[36:37], off offset:-4096
	global_store_dwordx2 v[32:33], v[38:39], off offset:2048
	s_waitcnt lgkmcnt(5)
	global_store_dwordx2 v[34:35], v[40:41], off
	global_store_dwordx2 v[34:35], v[42:43], off offset:2048
	v_add_co_u32_e32 v32, vcc, s4, v64
	s_movk_i32 s4, 0x4000
	s_nop 0
	v_addc_co_u32_e32 v33, vcc, 0, v65, vcc
	v_add_co_u32_e32 v34, vcc, s4, v64
	s_movk_i32 s4, 0x5000
	s_nop 0
	v_addc_co_u32_e32 v35, vcc, 0, v65, vcc
	s_waitcnt lgkmcnt(4)
	global_store_dwordx2 v[34:35], v[44:45], off offset:-4096
	global_store_dwordx2 v[32:33], v[46:47], off offset:2048
	s_waitcnt lgkmcnt(3)
	global_store_dwordx2 v[34:35], v[48:49], off
	global_store_dwordx2 v[34:35], v[50:51], off offset:2048
	v_add_co_u32_e32 v32, vcc, s4, v64
	s_mov_b64 s[4:5], 0
	s_nop 0
	v_addc_co_u32_e32 v33, vcc, 0, v65, vcc
	s_waitcnt lgkmcnt(2)
	global_store_dwordx2 v[32:33], v[52:53], off
	global_store_dwordx2 v[32:33], v[54:55], off offset:2048
	v_add_co_u32_e32 v32, vcc, 0x6000, v64
	s_nop 1
	v_addc_co_u32_e32 v33, vcc, 0, v65, vcc
	s_waitcnt lgkmcnt(1)
	global_store_dwordx2 v[32:33], v[56:57], off
	global_store_dwordx2 v[32:33], v[58:59], off offset:2048
	v_add_co_u32_e32 v32, vcc, 0x7000, v64
	s_nop 1
	v_addc_co_u32_e32 v33, vcc, 0, v65, vcc
	s_waitcnt lgkmcnt(0)
	global_store_dwordx2 v[32:33], v[60:61], off
.LBB159_71:
	s_andn2_b64 vcc, exec, s[4:5]
	s_cbranch_vccnz .LBB159_157
; %bb.72:
	s_movk_i32 s4, 0xff90
	ds_write2_b64 v1, v[2:3], v[4:5] offset1:1
	ds_write2_b64 v1, v[6:7], v[8:9] offset0:2 offset1:3
	ds_write2_b64 v1, v[10:11], v[12:13] offset0:4 offset1:5
	;; [unrolled: 1-line block ×6, first 2 shown]
	ds_write_b64 v1, v[30:31] offset:112
	v_mad_i32_i24 v1, v0, s4, v1
	s_waitcnt lgkmcnt(0)
	s_barrier
	ds_read2st64_b64 v[6:9], v1 offset1:4
	ds_read2st64_b64 v[14:17], v1 offset0:8 offset1:12
	ds_read2st64_b64 v[10:13], v1 offset0:16 offset1:20
	;; [unrolled: 1-line block ×6, first 2 shown]
	ds_read_b64 v[30:31], v1 offset:28672
	v_mov_b32_e32 v63, 0
	v_lshl_add_u64 v[32:33], s[2:3], 0, v[62:63]
	v_cmp_gt_u32_e32 vcc, s26, v0
	s_and_saveexec_b64 s[2:3], vcc
	s_cbranch_execz .LBB159_74
; %bb.73:
	s_waitcnt lgkmcnt(7)
	global_store_dwordx2 v[32:33], v[6:7], off
.LBB159_74:
	s_or_b64 exec, exec, s[2:3]
	v_or_b32_e32 v1, 0x100, v0
	v_cmp_gt_u32_e32 vcc, s26, v1
	s_and_saveexec_b64 s[2:3], vcc
	s_cbranch_execz .LBB159_76
; %bb.75:
	s_waitcnt lgkmcnt(7)
	global_store_dwordx2 v[32:33], v[8:9], off offset:2048
.LBB159_76:
	s_or_b64 exec, exec, s[2:3]
	v_or_b32_e32 v1, 0x200, v0
	v_cmp_gt_u32_e32 vcc, s26, v1
	s_and_saveexec_b64 s[2:3], vcc
	s_cbranch_execz .LBB159_78
; %bb.77:
	v_add_co_u32_e32 v34, vcc, 0x1000, v32
	s_nop 1
	v_addc_co_u32_e32 v35, vcc, 0, v33, vcc
	s_waitcnt lgkmcnt(6)
	global_store_dwordx2 v[34:35], v[14:15], off
.LBB159_78:
	s_or_b64 exec, exec, s[2:3]
	v_or_b32_e32 v1, 0x300, v0
	v_cmp_gt_u32_e32 vcc, s26, v1
	s_and_saveexec_b64 s[2:3], vcc
	s_cbranch_execz .LBB159_80
; %bb.79:
	v_add_co_u32_e32 v34, vcc, 0x1000, v32
	s_nop 1
	v_addc_co_u32_e32 v35, vcc, 0, v33, vcc
	s_waitcnt lgkmcnt(6)
	global_store_dwordx2 v[34:35], v[16:17], off offset:2048
.LBB159_80:
	s_or_b64 exec, exec, s[2:3]
	v_or_b32_e32 v1, 0x400, v0
	v_cmp_gt_u32_e32 vcc, s26, v1
	s_and_saveexec_b64 s[2:3], vcc
	s_cbranch_execz .LBB159_82
; %bb.81:
	v_add_co_u32_e32 v34, vcc, 0x2000, v32
	s_nop 1
	v_addc_co_u32_e32 v35, vcc, 0, v33, vcc
	s_waitcnt lgkmcnt(5)
	global_store_dwordx2 v[34:35], v[10:11], off
.LBB159_82:
	s_or_b64 exec, exec, s[2:3]
	v_or_b32_e32 v1, 0x500, v0
	v_cmp_gt_u32_e32 vcc, s26, v1
	s_and_saveexec_b64 s[2:3], vcc
	s_cbranch_execz .LBB159_84
; %bb.83:
	v_add_co_u32_e32 v34, vcc, 0x2000, v32
	s_nop 1
	v_addc_co_u32_e32 v35, vcc, 0, v33, vcc
	s_waitcnt lgkmcnt(5)
	global_store_dwordx2 v[34:35], v[12:13], off offset:2048
.LBB159_84:
	;; [unrolled: 24-line block ×6, first 2 shown]
	s_or_b64 exec, exec, s[2:3]
	v_or_b32_e32 v1, 0xe00, v0
	v_cmp_gt_u32_e32 vcc, s26, v1
	s_and_saveexec_b64 s[2:3], vcc
	s_cbranch_execz .LBB159_102
; %bb.101:
	v_add_co_u32_e32 v32, vcc, 0x7000, v32
	s_nop 1
	v_addc_co_u32_e32 v33, vcc, 0, v33, vcc
	s_waitcnt lgkmcnt(0)
	global_store_dwordx2 v[32:33], v[30:31], off
.LBB159_102:
	s_or_b64 exec, exec, s[2:3]
	s_load_dword s0, s[0:1], 0x50
	s_waitcnt lgkmcnt(0)
	s_bfe_u32 s0, s0, 0x10008
	s_cmp_eq_u32 s0, 0
	s_cbranch_scc1 .LBB159_157
; %bb.103:
	s_add_u32 s0, s26, -1
	s_addc_u32 s1, s27, -1
	s_add_u32 s2, 0, 0x11108400
	s_addc_u32 s3, 0, 49
	s_add_i32 s3, s3, 0x111110e0
	s_mul_hi_u32 s9, s2, -15
	s_sub_i32 s9, s9, s2
	s_mul_i32 s10, s3, -15
	s_mul_i32 s4, s2, -15
	s_add_i32 s9, s9, s10
	s_mul_hi_u32 s5, s3, s4
	s_mul_i32 s8, s3, s4
	s_mul_i32 s11, s2, s9
	s_mul_hi_u32 s4, s2, s4
	s_mul_hi_u32 s10, s2, s9
	s_add_u32 s4, s4, s11
	s_addc_u32 s10, 0, s10
	s_add_u32 s4, s4, s8
	s_mul_hi_u32 s11, s3, s9
	s_addc_u32 s4, s10, s5
	s_addc_u32 s5, s11, 0
	s_mul_i32 s8, s3, s9
	s_add_u32 s4, s4, s8
	v_mov_b32_e32 v32, s4
	s_addc_u32 s5, 0, s5
	v_add_co_u32_e32 v32, vcc, s2, v32
	s_cmp_lg_u64 vcc, 0
	s_addc_u32 s2, s3, s5
	v_readfirstlane_b32 s5, v32
	s_mul_i32 s4, s0, s2
	s_mul_hi_u32 s8, s0, s5
	s_mul_hi_u32 s3, s0, s2
	s_add_u32 s4, s8, s4
	s_addc_u32 s3, 0, s3
	s_mul_hi_u32 s9, s1, s5
	s_mul_i32 s5, s1, s5
	s_add_u32 s4, s4, s5
	s_mul_hi_u32 s8, s1, s2
	s_addc_u32 s3, s3, s9
	s_addc_u32 s4, s8, 0
	s_mul_i32 s2, s1, s2
	s_add_u32 s2, s3, s2
	s_addc_u32 s3, 0, s4
	s_add_u32 s4, s2, 1
	s_addc_u32 s5, s3, 0
	s_add_u32 s8, s2, 2
	s_mul_i32 s10, s3, 15
	s_mul_hi_u32 s11, s2, 15
	s_addc_u32 s9, s3, 0
	s_add_i32 s11, s11, s10
	s_mul_i32 s10, s2, 15
	v_mov_b32_e32 v32, s10
	v_sub_co_u32_e32 v32, vcc, s0, v32
	s_cmp_lg_u64 vcc, 0
	s_subb_u32 s10, s1, s11
	v_subrev_co_u32_e32 v33, vcc, 15, v32
	s_cmp_lg_u64 vcc, 0
	s_subb_u32 s11, s10, 0
	v_readfirstlane_b32 s12, v33
	s_cmp_gt_u32 s12, 14
	s_cselect_b32 s12, -1, 0
	s_cmp_eq_u32 s11, 0
	s_cselect_b32 s11, s12, -1
	s_cmp_lg_u32 s11, 0
	s_cselect_b32 s4, s8, s4
	v_readfirstlane_b32 s8, v32
	s_cselect_b32 s5, s9, s5
	s_cmp_gt_u32 s8, 14
	s_cselect_b32 s8, -1, 0
	s_cmp_eq_u32 s10, 0
	s_cselect_b32 s8, s8, -1
	s_cmp_lg_u32 s8, 0
	v_mov_b32_e32 v1, v63
	s_cselect_b32 s3, s5, s3
	s_cselect_b32 s2, s4, s2
	v_cmp_eq_u64_e32 vcc, s[2:3], v[0:1]
	s_and_saveexec_b64 s[2:3], vcc
	s_cbranch_execz .LBB159_157
; %bb.104:
	v_mul_hi_u32_u24_e32 v1, 15, v0
	v_mov_b32_e32 v32, s1
	v_sub_co_u32_e32 v0, vcc, s0, v66
	s_nop 1
	v_subb_co_u32_e32 v1, vcc, v32, v1, vcc
	v_cmp_lt_i64_e32 vcc, 7, v[0:1]
	s_and_saveexec_b64 s[0:1], vcc
	s_xor_b64 s[0:1], exec, s[0:1]
	s_cbranch_execz .LBB159_130
; %bb.105:
	v_cmp_lt_i64_e32 vcc, 10, v[0:1]
	s_and_saveexec_b64 s[2:3], vcc
	s_xor_b64 s[2:3], exec, s[2:3]
	s_cbranch_execz .LBB159_119
; %bb.106:
	v_cmp_lt_i64_e32 vcc, 12, v[0:1]
	s_and_saveexec_b64 s[4:5], vcc
	s_xor_b64 s[4:5], exec, s[4:5]
	s_cbranch_execz .LBB159_112
; %bb.107:
	v_cmp_lt_i64_e32 vcc, 13, v[0:1]
	s_and_saveexec_b64 s[8:9], vcc
	s_xor_b64 s[8:9], exec, s[8:9]
	s_cbranch_execz .LBB159_109
; %bb.108:
	v_mov_b32_e32 v0, 0
	global_store_dwordx2 v0, v[30:31], s[6:7]
                                        ; implicit-def: $vgpr22_vgpr23_vgpr24_vgpr25
.LBB159_109:
	s_andn2_saveexec_b64 s[8:9], s[8:9]
	s_cbranch_execz .LBB159_111
; %bb.110:
	v_mov_b32_e32 v0, 0
	global_store_dwordx2 v0, v[24:25], s[6:7]
.LBB159_111:
	s_or_b64 exec, exec, s[8:9]
                                        ; implicit-def: $vgpr2_vgpr3_vgpr4_vgpr5
                                        ; implicit-def: $vgpr0_vgpr1
                                        ; implicit-def: $vgpr22_vgpr23_vgpr24_vgpr25
.LBB159_112:
	s_andn2_saveexec_b64 s[4:5], s[4:5]
	s_cbranch_execz .LBB159_118
; %bb.113:
	v_cmp_lt_i64_e32 vcc, 11, v[0:1]
	s_and_saveexec_b64 s[8:9], vcc
	s_xor_b64 s[8:9], exec, s[8:9]
	s_cbranch_execz .LBB159_115
; %bb.114:
	v_mov_b32_e32 v0, 0
	global_store_dwordx2 v0, v[22:23], s[6:7]
                                        ; implicit-def: $vgpr2_vgpr3_vgpr4_vgpr5
.LBB159_115:
	s_andn2_saveexec_b64 s[8:9], s[8:9]
	s_cbranch_execz .LBB159_117
; %bb.116:
	v_mov_b32_e32 v0, 0
	global_store_dwordx2 v0, v[4:5], s[6:7]
.LBB159_117:
	s_or_b64 exec, exec, s[8:9]
.LBB159_118:
	s_or_b64 exec, exec, s[4:5]
                                        ; implicit-def: $vgpr18_vgpr19_vgpr20_vgpr21
                                        ; implicit-def: $vgpr0_vgpr1
                                        ; implicit-def: $vgpr2_vgpr3_vgpr4_vgpr5
.LBB159_119:
	s_andn2_saveexec_b64 s[2:3], s[2:3]
	s_cbranch_execz .LBB159_129
; %bb.120:
	v_cmp_lt_i64_e32 vcc, 8, v[0:1]
	s_and_saveexec_b64 s[4:5], vcc
	s_xor_b64 s[4:5], exec, s[4:5]
	s_cbranch_execz .LBB159_126
; %bb.121:
	v_cmp_lt_i64_e32 vcc, 9, v[0:1]
	s_and_saveexec_b64 s[8:9], vcc
	s_xor_b64 s[8:9], exec, s[8:9]
	s_cbranch_execz .LBB159_123
; %bb.122:
	v_mov_b32_e32 v0, 0
	global_store_dwordx2 v0, v[2:3], s[6:7]
                                        ; implicit-def: $vgpr18_vgpr19_vgpr20_vgpr21
.LBB159_123:
	s_andn2_saveexec_b64 s[8:9], s[8:9]
	s_cbranch_execz .LBB159_125
; %bb.124:
	v_mov_b32_e32 v0, 0
	global_store_dwordx2 v0, v[20:21], s[6:7]
.LBB159_125:
	s_or_b64 exec, exec, s[8:9]
                                        ; implicit-def: $vgpr18_vgpr19_vgpr20_vgpr21
.LBB159_126:
	s_andn2_saveexec_b64 s[4:5], s[4:5]
	s_cbranch_execz .LBB159_128
; %bb.127:
	v_mov_b32_e32 v0, 0
	global_store_dwordx2 v0, v[18:19], s[6:7]
.LBB159_128:
	s_or_b64 exec, exec, s[4:5]
.LBB159_129:
	s_or_b64 exec, exec, s[2:3]
                                        ; implicit-def: $vgpr0_vgpr1
                                        ; implicit-def: $vgpr6_vgpr7_vgpr8_vgpr9
                                        ; implicit-def: $vgpr10_vgpr11_vgpr12_vgpr13
                                        ; implicit-def: $vgpr14_vgpr15_vgpr16_vgpr17
                                        ; implicit-def: $vgpr26_vgpr27_vgpr28_vgpr29
.LBB159_130:
	s_andn2_saveexec_b64 s[0:1], s[0:1]
	s_cbranch_execz .LBB159_157
; %bb.131:
	v_cmp_lt_i64_e32 vcc, 3, v[0:1]
	s_and_saveexec_b64 s[0:1], vcc
	s_xor_b64 s[0:1], exec, s[0:1]
	s_cbranch_execz .LBB159_145
; %bb.132:
	v_cmp_lt_i64_e32 vcc, 5, v[0:1]
	s_and_saveexec_b64 s[2:3], vcc
	s_xor_b64 s[2:3], exec, s[2:3]
	;; [unrolled: 5-line block ×3, first 2 shown]
	s_cbranch_execz .LBB159_135
; %bb.134:
	v_mov_b32_e32 v0, 0
	global_store_dwordx2 v0, v[28:29], s[6:7]
                                        ; implicit-def: $vgpr26_vgpr27_vgpr28_vgpr29
.LBB159_135:
	s_andn2_saveexec_b64 s[4:5], s[4:5]
	s_cbranch_execz .LBB159_137
; %bb.136:
	v_mov_b32_e32 v0, 0
	global_store_dwordx2 v0, v[26:27], s[6:7]
.LBB159_137:
	s_or_b64 exec, exec, s[4:5]
                                        ; implicit-def: $vgpr10_vgpr11_vgpr12_vgpr13
                                        ; implicit-def: $vgpr0_vgpr1
.LBB159_138:
	s_andn2_saveexec_b64 s[2:3], s[2:3]
	s_cbranch_execz .LBB159_144
; %bb.139:
	v_cmp_lt_i64_e32 vcc, 4, v[0:1]
	s_and_saveexec_b64 s[4:5], vcc
	s_xor_b64 s[4:5], exec, s[4:5]
	s_cbranch_execz .LBB159_141
; %bb.140:
	v_mov_b32_e32 v0, 0
	global_store_dwordx2 v0, v[12:13], s[6:7]
                                        ; implicit-def: $vgpr10_vgpr11_vgpr12_vgpr13
.LBB159_141:
	s_andn2_saveexec_b64 s[4:5], s[4:5]
	s_cbranch_execz .LBB159_143
; %bb.142:
	v_mov_b32_e32 v0, 0
	global_store_dwordx2 v0, v[10:11], s[6:7]
.LBB159_143:
	s_or_b64 exec, exec, s[4:5]
.LBB159_144:
	s_or_b64 exec, exec, s[2:3]
                                        ; implicit-def: $vgpr0_vgpr1
                                        ; implicit-def: $vgpr6_vgpr7_vgpr8_vgpr9
                                        ; implicit-def: $vgpr14_vgpr15_vgpr16_vgpr17
.LBB159_145:
	s_andn2_saveexec_b64 s[0:1], s[0:1]
	s_cbranch_execz .LBB159_157
; %bb.146:
	v_cmp_lt_i64_e32 vcc, 1, v[0:1]
	s_and_saveexec_b64 s[0:1], vcc
	s_xor_b64 s[0:1], exec, s[0:1]
	s_cbranch_execz .LBB159_152
; %bb.147:
	v_cmp_lt_i64_e32 vcc, 2, v[0:1]
	s_and_saveexec_b64 s[2:3], vcc
	s_xor_b64 s[2:3], exec, s[2:3]
	s_cbranch_execz .LBB159_149
; %bb.148:
	v_mov_b32_e32 v0, 0
	global_store_dwordx2 v0, v[16:17], s[6:7]
                                        ; implicit-def: $vgpr14_vgpr15_vgpr16_vgpr17
.LBB159_149:
	s_andn2_saveexec_b64 s[2:3], s[2:3]
	s_cbranch_execz .LBB159_151
; %bb.150:
	v_mov_b32_e32 v0, 0
	global_store_dwordx2 v0, v[14:15], s[6:7]
.LBB159_151:
	s_or_b64 exec, exec, s[2:3]
                                        ; implicit-def: $vgpr6_vgpr7_vgpr8_vgpr9
                                        ; implicit-def: $vgpr0_vgpr1
.LBB159_152:
	s_andn2_saveexec_b64 s[0:1], s[0:1]
	s_cbranch_execz .LBB159_157
; %bb.153:
	v_cmp_ne_u64_e32 vcc, 1, v[0:1]
	s_and_saveexec_b64 s[0:1], vcc
	s_xor_b64 s[0:1], exec, s[0:1]
	s_cbranch_execz .LBB159_155
; %bb.154:
	v_mov_b32_e32 v0, 0
	global_store_dwordx2 v0, v[6:7], s[6:7]
                                        ; implicit-def: $vgpr6_vgpr7_vgpr8_vgpr9
.LBB159_155:
	s_andn2_saveexec_b64 s[0:1], s[0:1]
	s_cbranch_execz .LBB159_157
; %bb.156:
	v_mov_b32_e32 v0, 0
	global_store_dwordx2 v0, v[8:9], s[6:7]
.LBB159_157:
	s_endpgm
	.section	.rodata,"a",@progbits
	.p2align	6, 0x0
	.amdhsa_kernel _ZN7rocprim6detail20lookback_scan_kernelILNS0_25lookback_scan_determinismE0ELb1ENS0_19wrapped_scan_configINS_14default_configEyEEN6hipcub22TransformInputIteratorIyNS6_6CastOpIyEEPylEESA_NS6_3MinENS_12future_valueIySA_EEyNS0_19lookback_scan_stateIyLb0ELb1EEEEEvT2_T3_mT5_T4_T7_jPT6_SN_bb
		.amdhsa_group_segment_fixed_size 30720
		.amdhsa_private_segment_fixed_size 0
		.amdhsa_kernarg_size 84
		.amdhsa_user_sgpr_count 2
		.amdhsa_user_sgpr_dispatch_ptr 0
		.amdhsa_user_sgpr_queue_ptr 0
		.amdhsa_user_sgpr_kernarg_segment_ptr 1
		.amdhsa_user_sgpr_dispatch_id 0
		.amdhsa_user_sgpr_kernarg_preload_length 0
		.amdhsa_user_sgpr_kernarg_preload_offset 0
		.amdhsa_user_sgpr_private_segment_size 0
		.amdhsa_uses_dynamic_stack 0
		.amdhsa_enable_private_segment 0
		.amdhsa_system_sgpr_workgroup_id_x 1
		.amdhsa_system_sgpr_workgroup_id_y 0
		.amdhsa_system_sgpr_workgroup_id_z 0
		.amdhsa_system_sgpr_workgroup_info 0
		.amdhsa_system_vgpr_workitem_id 0
		.amdhsa_next_free_vgpr 67
		.amdhsa_next_free_sgpr 68
		.amdhsa_accum_offset 68
		.amdhsa_reserve_vcc 1
		.amdhsa_float_round_mode_32 0
		.amdhsa_float_round_mode_16_64 0
		.amdhsa_float_denorm_mode_32 3
		.amdhsa_float_denorm_mode_16_64 3
		.amdhsa_dx10_clamp 1
		.amdhsa_ieee_mode 1
		.amdhsa_fp16_overflow 0
		.amdhsa_tg_split 0
		.amdhsa_exception_fp_ieee_invalid_op 0
		.amdhsa_exception_fp_denorm_src 0
		.amdhsa_exception_fp_ieee_div_zero 0
		.amdhsa_exception_fp_ieee_overflow 0
		.amdhsa_exception_fp_ieee_underflow 0
		.amdhsa_exception_fp_ieee_inexact 0
		.amdhsa_exception_int_div_zero 0
	.end_amdhsa_kernel
	.section	.text._ZN7rocprim6detail20lookback_scan_kernelILNS0_25lookback_scan_determinismE0ELb1ENS0_19wrapped_scan_configINS_14default_configEyEEN6hipcub22TransformInputIteratorIyNS6_6CastOpIyEEPylEESA_NS6_3MinENS_12future_valueIySA_EEyNS0_19lookback_scan_stateIyLb0ELb1EEEEEvT2_T3_mT5_T4_T7_jPT6_SN_bb,"axG",@progbits,_ZN7rocprim6detail20lookback_scan_kernelILNS0_25lookback_scan_determinismE0ELb1ENS0_19wrapped_scan_configINS_14default_configEyEEN6hipcub22TransformInputIteratorIyNS6_6CastOpIyEEPylEESA_NS6_3MinENS_12future_valueIySA_EEyNS0_19lookback_scan_stateIyLb0ELb1EEEEEvT2_T3_mT5_T4_T7_jPT6_SN_bb,comdat
.Lfunc_end159:
	.size	_ZN7rocprim6detail20lookback_scan_kernelILNS0_25lookback_scan_determinismE0ELb1ENS0_19wrapped_scan_configINS_14default_configEyEEN6hipcub22TransformInputIteratorIyNS6_6CastOpIyEEPylEESA_NS6_3MinENS_12future_valueIySA_EEyNS0_19lookback_scan_stateIyLb0ELb1EEEEEvT2_T3_mT5_T4_T7_jPT6_SN_bb, .Lfunc_end159-_ZN7rocprim6detail20lookback_scan_kernelILNS0_25lookback_scan_determinismE0ELb1ENS0_19wrapped_scan_configINS_14default_configEyEEN6hipcub22TransformInputIteratorIyNS6_6CastOpIyEEPylEESA_NS6_3MinENS_12future_valueIySA_EEyNS0_19lookback_scan_stateIyLb0ELb1EEEEEvT2_T3_mT5_T4_T7_jPT6_SN_bb
                                        ; -- End function
	.section	.AMDGPU.csdata,"",@progbits
; Kernel info:
; codeLenInByte = 8384
; NumSgprs: 74
; NumVgprs: 67
; NumAgprs: 0
; TotalNumVgprs: 67
; ScratchSize: 0
; MemoryBound: 1
; FloatMode: 240
; IeeeMode: 1
; LDSByteSize: 30720 bytes/workgroup (compile time only)
; SGPRBlocks: 9
; VGPRBlocks: 8
; NumSGPRsForWavesPerEU: 74
; NumVGPRsForWavesPerEU: 67
; AccumOffset: 68
; Occupancy: 2
; WaveLimiterHint : 1
; COMPUTE_PGM_RSRC2:SCRATCH_EN: 0
; COMPUTE_PGM_RSRC2:USER_SGPR: 2
; COMPUTE_PGM_RSRC2:TRAP_HANDLER: 0
; COMPUTE_PGM_RSRC2:TGID_X_EN: 1
; COMPUTE_PGM_RSRC2:TGID_Y_EN: 0
; COMPUTE_PGM_RSRC2:TGID_Z_EN: 0
; COMPUTE_PGM_RSRC2:TIDIG_COMP_CNT: 0
; COMPUTE_PGM_RSRC3_GFX90A:ACCUM_OFFSET: 16
; COMPUTE_PGM_RSRC3_GFX90A:TG_SPLIT: 0
	.section	.text._ZN7rocprim6detail18single_scan_kernelILb1ENS0_19wrapped_scan_configINS_14default_configEyEEN6hipcub22TransformInputIteratorIyNS5_6CastOpIyEEPylEES9_NS5_3MinENS_12future_valueIyS9_EEyEEvT1_mT4_T2_T3_,"axG",@progbits,_ZN7rocprim6detail18single_scan_kernelILb1ENS0_19wrapped_scan_configINS_14default_configEyEEN6hipcub22TransformInputIteratorIyNS5_6CastOpIyEEPylEES9_NS5_3MinENS_12future_valueIyS9_EEyEEvT1_mT4_T2_T3_,comdat
	.protected	_ZN7rocprim6detail18single_scan_kernelILb1ENS0_19wrapped_scan_configINS_14default_configEyEEN6hipcub22TransformInputIteratorIyNS5_6CastOpIyEEPylEES9_NS5_3MinENS_12future_valueIyS9_EEyEEvT1_mT4_T2_T3_ ; -- Begin function _ZN7rocprim6detail18single_scan_kernelILb1ENS0_19wrapped_scan_configINS_14default_configEyEEN6hipcub22TransformInputIteratorIyNS5_6CastOpIyEEPylEES9_NS5_3MinENS_12future_valueIyS9_EEyEEvT1_mT4_T2_T3_
	.globl	_ZN7rocprim6detail18single_scan_kernelILb1ENS0_19wrapped_scan_configINS_14default_configEyEEN6hipcub22TransformInputIteratorIyNS5_6CastOpIyEEPylEES9_NS5_3MinENS_12future_valueIyS9_EEyEEvT1_mT4_T2_T3_
	.p2align	8
	.type	_ZN7rocprim6detail18single_scan_kernelILb1ENS0_19wrapped_scan_configINS_14default_configEyEEN6hipcub22TransformInputIteratorIyNS5_6CastOpIyEEPylEES9_NS5_3MinENS_12future_valueIyS9_EEyEEvT1_mT4_T2_T3_,@function
_ZN7rocprim6detail18single_scan_kernelILb1ENS0_19wrapped_scan_configINS_14default_configEyEEN6hipcub22TransformInputIteratorIyNS5_6CastOpIyEEPylEES9_NS5_3MinENS_12future_valueIyS9_EEyEEvT1_mT4_T2_T3_: ; @_ZN7rocprim6detail18single_scan_kernelILb1ENS0_19wrapped_scan_configINS_14default_configEyEEN6hipcub22TransformInputIteratorIyNS5_6CastOpIyEEPylEES9_NS5_3MinENS_12future_valueIyS9_EEyEEvT1_mT4_T2_T3_
; %bb.0:
	s_load_dwordx2 s[2:3], s[0:1], 0x0
	s_load_dwordx4 s[68:71], s[0:1], 0x10
	v_mov_b32_e32 v35, 0
	v_lshlrev_b32_e32 v34, 3, v0
	s_waitcnt lgkmcnt(0)
	s_load_dwordx2 s[36:37], s[2:3], 0x0
	v_lshl_add_u64 v[36:37], s[2:3], 0, v[34:35]
	v_cmp_gt_u32_e64 s[30:31], s68, v0
	s_waitcnt lgkmcnt(0)
	s_mov_b32 s38, s36
	s_mov_b32 s39, s37
	;; [unrolled: 1-line block ×28, first 2 shown]
	v_mov_b64_e32 v[2:3], s[36:37]
	v_mov_b64_e32 v[4:5], s[38:39]
	;; [unrolled: 1-line block ×16, first 2 shown]
	s_and_saveexec_b64 s[2:3], s[30:31]
	s_cbranch_execz .LBB160_2
; %bb.1:
	global_load_dwordx2 v[2:3], v[36:37], off
	v_mov_b32_e32 v4, s36
	v_mov_b32_e32 v5, s37
	;; [unrolled: 1-line block ×28, first 2 shown]
.LBB160_2:
	s_or_b64 exec, exec, s[2:3]
	v_or_b32_e32 v1, 0x100, v0
	v_cmp_gt_u32_e64 s[2:3], s68, v1
	s_and_saveexec_b64 s[4:5], s[2:3]
	s_cbranch_execz .LBB160_4
; %bb.3:
	global_load_dwordx2 v[4:5], v[36:37], off offset:2048
.LBB160_4:
	s_or_b64 exec, exec, s[4:5]
	v_or_b32_e32 v1, 0x200, v0
	v_cmp_gt_u32_e64 s[4:5], s68, v1
	s_and_saveexec_b64 s[6:7], s[4:5]
	s_cbranch_execz .LBB160_6
; %bb.5:
	v_add_co_u32_e32 v6, vcc, 0x1000, v36
	s_nop 1
	v_addc_co_u32_e32 v7, vcc, 0, v37, vcc
	global_load_dwordx2 v[6:7], v[6:7], off
.LBB160_6:
	s_or_b64 exec, exec, s[6:7]
	v_or_b32_e32 v1, 0x300, v0
	v_cmp_gt_u32_e64 s[6:7], s68, v1
	s_and_saveexec_b64 s[8:9], s[6:7]
	s_cbranch_execz .LBB160_8
; %bb.7:
	v_add_co_u32_e32 v8, vcc, 0x1000, v36
	s_nop 1
	v_addc_co_u32_e32 v9, vcc, 0, v37, vcc
	global_load_dwordx2 v[8:9], v[8:9], off offset:2048
.LBB160_8:
	s_or_b64 exec, exec, s[8:9]
	v_or_b32_e32 v1, 0x400, v0
	v_cmp_gt_u32_e64 s[8:9], s68, v1
	s_and_saveexec_b64 s[10:11], s[8:9]
	s_cbranch_execz .LBB160_10
; %bb.9:
	v_add_co_u32_e32 v10, vcc, 0x2000, v36
	s_nop 1
	v_addc_co_u32_e32 v11, vcc, 0, v37, vcc
	global_load_dwordx2 v[10:11], v[10:11], off
.LBB160_10:
	s_or_b64 exec, exec, s[10:11]
	v_or_b32_e32 v1, 0x500, v0
	v_cmp_gt_u32_e64 s[10:11], s68, v1
	s_and_saveexec_b64 s[12:13], s[10:11]
	s_cbranch_execz .LBB160_12
; %bb.11:
	v_add_co_u32_e32 v12, vcc, 0x2000, v36
	s_nop 1
	v_addc_co_u32_e32 v13, vcc, 0, v37, vcc
	global_load_dwordx2 v[12:13], v[12:13], off offset:2048
.LBB160_12:
	;; [unrolled: 22-line block ×6, first 2 shown]
	s_or_b64 exec, exec, s[28:29]
	s_load_dwordx2 s[34:35], s[0:1], 0x20
	s_load_dwordx2 s[36:37], s[70:71], 0x0
	v_or_b32_e32 v1, 0xe00, v0
	v_cmp_gt_u32_e64 s[28:29], s68, v1
	s_and_saveexec_b64 s[0:1], s[28:29]
	s_cbranch_execz .LBB160_30
; %bb.29:
	v_add_co_u32_e32 v30, vcc, 0x7000, v36
	s_nop 1
	v_addc_co_u32_e32 v31, vcc, 0, v37, vcc
	global_load_dwordx2 v[30:31], v[30:31], off
.LBB160_30:
	s_or_b64 exec, exec, s[0:1]
	s_movk_i32 s0, 0x70
	v_mad_u32_u24 v1, v0, s0, v34
	s_waitcnt vmcnt(0)
	ds_write2st64_b64 v34, v[2:3], v[4:5] offset1:4
	ds_write2st64_b64 v34, v[6:7], v[8:9] offset0:8 offset1:12
	ds_write2st64_b64 v34, v[10:11], v[12:13] offset0:16 offset1:20
	ds_write2st64_b64 v34, v[14:15], v[16:17] offset0:24 offset1:28
	ds_write2st64_b64 v34, v[18:19], v[20:21] offset0:32 offset1:36
	ds_write2st64_b64 v34, v[22:23], v[24:25] offset0:40 offset1:44
	ds_write2st64_b64 v34, v[26:27], v[28:29] offset0:48 offset1:52
	ds_write_b64 v34, v[30:31] offset:28672
	s_waitcnt lgkmcnt(0)
	s_barrier
	ds_read2_b64 v[26:29], v1 offset1:1
	ds_read2_b64 v[22:25], v1 offset0:2 offset1:3
	ds_read2_b64 v[18:21], v1 offset0:4 offset1:5
	;; [unrolled: 1-line block ×6, first 2 shown]
	ds_read_b64 v[30:31], v1 offset:112
	s_waitcnt lgkmcnt(7)
	v_cmp_lt_u64_e32 vcc, v[26:27], v[28:29]
	s_waitcnt lgkmcnt(0)
	s_barrier
	v_cndmask_b32_e32 v33, v29, v27, vcc
	v_cndmask_b32_e32 v32, v28, v26, vcc
	v_cmp_lt_u64_e32 vcc, v[32:33], v[22:23]
	s_nop 1
	v_cndmask_b32_e32 v33, v23, v33, vcc
	v_cndmask_b32_e32 v32, v22, v32, vcc
	v_cmp_lt_u64_e32 vcc, v[32:33], v[24:25]
	s_nop 1
	;; [unrolled: 4-line block ×13, first 2 shown]
	v_cndmask_b32_e32 v30, v30, v32, vcc
	v_lshrrev_b32_e32 v32, 2, v0
	v_and_b32_e32 v32, 56, v32
	v_cndmask_b32_e32 v31, v31, v33, vcc
	v_add_u32_e32 v32, v34, v32
	v_cmp_gt_u32_e32 vcc, 64, v0
	ds_write_b64 v32, v[30:31]
	s_waitcnt lgkmcnt(0)
	s_barrier
	s_and_saveexec_b64 s[0:1], vcc
	s_cbranch_execz .LBB160_32
; %bb.31:
	v_lshlrev_b32_e32 v32, 2, v0
	v_lshrrev_b32_e32 v33, 3, v0
	v_add_lshl_u32 v35, v33, v32, 3
	ds_read2_b64 v[36:39], v35 offset1:1
	ds_read2_b64 v[40:43], v35 offset0:2 offset1:3
	v_mbcnt_lo_u32_b32 v44, -1, 0
	v_mbcnt_hi_u32_b32 v46, -1, v44
	v_and_b32_e32 v47, 15, v46
	s_waitcnt lgkmcnt(1)
	v_cmp_lt_u64_e32 vcc, v[36:37], v[38:39]
	s_nop 1
	v_cndmask_b32_e32 v33, v39, v37, vcc
	v_cndmask_b32_e32 v32, v38, v36, vcc
	s_waitcnt lgkmcnt(0)
	v_cmp_lt_u64_e32 vcc, v[32:33], v[40:41]
	s_nop 1
	v_cndmask_b32_e32 v33, v41, v33, vcc
	v_cndmask_b32_e32 v32, v40, v32, vcc
	v_cmp_lt_u64_e32 vcc, v[32:33], v[42:43]
	s_nop 1
	v_cndmask_b32_e32 v33, v43, v33, vcc
	v_cndmask_b32_e32 v32, v42, v32, vcc
	s_nop 0
	v_mov_b32_dpp v45, v33 row_shr:1 row_mask:0xf bank_mask:0xf
	v_mov_b32_dpp v44, v32 row_shr:1 row_mask:0xf bank_mask:0xf
	v_cmp_lt_u64_e32 vcc, v[44:45], v[32:33]
	s_nop 1
	v_cndmask_b32_e32 v44, v32, v44, vcc
	v_cndmask_b32_e32 v45, v33, v45, vcc
	v_cmp_eq_u32_e32 vcc, 0, v47
	s_nop 1
	v_cndmask_b32_e32 v33, v45, v33, vcc
	v_cndmask_b32_e32 v32, v44, v32, vcc
	s_nop 0
	v_mov_b32_dpp v45, v33 row_shr:2 row_mask:0xf bank_mask:0xf
	v_mov_b32_dpp v44, v32 row_shr:2 row_mask:0xf bank_mask:0xf
	v_cmp_lt_u64_e32 vcc, v[44:45], v[32:33]
	s_nop 1
	v_cndmask_b32_e32 v44, v32, v44, vcc
	v_cndmask_b32_e32 v45, v33, v45, vcc
	v_cmp_lt_u32_e32 vcc, 1, v47
	s_nop 1
	v_cndmask_b32_e32 v33, v33, v45, vcc
	v_cndmask_b32_e32 v32, v32, v44, vcc
	s_nop 0
	v_mov_b32_dpp v45, v33 row_shr:4 row_mask:0xf bank_mask:0xf
	v_mov_b32_dpp v44, v32 row_shr:4 row_mask:0xf bank_mask:0xf
	v_cmp_lt_u64_e32 vcc, v[44:45], v[32:33]
	s_nop 1
	v_cndmask_b32_e32 v44, v32, v44, vcc
	v_cndmask_b32_e32 v45, v33, v45, vcc
	v_cmp_lt_u32_e32 vcc, 3, v47
	;; [unrolled: 11-line block ×3, first 2 shown]
	v_and_b32_e32 v47, 16, v46
	s_nop 0
	v_cndmask_b32_e32 v33, v33, v45, vcc
	v_cndmask_b32_e32 v32, v32, v44, vcc
	s_nop 0
	v_mov_b32_dpp v45, v33 row_bcast:15 row_mask:0xf bank_mask:0xf
	v_mov_b32_dpp v44, v32 row_bcast:15 row_mask:0xf bank_mask:0xf
	v_cmp_lt_u64_e32 vcc, v[44:45], v[32:33]
	s_nop 1
	v_cndmask_b32_e32 v44, v32, v44, vcc
	v_cndmask_b32_e32 v45, v33, v45, vcc
	v_cmp_eq_u32_e32 vcc, 0, v47
	s_nop 1
	v_cndmask_b32_e32 v33, v45, v33, vcc
	v_cndmask_b32_e32 v32, v44, v32, vcc
	s_nop 0
	v_mov_b32_dpp v45, v33 row_bcast:31 row_mask:0xf bank_mask:0xf
	v_mov_b32_dpp v44, v32 row_bcast:31 row_mask:0xf bank_mask:0xf
	v_cmp_lt_u64_e32 vcc, v[44:45], v[32:33]
	s_nop 1
	v_cndmask_b32_e32 v45, v33, v45, vcc
	v_cndmask_b32_e32 v44, v32, v44, vcc
	v_cmp_lt_u32_e32 vcc, 31, v46
	s_nop 1
	v_cndmask_b32_e32 v32, v32, v44, vcc
	v_cndmask_b32_e32 v33, v33, v45, vcc
	v_add_u32_e32 v44, -1, v46
	v_and_b32_e32 v45, 64, v46
	v_cmp_lt_i32_e32 vcc, v44, v45
	s_nop 1
	v_cndmask_b32_e32 v44, v44, v46, vcc
	v_lshlrev_b32_e32 v44, 2, v44
	ds_bpermute_b32 v32, v44, v32
	ds_bpermute_b32 v33, v44, v33
	s_waitcnt lgkmcnt(0)
	v_cmp_lt_u64_e32 vcc, v[32:33], v[36:37]
	s_nop 1
	v_cndmask_b32_e32 v32, v36, v32, vcc
	v_cndmask_b32_e32 v33, v37, v33, vcc
	v_cmp_eq_u32_e32 vcc, 0, v0
	s_nop 1
	v_cndmask_b32_e32 v31, v33, v31, vcc
	v_cndmask_b32_e32 v30, v32, v30, vcc
	v_cmp_lt_u64_e32 vcc, v[30:31], v[38:39]
	s_nop 1
	v_cndmask_b32_e32 v33, v39, v31, vcc
	v_cndmask_b32_e32 v32, v38, v30, vcc
	v_cmp_lt_u64_e32 vcc, v[32:33], v[40:41]
	ds_write2_b64 v35, v[30:31], v[32:33] offset1:1
	s_nop 0
	v_cndmask_b32_e32 v31, v41, v33, vcc
	v_cndmask_b32_e32 v30, v40, v32, vcc
	v_cmp_lt_u64_e32 vcc, v[30:31], v[42:43]
	s_nop 1
	v_cndmask_b32_e32 v33, v43, v31, vcc
	v_cndmask_b32_e32 v32, v42, v30, vcc
	ds_write2_b64 v35, v[30:31], v[32:33] offset0:2 offset1:3
.LBB160_32:
	s_or_b64 exec, exec, s[0:1]
	v_cmp_ne_u32_e32 vcc, 0, v0
	v_mov_b64_e32 v[30:31], s[36:37]
	s_waitcnt lgkmcnt(0)
	s_barrier
	s_and_saveexec_b64 s[0:1], vcc
	s_cbranch_execz .LBB160_34
; %bb.33:
	v_add_u32_e32 v30, -1, v0
	v_lshrrev_b32_e32 v31, 5, v30
	v_add_lshl_u32 v30, v31, v30, 3
	ds_read_b64 v[30:31], v30
	v_mov_b32_e32 v32, s37
	s_waitcnt lgkmcnt(0)
	v_cmp_lt_u64_e32 vcc, s[36:37], v[30:31]
	s_nop 1
	v_cndmask_b32_e32 v31, v31, v32, vcc
	v_mov_b32_e32 v32, s36
	v_cndmask_b32_e32 v30, v30, v32, vcc
.LBB160_34:
	s_or_b64 exec, exec, s[0:1]
	v_cmp_lt_u64_e32 vcc, v[30:31], v[26:27]
	s_movk_i32 s0, 0xff90
	s_nop 0
	v_cndmask_b32_e32 v27, v27, v31, vcc
	v_cndmask_b32_e32 v26, v26, v30, vcc
	v_cmp_lt_u64_e32 vcc, v[26:27], v[28:29]
	s_barrier
	s_nop 0
	v_cndmask_b32_e32 v29, v29, v27, vcc
	v_cndmask_b32_e32 v28, v28, v26, vcc
	v_cmp_lt_u64_e32 vcc, v[28:29], v[22:23]
	v_mov_b32_e32 v35, 0
	s_nop 0
	v_cndmask_b32_e32 v23, v23, v29, vcc
	v_cndmask_b32_e32 v22, v22, v28, vcc
	v_cmp_lt_u64_e32 vcc, v[22:23], v[24:25]
	s_nop 1
	v_cndmask_b32_e32 v25, v25, v23, vcc
	v_cndmask_b32_e32 v24, v24, v22, vcc
	v_cmp_lt_u64_e32 vcc, v[24:25], v[18:19]
	;; [unrolled: 4-line block ×11, first 2 shown]
	s_nop 1
	v_cndmask_b32_e32 v5, v5, v3, vcc
	v_cndmask_b32_e32 v4, v4, v2, vcc
	ds_write2_b64 v1, v[30:31], v[26:27] offset1:1
	ds_write2_b64 v1, v[28:29], v[22:23] offset0:2 offset1:3
	ds_write2_b64 v1, v[24:25], v[18:19] offset0:4 offset1:5
	;; [unrolled: 1-line block ×6, first 2 shown]
	ds_write_b64 v1, v[4:5] offset:112
	v_mad_i32_i24 v24, v0, s0, v1
	s_waitcnt lgkmcnt(0)
	s_barrier
	ds_read2st64_b64 v[20:23], v24 offset0:4 offset1:8
	ds_read2st64_b64 v[16:19], v24 offset0:12 offset1:20
	;; [unrolled: 1-line block ×6, first 2 shown]
	ds_read_b64 v[28:29], v34 offset:24576
	ds_read_b64 v[24:25], v24 offset:28672
	v_lshl_add_u64 v[26:27], s[34:35], 0, v[34:35]
	s_and_saveexec_b64 s[0:1], s[30:31]
	s_cbranch_execnz .LBB160_50
; %bb.35:
	s_or_b64 exec, exec, s[0:1]
	s_and_saveexec_b64 s[0:1], s[2:3]
	s_cbranch_execnz .LBB160_51
.LBB160_36:
	s_or_b64 exec, exec, s[0:1]
	s_and_saveexec_b64 s[0:1], s[4:5]
	s_cbranch_execnz .LBB160_52
.LBB160_37:
	s_or_b64 exec, exec, s[0:1]
	s_and_saveexec_b64 s[0:1], s[6:7]
	s_cbranch_execnz .LBB160_53
.LBB160_38:
	s_or_b64 exec, exec, s[0:1]
	s_and_saveexec_b64 s[0:1], s[8:9]
	s_cbranch_execnz .LBB160_54
.LBB160_39:
	s_or_b64 exec, exec, s[0:1]
	s_and_saveexec_b64 s[0:1], s[10:11]
	s_cbranch_execnz .LBB160_55
.LBB160_40:
	s_or_b64 exec, exec, s[0:1]
	s_and_saveexec_b64 s[0:1], s[12:13]
	s_cbranch_execnz .LBB160_56
.LBB160_41:
	s_or_b64 exec, exec, s[0:1]
	s_and_saveexec_b64 s[0:1], s[14:15]
	s_cbranch_execnz .LBB160_57
.LBB160_42:
	s_or_b64 exec, exec, s[0:1]
	s_and_saveexec_b64 s[0:1], s[16:17]
	s_cbranch_execnz .LBB160_58
.LBB160_43:
	s_or_b64 exec, exec, s[0:1]
	s_and_saveexec_b64 s[0:1], s[18:19]
	s_cbranch_execnz .LBB160_59
.LBB160_44:
	s_or_b64 exec, exec, s[0:1]
	s_and_saveexec_b64 s[0:1], s[20:21]
	s_cbranch_execnz .LBB160_60
.LBB160_45:
	s_or_b64 exec, exec, s[0:1]
	s_and_saveexec_b64 s[0:1], s[22:23]
	s_cbranch_execnz .LBB160_61
.LBB160_46:
	s_or_b64 exec, exec, s[0:1]
	s_and_saveexec_b64 s[0:1], s[24:25]
	s_cbranch_execnz .LBB160_62
.LBB160_47:
	s_or_b64 exec, exec, s[0:1]
	s_and_saveexec_b64 s[0:1], s[26:27]
	s_cbranch_execnz .LBB160_63
.LBB160_48:
	s_or_b64 exec, exec, s[0:1]
	s_and_saveexec_b64 s[0:1], s[28:29]
	s_cbranch_execnz .LBB160_64
.LBB160_49:
	s_endpgm
.LBB160_50:
	ds_read_b64 v[30:31], v34
	s_waitcnt lgkmcnt(0)
	global_store_dwordx2 v[26:27], v[30:31], off
	s_or_b64 exec, exec, s[0:1]
	s_and_saveexec_b64 s[0:1], s[2:3]
	s_cbranch_execz .LBB160_36
.LBB160_51:
	s_waitcnt lgkmcnt(7)
	global_store_dwordx2 v[26:27], v[20:21], off offset:2048
	s_or_b64 exec, exec, s[0:1]
	s_and_saveexec_b64 s[0:1], s[4:5]
	s_cbranch_execz .LBB160_37
.LBB160_52:
	s_waitcnt lgkmcnt(7)
	v_add_co_u32_e32 v20, vcc, 0x1000, v26
	s_nop 1
	v_addc_co_u32_e32 v21, vcc, 0, v27, vcc
	global_store_dwordx2 v[20:21], v[22:23], off
	s_or_b64 exec, exec, s[0:1]
	s_and_saveexec_b64 s[0:1], s[6:7]
	s_cbranch_execz .LBB160_38
.LBB160_53:
	s_waitcnt lgkmcnt(7)
	v_add_co_u32_e32 v20, vcc, 0x1000, v26
	s_nop 1
	v_addc_co_u32_e32 v21, vcc, 0, v27, vcc
	s_waitcnt lgkmcnt(6)
	global_store_dwordx2 v[20:21], v[16:17], off offset:2048
	s_or_b64 exec, exec, s[0:1]
	s_and_saveexec_b64 s[0:1], s[8:9]
	s_cbranch_execz .LBB160_39
.LBB160_54:
	s_waitcnt lgkmcnt(6)
	v_add_co_u32_e32 v16, vcc, 0x2000, v26
	s_nop 1
	v_addc_co_u32_e32 v17, vcc, 0, v27, vcc
	s_waitcnt lgkmcnt(5)
	global_store_dwordx2 v[16:17], v[8:9], off
	s_or_b64 exec, exec, s[0:1]
	s_and_saveexec_b64 s[0:1], s[10:11]
	s_cbranch_execz .LBB160_40
.LBB160_55:
	s_waitcnt lgkmcnt(5)
	v_add_co_u32_e32 v8, vcc, 0x2000, v26
	s_nop 1
	v_addc_co_u32_e32 v9, vcc, 0, v27, vcc
	global_store_dwordx2 v[8:9], v[18:19], off offset:2048
	s_or_b64 exec, exec, s[0:1]
	s_and_saveexec_b64 s[0:1], s[12:13]
	s_cbranch_execz .LBB160_41
.LBB160_56:
	s_waitcnt lgkmcnt(5)
	v_add_co_u32_e32 v8, vcc, 0x3000, v26
	s_nop 1
	v_addc_co_u32_e32 v9, vcc, 0, v27, vcc
	s_waitcnt lgkmcnt(4)
	global_store_dwordx2 v[8:9], v[12:13], off
	s_or_b64 exec, exec, s[0:1]
	s_and_saveexec_b64 s[0:1], s[14:15]
	s_cbranch_execz .LBB160_42
.LBB160_57:
	s_waitcnt lgkmcnt(5)
	v_add_co_u32_e32 v8, vcc, 0x3000, v26
	s_nop 1
	v_addc_co_u32_e32 v9, vcc, 0, v27, vcc
	s_waitcnt lgkmcnt(4)
	global_store_dwordx2 v[8:9], v[14:15], off offset:2048
	s_or_b64 exec, exec, s[0:1]
	s_and_saveexec_b64 s[0:1], s[16:17]
	s_cbranch_execz .LBB160_43
.LBB160_58:
	s_waitcnt lgkmcnt(5)
	v_add_co_u32_e32 v8, vcc, 0x4000, v26
	s_nop 1
	v_addc_co_u32_e32 v9, vcc, 0, v27, vcc
	global_store_dwordx2 v[8:9], v[10:11], off
	s_or_b64 exec, exec, s[0:1]
	s_and_saveexec_b64 s[0:1], s[18:19]
	s_cbranch_execz .LBB160_44
.LBB160_59:
	s_waitcnt lgkmcnt(5)
	v_add_co_u32_e32 v8, vcc, 0x4000, v26
	s_nop 1
	v_addc_co_u32_e32 v9, vcc, 0, v27, vcc
	s_waitcnt lgkmcnt(3)
	global_store_dwordx2 v[8:9], v[4:5], off offset:2048
	s_or_b64 exec, exec, s[0:1]
	s_and_saveexec_b64 s[0:1], s[20:21]
	s_cbranch_execz .LBB160_45
.LBB160_60:
	s_waitcnt lgkmcnt(3)
	v_add_co_u32_e32 v4, vcc, 0x5000, v26
	s_nop 1
	v_addc_co_u32_e32 v5, vcc, 0, v27, vcc
	global_store_dwordx2 v[4:5], v[6:7], off
	s_or_b64 exec, exec, s[0:1]
	s_and_saveexec_b64 s[0:1], s[22:23]
	s_cbranch_execz .LBB160_46
.LBB160_61:
	s_waitcnt lgkmcnt(3)
	v_add_co_u32_e32 v4, vcc, 0x5000, v26
	s_nop 1
	v_addc_co_u32_e32 v5, vcc, 0, v27, vcc
	s_waitcnt lgkmcnt(2)
	global_store_dwordx2 v[4:5], v[0:1], off offset:2048
	s_or_b64 exec, exec, s[0:1]
	s_and_saveexec_b64 s[0:1], s[24:25]
	s_cbranch_execz .LBB160_47
.LBB160_62:
	s_waitcnt lgkmcnt(2)
	v_add_co_u32_e32 v0, vcc, 0x6000, v26
	s_nop 1
	v_addc_co_u32_e32 v1, vcc, 0, v27, vcc
	s_waitcnt lgkmcnt(1)
	global_store_dwordx2 v[0:1], v[28:29], off
	s_or_b64 exec, exec, s[0:1]
	s_and_saveexec_b64 s[0:1], s[26:27]
	s_cbranch_execz .LBB160_48
.LBB160_63:
	s_waitcnt lgkmcnt(2)
	v_add_co_u32_e32 v0, vcc, 0x6000, v26
	s_nop 1
	v_addc_co_u32_e32 v1, vcc, 0, v27, vcc
	global_store_dwordx2 v[0:1], v[2:3], off offset:2048
	s_or_b64 exec, exec, s[0:1]
	s_and_saveexec_b64 s[0:1], s[28:29]
	s_cbranch_execz .LBB160_49
.LBB160_64:
	s_waitcnt lgkmcnt(2)
	v_add_co_u32_e32 v0, vcc, 0x7000, v26
	s_nop 1
	v_addc_co_u32_e32 v1, vcc, 0, v27, vcc
	s_waitcnt lgkmcnt(0)
	global_store_dwordx2 v[0:1], v[24:25], off
	s_endpgm
	.section	.rodata,"a",@progbits
	.p2align	6, 0x0
	.amdhsa_kernel _ZN7rocprim6detail18single_scan_kernelILb1ENS0_19wrapped_scan_configINS_14default_configEyEEN6hipcub22TransformInputIteratorIyNS5_6CastOpIyEEPylEES9_NS5_3MinENS_12future_valueIyS9_EEyEEvT1_mT4_T2_T3_
		.amdhsa_group_segment_fixed_size 30720
		.amdhsa_private_segment_fixed_size 0
		.amdhsa_kernarg_size 44
		.amdhsa_user_sgpr_count 2
		.amdhsa_user_sgpr_dispatch_ptr 0
		.amdhsa_user_sgpr_queue_ptr 0
		.amdhsa_user_sgpr_kernarg_segment_ptr 1
		.amdhsa_user_sgpr_dispatch_id 0
		.amdhsa_user_sgpr_kernarg_preload_length 0
		.amdhsa_user_sgpr_kernarg_preload_offset 0
		.amdhsa_user_sgpr_private_segment_size 0
		.amdhsa_uses_dynamic_stack 0
		.amdhsa_enable_private_segment 0
		.amdhsa_system_sgpr_workgroup_id_x 1
		.amdhsa_system_sgpr_workgroup_id_y 0
		.amdhsa_system_sgpr_workgroup_id_z 0
		.amdhsa_system_sgpr_workgroup_info 0
		.amdhsa_system_vgpr_workitem_id 0
		.amdhsa_next_free_vgpr 48
		.amdhsa_next_free_sgpr 72
		.amdhsa_accum_offset 48
		.amdhsa_reserve_vcc 1
		.amdhsa_float_round_mode_32 0
		.amdhsa_float_round_mode_16_64 0
		.amdhsa_float_denorm_mode_32 3
		.amdhsa_float_denorm_mode_16_64 3
		.amdhsa_dx10_clamp 1
		.amdhsa_ieee_mode 1
		.amdhsa_fp16_overflow 0
		.amdhsa_tg_split 0
		.amdhsa_exception_fp_ieee_invalid_op 0
		.amdhsa_exception_fp_denorm_src 0
		.amdhsa_exception_fp_ieee_div_zero 0
		.amdhsa_exception_fp_ieee_overflow 0
		.amdhsa_exception_fp_ieee_underflow 0
		.amdhsa_exception_fp_ieee_inexact 0
		.amdhsa_exception_int_div_zero 0
	.end_amdhsa_kernel
	.section	.text._ZN7rocprim6detail18single_scan_kernelILb1ENS0_19wrapped_scan_configINS_14default_configEyEEN6hipcub22TransformInputIteratorIyNS5_6CastOpIyEEPylEES9_NS5_3MinENS_12future_valueIyS9_EEyEEvT1_mT4_T2_T3_,"axG",@progbits,_ZN7rocprim6detail18single_scan_kernelILb1ENS0_19wrapped_scan_configINS_14default_configEyEEN6hipcub22TransformInputIteratorIyNS5_6CastOpIyEEPylEES9_NS5_3MinENS_12future_valueIyS9_EEyEEvT1_mT4_T2_T3_,comdat
.Lfunc_end160:
	.size	_ZN7rocprim6detail18single_scan_kernelILb1ENS0_19wrapped_scan_configINS_14default_configEyEEN6hipcub22TransformInputIteratorIyNS5_6CastOpIyEEPylEES9_NS5_3MinENS_12future_valueIyS9_EEyEEvT1_mT4_T2_T3_, .Lfunc_end160-_ZN7rocprim6detail18single_scan_kernelILb1ENS0_19wrapped_scan_configINS_14default_configEyEEN6hipcub22TransformInputIteratorIyNS5_6CastOpIyEEPylEES9_NS5_3MinENS_12future_valueIyS9_EEyEEvT1_mT4_T2_T3_
                                        ; -- End function
	.section	.AMDGPU.csdata,"",@progbits
; Kernel info:
; codeLenInByte = 3332
; NumSgprs: 78
; NumVgprs: 48
; NumAgprs: 0
; TotalNumVgprs: 48
; ScratchSize: 0
; MemoryBound: 1
; FloatMode: 240
; IeeeMode: 1
; LDSByteSize: 30720 bytes/workgroup (compile time only)
; SGPRBlocks: 9
; VGPRBlocks: 5
; NumSGPRsForWavesPerEU: 78
; NumVGPRsForWavesPerEU: 48
; AccumOffset: 48
; Occupancy: 2
; WaveLimiterHint : 0
; COMPUTE_PGM_RSRC2:SCRATCH_EN: 0
; COMPUTE_PGM_RSRC2:USER_SGPR: 2
; COMPUTE_PGM_RSRC2:TRAP_HANDLER: 0
; COMPUTE_PGM_RSRC2:TGID_X_EN: 1
; COMPUTE_PGM_RSRC2:TGID_Y_EN: 0
; COMPUTE_PGM_RSRC2:TGID_Z_EN: 0
; COMPUTE_PGM_RSRC2:TIDIG_COMP_CNT: 0
; COMPUTE_PGM_RSRC3_GFX90A:ACCUM_OFFSET: 11
; COMPUTE_PGM_RSRC3_GFX90A:TG_SPLIT: 0
	.section	.text._ZL18fill_initial_valueIyEvPT_S0_,"axG",@progbits,_ZL18fill_initial_valueIyEvPT_S0_,comdat
	.globl	_ZL18fill_initial_valueIyEvPT_S0_ ; -- Begin function _ZL18fill_initial_valueIyEvPT_S0_
	.p2align	8
	.type	_ZL18fill_initial_valueIyEvPT_S0_,@function
_ZL18fill_initial_valueIyEvPT_S0_:      ; @_ZL18fill_initial_valueIyEvPT_S0_
; %bb.0:
	s_load_dwordx4 s[0:3], s[0:1], 0x0
	v_mov_b32_e32 v2, 0
	s_waitcnt lgkmcnt(0)
	v_mov_b32_e32 v0, s2
	v_mov_b32_e32 v1, s3
	global_store_dwordx2 v2, v[0:1], s[0:1]
	s_endpgm
	.section	.rodata,"a",@progbits
	.p2align	6, 0x0
	.amdhsa_kernel _ZL18fill_initial_valueIyEvPT_S0_
		.amdhsa_group_segment_fixed_size 0
		.amdhsa_private_segment_fixed_size 0
		.amdhsa_kernarg_size 16
		.amdhsa_user_sgpr_count 2
		.amdhsa_user_sgpr_dispatch_ptr 0
		.amdhsa_user_sgpr_queue_ptr 0
		.amdhsa_user_sgpr_kernarg_segment_ptr 1
		.amdhsa_user_sgpr_dispatch_id 0
		.amdhsa_user_sgpr_kernarg_preload_length 0
		.amdhsa_user_sgpr_kernarg_preload_offset 0
		.amdhsa_user_sgpr_private_segment_size 0
		.amdhsa_uses_dynamic_stack 0
		.amdhsa_enable_private_segment 0
		.amdhsa_system_sgpr_workgroup_id_x 1
		.amdhsa_system_sgpr_workgroup_id_y 0
		.amdhsa_system_sgpr_workgroup_id_z 0
		.amdhsa_system_sgpr_workgroup_info 0
		.amdhsa_system_vgpr_workitem_id 0
		.amdhsa_next_free_vgpr 3
		.amdhsa_next_free_sgpr 4
		.amdhsa_accum_offset 4
		.amdhsa_reserve_vcc 0
		.amdhsa_float_round_mode_32 0
		.amdhsa_float_round_mode_16_64 0
		.amdhsa_float_denorm_mode_32 3
		.amdhsa_float_denorm_mode_16_64 3
		.amdhsa_dx10_clamp 1
		.amdhsa_ieee_mode 1
		.amdhsa_fp16_overflow 0
		.amdhsa_tg_split 0
		.amdhsa_exception_fp_ieee_invalid_op 0
		.amdhsa_exception_fp_denorm_src 0
		.amdhsa_exception_fp_ieee_div_zero 0
		.amdhsa_exception_fp_ieee_overflow 0
		.amdhsa_exception_fp_ieee_underflow 0
		.amdhsa_exception_fp_ieee_inexact 0
		.amdhsa_exception_int_div_zero 0
	.end_amdhsa_kernel
	.section	.text._ZL18fill_initial_valueIyEvPT_S0_,"axG",@progbits,_ZL18fill_initial_valueIyEvPT_S0_,comdat
.Lfunc_end161:
	.size	_ZL18fill_initial_valueIyEvPT_S0_, .Lfunc_end161-_ZL18fill_initial_valueIyEvPT_S0_
                                        ; -- End function
	.section	.AMDGPU.csdata,"",@progbits
; Kernel info:
; codeLenInByte = 36
; NumSgprs: 10
; NumVgprs: 3
; NumAgprs: 0
; TotalNumVgprs: 3
; ScratchSize: 0
; MemoryBound: 0
; FloatMode: 240
; IeeeMode: 1
; LDSByteSize: 0 bytes/workgroup (compile time only)
; SGPRBlocks: 1
; VGPRBlocks: 0
; NumSGPRsForWavesPerEU: 10
; NumVGPRsForWavesPerEU: 3
; AccumOffset: 4
; Occupancy: 8
; WaveLimiterHint : 0
; COMPUTE_PGM_RSRC2:SCRATCH_EN: 0
; COMPUTE_PGM_RSRC2:USER_SGPR: 2
; COMPUTE_PGM_RSRC2:TRAP_HANDLER: 0
; COMPUTE_PGM_RSRC2:TGID_X_EN: 1
; COMPUTE_PGM_RSRC2:TGID_Y_EN: 0
; COMPUTE_PGM_RSRC2:TGID_Z_EN: 0
; COMPUTE_PGM_RSRC2:TIDIG_COMP_CNT: 0
; COMPUTE_PGM_RSRC3_GFX90A:ACCUM_OFFSET: 0
; COMPUTE_PGM_RSRC3_GFX90A:TG_SPLIT: 0
	.text
	.p2alignl 6, 3212836864
	.fill 256, 4, 3212836864
	.type	__hip_cuid_3a8072e9682021b3,@object ; @__hip_cuid_3a8072e9682021b3
	.section	.bss,"aw",@nobits
	.globl	__hip_cuid_3a8072e9682021b3
__hip_cuid_3a8072e9682021b3:
	.byte	0                               ; 0x0
	.size	__hip_cuid_3a8072e9682021b3, 1

	.ident	"AMD clang version 19.0.0git (https://github.com/RadeonOpenCompute/llvm-project roc-6.4.0 25133 c7fe45cf4b819c5991fe208aaa96edf142730f1d)"
	.section	".note.GNU-stack","",@progbits
	.addrsig
	.addrsig_sym __hip_cuid_3a8072e9682021b3
	.amdgpu_metadata
---
amdhsa.kernels:
  - .agpr_count:     0
    .args:
      - .address_space:  global
        .offset:         0
        .size:           8
        .value_kind:     global_buffer
      - .offset:         8
        .size:           4
        .value_kind:     by_value
      - .offset:         12
        .size:           4
        .value_kind:     by_value
      - .address_space:  global
        .offset:         16
        .size:           8
        .value_kind:     global_buffer
      - .offset:         24
        .size:           4
        .value_kind:     hidden_block_count_x
      - .offset:         28
        .size:           4
        .value_kind:     hidden_block_count_y
      - .offset:         32
        .size:           4
        .value_kind:     hidden_block_count_z
      - .offset:         36
        .size:           2
        .value_kind:     hidden_group_size_x
      - .offset:         38
        .size:           2
        .value_kind:     hidden_group_size_y
      - .offset:         40
        .size:           2
        .value_kind:     hidden_group_size_z
      - .offset:         42
        .size:           2
        .value_kind:     hidden_remainder_x
      - .offset:         44
        .size:           2
        .value_kind:     hidden_remainder_y
      - .offset:         46
        .size:           2
        .value_kind:     hidden_remainder_z
      - .offset:         64
        .size:           8
        .value_kind:     hidden_global_offset_x
      - .offset:         72
        .size:           8
        .value_kind:     hidden_global_offset_y
      - .offset:         80
        .size:           8
        .value_kind:     hidden_global_offset_z
      - .offset:         88
        .size:           2
        .value_kind:     hidden_grid_dims
    .group_segment_fixed_size: 0
    .kernarg_segment_align: 8
    .kernarg_segment_size: 280
    .language:       OpenCL C
    .language_version:
      - 2
      - 0
    .max_flat_workgroup_size: 256
    .name:           _ZN7rocprim6detail31init_lookback_scan_state_kernelINS0_19lookback_scan_stateIiLb1ELb1EEEEEvT_jjPNS4_10value_typeE
    .private_segment_fixed_size: 0
    .sgpr_count:     18
    .sgpr_spill_count: 0
    .symbol:         _ZN7rocprim6detail31init_lookback_scan_state_kernelINS0_19lookback_scan_stateIiLb1ELb1EEEEEvT_jjPNS4_10value_typeE.kd
    .uniform_work_group_size: 1
    .uses_dynamic_stack: false
    .vgpr_count:     6
    .vgpr_spill_count: 0
    .wavefront_size: 64
  - .agpr_count:     0
    .args:
      - .address_space:  global
        .offset:         0
        .size:           8
        .value_kind:     global_buffer
      - .offset:         8
        .size:           4
        .value_kind:     by_value
      - .offset:         12
        .size:           4
        .value_kind:     by_value
      - .address_space:  global
        .offset:         16
        .size:           8
        .value_kind:     global_buffer
      - .offset:         24
        .size:           4
        .value_kind:     hidden_block_count_x
      - .offset:         28
        .size:           4
        .value_kind:     hidden_block_count_y
      - .offset:         32
        .size:           4
        .value_kind:     hidden_block_count_z
      - .offset:         36
        .size:           2
        .value_kind:     hidden_group_size_x
      - .offset:         38
        .size:           2
        .value_kind:     hidden_group_size_y
      - .offset:         40
        .size:           2
        .value_kind:     hidden_group_size_z
      - .offset:         42
        .size:           2
        .value_kind:     hidden_remainder_x
      - .offset:         44
        .size:           2
        .value_kind:     hidden_remainder_y
      - .offset:         46
        .size:           2
        .value_kind:     hidden_remainder_z
      - .offset:         64
        .size:           8
        .value_kind:     hidden_global_offset_x
      - .offset:         72
        .size:           8
        .value_kind:     hidden_global_offset_y
      - .offset:         80
        .size:           8
        .value_kind:     hidden_global_offset_z
      - .offset:         88
        .size:           2
        .value_kind:     hidden_grid_dims
    .group_segment_fixed_size: 0
    .kernarg_segment_align: 8
    .kernarg_segment_size: 280
    .language:       OpenCL C
    .language_version:
      - 2
      - 0
    .max_flat_workgroup_size: 256
    .name:           _ZN7rocprim6detail31init_lookback_scan_state_kernelINS0_19lookback_scan_stateIiLb0ELb1EEEEEvT_jjPNS4_10value_typeE
    .private_segment_fixed_size: 0
    .sgpr_count:     16
    .sgpr_spill_count: 0
    .symbol:         _ZN7rocprim6detail31init_lookback_scan_state_kernelINS0_19lookback_scan_stateIiLb0ELb1EEEEEvT_jjPNS4_10value_typeE.kd
    .uniform_work_group_size: 1
    .uses_dynamic_stack: false
    .vgpr_count:     6
    .vgpr_spill_count: 0
    .wavefront_size: 64
  - .agpr_count:     0
    .args:
      - .offset:         0
        .size:           16
        .value_kind:     by_value
      - .address_space:  global
        .offset:         16
        .size:           8
        .value_kind:     global_buffer
      - .offset:         24
        .size:           8
        .value_kind:     by_value
      - .offset:         32
        .size:           4
        .value_kind:     by_value
      - .offset:         36
        .size:           1
        .value_kind:     by_value
      - .address_space:  global
        .offset:         40
        .size:           8
        .value_kind:     global_buffer
      - .offset:         48
        .size:           4
        .value_kind:     by_value
      - .address_space:  global
        .offset:         56
        .size:           8
        .value_kind:     global_buffer
      - .address_space:  global
        .offset:         64
        .size:           8
        .value_kind:     global_buffer
      - .offset:         72
        .size:           1
        .value_kind:     by_value
      - .offset:         73
        .size:           1
        .value_kind:     by_value
    .group_segment_fixed_size: 0
    .kernarg_segment_align: 8
    .kernarg_segment_size: 76
    .language:       OpenCL C
    .language_version:
      - 2
      - 0
    .max_flat_workgroup_size: 256
    .name:           _ZN7rocprim6detail20lookback_scan_kernelILNS0_25lookback_scan_determinismE0ELb0ENS0_19wrapped_scan_configINS_14default_configEiEEN6hipcub22TransformInputIteratorIiNS6_6CastOpIiEEPilEEPlNS6_3SumEiiNS0_19lookback_scan_stateIiLb1ELb1EEEEEvT2_T3_mT5_T4_T7_jPT6_SM_bb
    .private_segment_fixed_size: 0
    .sgpr_count:     6
    .sgpr_spill_count: 0
    .symbol:         _ZN7rocprim6detail20lookback_scan_kernelILNS0_25lookback_scan_determinismE0ELb0ENS0_19wrapped_scan_configINS_14default_configEiEEN6hipcub22TransformInputIteratorIiNS6_6CastOpIiEEPilEEPlNS6_3SumEiiNS0_19lookback_scan_stateIiLb1ELb1EEEEEvT2_T3_mT5_T4_T7_jPT6_SM_bb.kd
    .uniform_work_group_size: 1
    .uses_dynamic_stack: false
    .vgpr_count:     0
    .vgpr_spill_count: 0
    .wavefront_size: 64
  - .agpr_count:     0
    .args:
      - .offset:         0
        .size:           16
        .value_kind:     by_value
      - .address_space:  global
        .offset:         16
        .size:           8
        .value_kind:     global_buffer
      - .offset:         24
        .size:           8
        .value_kind:     by_value
      - .offset:         32
        .size:           4
        .value_kind:     by_value
      - .offset:         36
        .size:           1
        .value_kind:     by_value
      - .address_space:  global
        .offset:         40
        .size:           8
        .value_kind:     global_buffer
      - .offset:         48
        .size:           4
        .value_kind:     by_value
      - .address_space:  global
        .offset:         56
        .size:           8
        .value_kind:     global_buffer
      - .address_space:  global
        .offset:         64
        .size:           8
        .value_kind:     global_buffer
      - .offset:         72
        .size:           1
        .value_kind:     by_value
      - .offset:         73
        .size:           1
        .value_kind:     by_value
    .group_segment_fixed_size: 21504
    .kernarg_segment_align: 8
    .kernarg_segment_size: 76
    .language:       OpenCL C
    .language_version:
      - 2
      - 0
    .max_flat_workgroup_size: 256
    .name:           _ZN7rocprim6detail20lookback_scan_kernelILNS0_25lookback_scan_determinismE0ELb0ENS0_19wrapped_scan_configINS_14default_configEiEEN6hipcub22TransformInputIteratorIiNS6_6CastOpIiEEPilEEPlNS6_3SumEiiNS0_19lookback_scan_stateIiLb0ELb1EEEEEvT2_T3_mT5_T4_T7_jPT6_SM_bb
    .private_segment_fixed_size: 0
    .sgpr_count:     30
    .sgpr_spill_count: 0
    .symbol:         _ZN7rocprim6detail20lookback_scan_kernelILNS0_25lookback_scan_determinismE0ELb0ENS0_19wrapped_scan_configINS_14default_configEiEEN6hipcub22TransformInputIteratorIiNS6_6CastOpIiEEPilEEPlNS6_3SumEiiNS0_19lookback_scan_stateIiLb0ELb1EEEEEvT2_T3_mT5_T4_T7_jPT6_SM_bb.kd
    .uniform_work_group_size: 1
    .uses_dynamic_stack: false
    .vgpr_count:     70
    .vgpr_spill_count: 0
    .wavefront_size: 64
  - .agpr_count:     0
    .args:
      - .address_space:  global
        .offset:         0
        .size:           8
        .value_kind:     global_buffer
      - .offset:         8
        .size:           8
        .value_kind:     by_value
      - .address_space:  global
        .offset:         16
        .size:           8
        .value_kind:     global_buffer
      - .offset:         24
        .size:           1
        .value_kind:     by_value
      - .offset:         32
        .size:           4
        .value_kind:     hidden_block_count_x
      - .offset:         36
        .size:           4
        .value_kind:     hidden_block_count_y
      - .offset:         40
        .size:           4
        .value_kind:     hidden_block_count_z
      - .offset:         44
        .size:           2
        .value_kind:     hidden_group_size_x
      - .offset:         46
        .size:           2
        .value_kind:     hidden_group_size_y
      - .offset:         48
        .size:           2
        .value_kind:     hidden_group_size_z
      - .offset:         50
        .size:           2
        .value_kind:     hidden_remainder_x
      - .offset:         52
        .size:           2
        .value_kind:     hidden_remainder_y
      - .offset:         54
        .size:           2
        .value_kind:     hidden_remainder_z
      - .offset:         72
        .size:           8
        .value_kind:     hidden_global_offset_x
      - .offset:         80
        .size:           8
        .value_kind:     hidden_global_offset_y
      - .offset:         88
        .size:           8
        .value_kind:     hidden_global_offset_z
      - .offset:         96
        .size:           2
        .value_kind:     hidden_grid_dims
    .group_segment_fixed_size: 0
    .kernarg_segment_align: 8
    .kernarg_segment_size: 288
    .language:       OpenCL C
    .language_version:
      - 2
      - 0
    .max_flat_workgroup_size: 256
    .name:           _ZN7rocprim6detail16transform_kernelINS0_24wrapped_transform_configINS_14default_configEiEEiPiS5_NS_8identityIiEEEEvT1_mT2_T3_
    .private_segment_fixed_size: 0
    .sgpr_count:     20
    .sgpr_spill_count: 0
    .symbol:         _ZN7rocprim6detail16transform_kernelINS0_24wrapped_transform_configINS_14default_configEiEEiPiS5_NS_8identityIiEEEEvT1_mT2_T3_.kd
    .uniform_work_group_size: 1
    .uses_dynamic_stack: false
    .vgpr_count:     10
    .vgpr_spill_count: 0
    .wavefront_size: 64
  - .agpr_count:     0
    .args:
      - .offset:         0
        .size:           16
        .value_kind:     by_value
      - .offset:         16
        .size:           8
        .value_kind:     by_value
      - .offset:         24
        .size:           4
        .value_kind:     by_value
      - .address_space:  global
        .offset:         32
        .size:           8
        .value_kind:     global_buffer
      - .offset:         40
        .size:           1
        .value_kind:     by_value
    .group_segment_fixed_size: 21504
    .kernarg_segment_align: 8
    .kernarg_segment_size: 44
    .language:       OpenCL C
    .language_version:
      - 2
      - 0
    .max_flat_workgroup_size: 256
    .name:           _ZN7rocprim6detail18single_scan_kernelILb0ENS0_19wrapped_scan_configINS_14default_configEiEEN6hipcub22TransformInputIteratorIiNS5_6CastOpIiEEPilEEPlNS5_3SumEiiEEvT1_mT4_T2_T3_
    .private_segment_fixed_size: 0
    .sgpr_count:     54
    .sgpr_spill_count: 0
    .symbol:         _ZN7rocprim6detail18single_scan_kernelILb0ENS0_19wrapped_scan_configINS_14default_configEiEEN6hipcub22TransformInputIteratorIiNS5_6CastOpIiEEPilEEPlNS5_3SumEiiEEvT1_mT4_T2_T3_.kd
    .uniform_work_group_size: 1
    .uses_dynamic_stack: false
    .vgpr_count:     29
    .vgpr_spill_count: 0
    .wavefront_size: 64
  - .agpr_count:     0
    .args:
      - .address_space:  global
        .offset:         0
        .size:           8
        .value_kind:     global_buffer
      - .offset:         8
        .size:           4
        .value_kind:     by_value
      - .offset:         12
        .size:           4
        .value_kind:     by_value
      - .address_space:  global
        .offset:         16
        .size:           8
        .value_kind:     global_buffer
      - .offset:         24
        .size:           4
        .value_kind:     hidden_block_count_x
      - .offset:         28
        .size:           4
        .value_kind:     hidden_block_count_y
      - .offset:         32
        .size:           4
        .value_kind:     hidden_block_count_z
      - .offset:         36
        .size:           2
        .value_kind:     hidden_group_size_x
      - .offset:         38
        .size:           2
        .value_kind:     hidden_group_size_y
      - .offset:         40
        .size:           2
        .value_kind:     hidden_group_size_z
      - .offset:         42
        .size:           2
        .value_kind:     hidden_remainder_x
      - .offset:         44
        .size:           2
        .value_kind:     hidden_remainder_y
      - .offset:         46
        .size:           2
        .value_kind:     hidden_remainder_z
      - .offset:         64
        .size:           8
        .value_kind:     hidden_global_offset_x
      - .offset:         72
        .size:           8
        .value_kind:     hidden_global_offset_y
      - .offset:         80
        .size:           8
        .value_kind:     hidden_global_offset_z
      - .offset:         88
        .size:           2
        .value_kind:     hidden_grid_dims
    .group_segment_fixed_size: 0
    .kernarg_segment_align: 8
    .kernarg_segment_size: 280
    .language:       OpenCL C
    .language_version:
      - 2
      - 0
    .max_flat_workgroup_size: 256
    .name:           _ZN7rocprim6detail31init_lookback_scan_state_kernelINS0_19lookback_scan_stateI6__halfLb1ELb1EEEEEvT_jjPNS5_10value_typeE
    .private_segment_fixed_size: 0
    .sgpr_count:     18
    .sgpr_spill_count: 0
    .symbol:         _ZN7rocprim6detail31init_lookback_scan_state_kernelINS0_19lookback_scan_stateI6__halfLb1ELb1EEEEEvT_jjPNS5_10value_typeE.kd
    .uniform_work_group_size: 1
    .uses_dynamic_stack: false
    .vgpr_count:     6
    .vgpr_spill_count: 0
    .wavefront_size: 64
  - .agpr_count:     0
    .args:
      - .address_space:  global
        .offset:         0
        .size:           8
        .value_kind:     global_buffer
      - .offset:         8
        .size:           4
        .value_kind:     by_value
      - .offset:         12
        .size:           4
        .value_kind:     by_value
      - .address_space:  global
        .offset:         16
        .size:           8
        .value_kind:     global_buffer
      - .offset:         24
        .size:           4
        .value_kind:     hidden_block_count_x
      - .offset:         28
        .size:           4
        .value_kind:     hidden_block_count_y
      - .offset:         32
        .size:           4
        .value_kind:     hidden_block_count_z
      - .offset:         36
        .size:           2
        .value_kind:     hidden_group_size_x
      - .offset:         38
        .size:           2
        .value_kind:     hidden_group_size_y
      - .offset:         40
        .size:           2
        .value_kind:     hidden_group_size_z
      - .offset:         42
        .size:           2
        .value_kind:     hidden_remainder_x
      - .offset:         44
        .size:           2
        .value_kind:     hidden_remainder_y
      - .offset:         46
        .size:           2
        .value_kind:     hidden_remainder_z
      - .offset:         64
        .size:           8
        .value_kind:     hidden_global_offset_x
      - .offset:         72
        .size:           8
        .value_kind:     hidden_global_offset_y
      - .offset:         80
        .size:           8
        .value_kind:     hidden_global_offset_z
      - .offset:         88
        .size:           2
        .value_kind:     hidden_grid_dims
    .group_segment_fixed_size: 0
    .kernarg_segment_align: 8
    .kernarg_segment_size: 280
    .language:       OpenCL C
    .language_version:
      - 2
      - 0
    .max_flat_workgroup_size: 256
    .name:           _ZN7rocprim6detail31init_lookback_scan_state_kernelINS0_19lookback_scan_stateI6__halfLb0ELb1EEEEEvT_jjPNS5_10value_typeE
    .private_segment_fixed_size: 0
    .sgpr_count:     16
    .sgpr_spill_count: 0
    .symbol:         _ZN7rocprim6detail31init_lookback_scan_state_kernelINS0_19lookback_scan_stateI6__halfLb0ELb1EEEEEvT_jjPNS5_10value_typeE.kd
    .uniform_work_group_size: 1
    .uses_dynamic_stack: false
    .vgpr_count:     6
    .vgpr_spill_count: 0
    .wavefront_size: 64
  - .agpr_count:     0
    .args:
      - .address_space:  global
        .offset:         0
        .size:           8
        .value_kind:     global_buffer
      - .address_space:  global
        .offset:         8
        .size:           8
        .value_kind:     global_buffer
      - .offset:         16
        .size:           8
        .value_kind:     by_value
      - .offset:         24
        .size:           2
        .value_kind:     by_value
      - .offset:         26
        .size:           1
        .value_kind:     by_value
      - .address_space:  global
        .offset:         32
        .size:           8
        .value_kind:     global_buffer
      - .offset:         40
        .size:           4
        .value_kind:     by_value
      - .address_space:  global
        .offset:         48
        .size:           8
        .value_kind:     global_buffer
      - .address_space:  global
        .offset:         56
        .size:           8
        .value_kind:     global_buffer
      - .offset:         64
        .size:           1
        .value_kind:     by_value
      - .offset:         65
        .size:           1
        .value_kind:     by_value
    .group_segment_fixed_size: 0
    .kernarg_segment_align: 8
    .kernarg_segment_size: 68
    .language:       OpenCL C
    .language_version:
      - 2
      - 0
    .max_flat_workgroup_size: 256
    .name:           _ZN7rocprim6detail20lookback_scan_kernelILNS0_25lookback_scan_determinismE0ELb0ENS0_19wrapped_scan_configINS_14default_configE6__halfEEPS5_S7_N6hipcub3MaxES5_S5_NS0_19lookback_scan_stateIS5_Lb1ELb1EEEEEvT2_T3_mT5_T4_T7_jPT6_SI_bb
    .private_segment_fixed_size: 0
    .sgpr_count:     6
    .sgpr_spill_count: 0
    .symbol:         _ZN7rocprim6detail20lookback_scan_kernelILNS0_25lookback_scan_determinismE0ELb0ENS0_19wrapped_scan_configINS_14default_configE6__halfEEPS5_S7_N6hipcub3MaxES5_S5_NS0_19lookback_scan_stateIS5_Lb1ELb1EEEEEvT2_T3_mT5_T4_T7_jPT6_SI_bb.kd
    .uniform_work_group_size: 1
    .uses_dynamic_stack: false
    .vgpr_count:     0
    .vgpr_spill_count: 0
    .wavefront_size: 64
  - .agpr_count:     0
    .args:
      - .address_space:  global
        .offset:         0
        .size:           8
        .value_kind:     global_buffer
      - .address_space:  global
        .offset:         8
        .size:           8
        .value_kind:     global_buffer
      - .offset:         16
        .size:           8
        .value_kind:     by_value
      - .offset:         24
        .size:           2
        .value_kind:     by_value
      - .offset:         26
        .size:           1
        .value_kind:     by_value
      - .address_space:  global
        .offset:         32
        .size:           8
        .value_kind:     global_buffer
      - .offset:         40
        .size:           4
        .value_kind:     by_value
      - .address_space:  global
        .offset:         48
        .size:           8
        .value_kind:     global_buffer
      - .address_space:  global
        .offset:         56
        .size:           8
        .value_kind:     global_buffer
      - .offset:         64
        .size:           1
        .value_kind:     by_value
      - .offset:         65
        .size:           1
        .value_kind:     by_value
    .group_segment_fixed_size: 12288
    .kernarg_segment_align: 8
    .kernarg_segment_size: 68
    .language:       OpenCL C
    .language_version:
      - 2
      - 0
    .max_flat_workgroup_size: 256
    .name:           _ZN7rocprim6detail20lookback_scan_kernelILNS0_25lookback_scan_determinismE0ELb0ENS0_19wrapped_scan_configINS_14default_configE6__halfEEPS5_S7_N6hipcub3MaxES5_S5_NS0_19lookback_scan_stateIS5_Lb0ELb1EEEEEvT2_T3_mT5_T4_T7_jPT6_SI_bb
    .private_segment_fixed_size: 0
    .sgpr_count:     36
    .sgpr_spill_count: 0
    .symbol:         _ZN7rocprim6detail20lookback_scan_kernelILNS0_25lookback_scan_determinismE0ELb0ENS0_19wrapped_scan_configINS_14default_configE6__halfEEPS5_S7_N6hipcub3MaxES5_S5_NS0_19lookback_scan_stateIS5_Lb0ELb1EEEEEvT2_T3_mT5_T4_T7_jPT6_SI_bb.kd
    .uniform_work_group_size: 1
    .uses_dynamic_stack: false
    .vgpr_count:     59
    .vgpr_spill_count: 0
    .wavefront_size: 64
  - .agpr_count:     0
    .args:
      - .address_space:  global
        .offset:         0
        .size:           8
        .value_kind:     global_buffer
      - .offset:         8
        .size:           8
        .value_kind:     by_value
      - .address_space:  global
        .offset:         16
        .size:           8
        .value_kind:     global_buffer
      - .offset:         24
        .size:           1
        .value_kind:     by_value
      - .offset:         32
        .size:           4
        .value_kind:     hidden_block_count_x
      - .offset:         36
        .size:           4
        .value_kind:     hidden_block_count_y
      - .offset:         40
        .size:           4
        .value_kind:     hidden_block_count_z
      - .offset:         44
        .size:           2
        .value_kind:     hidden_group_size_x
      - .offset:         46
        .size:           2
        .value_kind:     hidden_group_size_y
      - .offset:         48
        .size:           2
        .value_kind:     hidden_group_size_z
      - .offset:         50
        .size:           2
        .value_kind:     hidden_remainder_x
      - .offset:         52
        .size:           2
        .value_kind:     hidden_remainder_y
      - .offset:         54
        .size:           2
        .value_kind:     hidden_remainder_z
      - .offset:         72
        .size:           8
        .value_kind:     hidden_global_offset_x
      - .offset:         80
        .size:           8
        .value_kind:     hidden_global_offset_y
      - .offset:         88
        .size:           8
        .value_kind:     hidden_global_offset_z
      - .offset:         96
        .size:           2
        .value_kind:     hidden_grid_dims
    .group_segment_fixed_size: 0
    .kernarg_segment_align: 8
    .kernarg_segment_size: 288
    .language:       OpenCL C
    .language_version:
      - 2
      - 0
    .max_flat_workgroup_size: 128
    .name:           _ZN7rocprim6detail16transform_kernelINS0_24wrapped_transform_configINS_14default_configE6__halfEES4_PS4_S6_NS_8identityIS4_EEEEvT1_mT2_T3_
    .private_segment_fixed_size: 0
    .sgpr_count:     44
    .sgpr_spill_count: 0
    .symbol:         _ZN7rocprim6detail16transform_kernelINS0_24wrapped_transform_configINS_14default_configE6__halfEES4_PS4_S6_NS_8identityIS4_EEEEvT1_mT2_T3_.kd
    .uniform_work_group_size: 1
    .uses_dynamic_stack: false
    .vgpr_count:     22
    .vgpr_spill_count: 0
    .wavefront_size: 64
  - .agpr_count:     0
    .args:
      - .address_space:  global
        .offset:         0
        .size:           8
        .value_kind:     global_buffer
      - .offset:         8
        .size:           8
        .value_kind:     by_value
      - .offset:         16
        .size:           2
        .value_kind:     by_value
      - .address_space:  global
        .offset:         24
        .size:           8
        .value_kind:     global_buffer
      - .offset:         32
        .size:           1
        .value_kind:     by_value
    .group_segment_fixed_size: 12288
    .kernarg_segment_align: 8
    .kernarg_segment_size: 36
    .language:       OpenCL C
    .language_version:
      - 2
      - 0
    .max_flat_workgroup_size: 256
    .name:           _ZN7rocprim6detail18single_scan_kernelILb0ENS0_19wrapped_scan_configINS_14default_configE6__halfEEPS4_S6_N6hipcub3MaxES4_S4_EEvT1_mT4_T2_T3_
    .private_segment_fixed_size: 0
    .sgpr_count:     62
    .sgpr_spill_count: 0
    .symbol:         _ZN7rocprim6detail18single_scan_kernelILb0ENS0_19wrapped_scan_configINS_14default_configE6__halfEEPS4_S6_N6hipcub3MaxES4_S4_EEvT1_mT4_T2_T3_.kd
    .uniform_work_group_size: 1
    .uses_dynamic_stack: false
    .vgpr_count:     33
    .vgpr_spill_count: 0
    .wavefront_size: 64
  - .agpr_count:     0
    .args:
      - .address_space:  global
        .offset:         0
        .size:           8
        .value_kind:     global_buffer
      - .offset:         8
        .size:           4
        .value_kind:     by_value
      - .offset:         12
        .size:           4
        .value_kind:     by_value
      - .address_space:  global
        .offset:         16
        .size:           8
        .value_kind:     global_buffer
      - .offset:         24
        .size:           4
        .value_kind:     hidden_block_count_x
      - .offset:         28
        .size:           4
        .value_kind:     hidden_block_count_y
      - .offset:         32
        .size:           4
        .value_kind:     hidden_block_count_z
      - .offset:         36
        .size:           2
        .value_kind:     hidden_group_size_x
      - .offset:         38
        .size:           2
        .value_kind:     hidden_group_size_y
      - .offset:         40
        .size:           2
        .value_kind:     hidden_group_size_z
      - .offset:         42
        .size:           2
        .value_kind:     hidden_remainder_x
      - .offset:         44
        .size:           2
        .value_kind:     hidden_remainder_y
      - .offset:         46
        .size:           2
        .value_kind:     hidden_remainder_z
      - .offset:         64
        .size:           8
        .value_kind:     hidden_global_offset_x
      - .offset:         72
        .size:           8
        .value_kind:     hidden_global_offset_y
      - .offset:         80
        .size:           8
        .value_kind:     hidden_global_offset_z
      - .offset:         88
        .size:           2
        .value_kind:     hidden_grid_dims
    .group_segment_fixed_size: 0
    .kernarg_segment_align: 8
    .kernarg_segment_size: 280
    .language:       OpenCL C
    .language_version:
      - 2
      - 0
    .max_flat_workgroup_size: 256
    .name:           _ZN7rocprim6detail31init_lookback_scan_state_kernelINS0_19lookback_scan_stateI12hip_bfloat16Lb1ELb1EEEEEvT_jjPNS5_10value_typeE
    .private_segment_fixed_size: 0
    .sgpr_count:     18
    .sgpr_spill_count: 0
    .symbol:         _ZN7rocprim6detail31init_lookback_scan_state_kernelINS0_19lookback_scan_stateI12hip_bfloat16Lb1ELb1EEEEEvT_jjPNS5_10value_typeE.kd
    .uniform_work_group_size: 1
    .uses_dynamic_stack: false
    .vgpr_count:     6
    .vgpr_spill_count: 0
    .wavefront_size: 64
  - .agpr_count:     0
    .args:
      - .address_space:  global
        .offset:         0
        .size:           8
        .value_kind:     global_buffer
      - .offset:         8
        .size:           4
        .value_kind:     by_value
      - .offset:         12
        .size:           4
        .value_kind:     by_value
      - .address_space:  global
        .offset:         16
        .size:           8
        .value_kind:     global_buffer
      - .offset:         24
        .size:           4
        .value_kind:     hidden_block_count_x
      - .offset:         28
        .size:           4
        .value_kind:     hidden_block_count_y
      - .offset:         32
        .size:           4
        .value_kind:     hidden_block_count_z
      - .offset:         36
        .size:           2
        .value_kind:     hidden_group_size_x
      - .offset:         38
        .size:           2
        .value_kind:     hidden_group_size_y
      - .offset:         40
        .size:           2
        .value_kind:     hidden_group_size_z
      - .offset:         42
        .size:           2
        .value_kind:     hidden_remainder_x
      - .offset:         44
        .size:           2
        .value_kind:     hidden_remainder_y
      - .offset:         46
        .size:           2
        .value_kind:     hidden_remainder_z
      - .offset:         64
        .size:           8
        .value_kind:     hidden_global_offset_x
      - .offset:         72
        .size:           8
        .value_kind:     hidden_global_offset_y
      - .offset:         80
        .size:           8
        .value_kind:     hidden_global_offset_z
      - .offset:         88
        .size:           2
        .value_kind:     hidden_grid_dims
    .group_segment_fixed_size: 0
    .kernarg_segment_align: 8
    .kernarg_segment_size: 280
    .language:       OpenCL C
    .language_version:
      - 2
      - 0
    .max_flat_workgroup_size: 256
    .name:           _ZN7rocprim6detail31init_lookback_scan_state_kernelINS0_19lookback_scan_stateI12hip_bfloat16Lb0ELb1EEEEEvT_jjPNS5_10value_typeE
    .private_segment_fixed_size: 0
    .sgpr_count:     16
    .sgpr_spill_count: 0
    .symbol:         _ZN7rocprim6detail31init_lookback_scan_state_kernelINS0_19lookback_scan_stateI12hip_bfloat16Lb0ELb1EEEEEvT_jjPNS5_10value_typeE.kd
    .uniform_work_group_size: 1
    .uses_dynamic_stack: false
    .vgpr_count:     6
    .vgpr_spill_count: 0
    .wavefront_size: 64
  - .agpr_count:     0
    .args:
      - .address_space:  global
        .offset:         0
        .size:           8
        .value_kind:     global_buffer
      - .address_space:  global
        .offset:         8
        .size:           8
        .value_kind:     global_buffer
      - .offset:         16
        .size:           8
        .value_kind:     by_value
      - .offset:         24
        .size:           2
        .value_kind:     by_value
      - .offset:         26
        .size:           1
        .value_kind:     by_value
      - .address_space:  global
        .offset:         32
        .size:           8
        .value_kind:     global_buffer
      - .offset:         40
        .size:           4
        .value_kind:     by_value
      - .address_space:  global
        .offset:         48
        .size:           8
        .value_kind:     global_buffer
      - .address_space:  global
        .offset:         56
        .size:           8
        .value_kind:     global_buffer
      - .offset:         64
        .size:           1
        .value_kind:     by_value
      - .offset:         65
        .size:           1
        .value_kind:     by_value
    .group_segment_fixed_size: 0
    .kernarg_segment_align: 8
    .kernarg_segment_size: 68
    .language:       OpenCL C
    .language_version:
      - 2
      - 0
    .max_flat_workgroup_size: 256
    .name:           _ZN7rocprim6detail20lookback_scan_kernelILNS0_25lookback_scan_determinismE0ELb0ENS0_19wrapped_scan_configINS_14default_configE12hip_bfloat16EEPS5_S7_N6hipcub3MaxES5_S5_NS0_19lookback_scan_stateIS5_Lb1ELb1EEEEEvT2_T3_mT5_T4_T7_jPT6_SI_bb
    .private_segment_fixed_size: 0
    .sgpr_count:     6
    .sgpr_spill_count: 0
    .symbol:         _ZN7rocprim6detail20lookback_scan_kernelILNS0_25lookback_scan_determinismE0ELb0ENS0_19wrapped_scan_configINS_14default_configE12hip_bfloat16EEPS5_S7_N6hipcub3MaxES5_S5_NS0_19lookback_scan_stateIS5_Lb1ELb1EEEEEvT2_T3_mT5_T4_T7_jPT6_SI_bb.kd
    .uniform_work_group_size: 1
    .uses_dynamic_stack: false
    .vgpr_count:     0
    .vgpr_spill_count: 0
    .wavefront_size: 64
  - .agpr_count:     0
    .args:
      - .address_space:  global
        .offset:         0
        .size:           8
        .value_kind:     global_buffer
      - .address_space:  global
        .offset:         8
        .size:           8
        .value_kind:     global_buffer
      - .offset:         16
        .size:           8
        .value_kind:     by_value
      - .offset:         24
        .size:           2
        .value_kind:     by_value
      - .offset:         26
        .size:           1
        .value_kind:     by_value
      - .address_space:  global
        .offset:         32
        .size:           8
        .value_kind:     global_buffer
      - .offset:         40
        .size:           4
        .value_kind:     by_value
      - .address_space:  global
        .offset:         48
        .size:           8
        .value_kind:     global_buffer
      - .address_space:  global
        .offset:         56
        .size:           8
        .value_kind:     global_buffer
      - .offset:         64
        .size:           1
        .value_kind:     by_value
      - .offset:         65
        .size:           1
        .value_kind:     by_value
    .group_segment_fixed_size: 12288
    .kernarg_segment_align: 8
    .kernarg_segment_size: 68
    .language:       OpenCL C
    .language_version:
      - 2
      - 0
    .max_flat_workgroup_size: 256
    .name:           _ZN7rocprim6detail20lookback_scan_kernelILNS0_25lookback_scan_determinismE0ELb0ENS0_19wrapped_scan_configINS_14default_configE12hip_bfloat16EEPS5_S7_N6hipcub3MaxES5_S5_NS0_19lookback_scan_stateIS5_Lb0ELb1EEEEEvT2_T3_mT5_T4_T7_jPT6_SI_bb
    .private_segment_fixed_size: 0
    .sgpr_count:     36
    .sgpr_spill_count: 0
    .symbol:         _ZN7rocprim6detail20lookback_scan_kernelILNS0_25lookback_scan_determinismE0ELb0ENS0_19wrapped_scan_configINS_14default_configE12hip_bfloat16EEPS5_S7_N6hipcub3MaxES5_S5_NS0_19lookback_scan_stateIS5_Lb0ELb1EEEEEvT2_T3_mT5_T4_T7_jPT6_SI_bb.kd
    .uniform_work_group_size: 1
    .uses_dynamic_stack: false
    .vgpr_count:     84
    .vgpr_spill_count: 0
    .wavefront_size: 64
  - .agpr_count:     0
    .args:
      - .address_space:  global
        .offset:         0
        .size:           8
        .value_kind:     global_buffer
      - .offset:         8
        .size:           8
        .value_kind:     by_value
      - .address_space:  global
        .offset:         16
        .size:           8
        .value_kind:     global_buffer
      - .offset:         24
        .size:           1
        .value_kind:     by_value
      - .offset:         32
        .size:           4
        .value_kind:     hidden_block_count_x
      - .offset:         36
        .size:           4
        .value_kind:     hidden_block_count_y
      - .offset:         40
        .size:           4
        .value_kind:     hidden_block_count_z
      - .offset:         44
        .size:           2
        .value_kind:     hidden_group_size_x
      - .offset:         46
        .size:           2
        .value_kind:     hidden_group_size_y
      - .offset:         48
        .size:           2
        .value_kind:     hidden_group_size_z
      - .offset:         50
        .size:           2
        .value_kind:     hidden_remainder_x
      - .offset:         52
        .size:           2
        .value_kind:     hidden_remainder_y
      - .offset:         54
        .size:           2
        .value_kind:     hidden_remainder_z
      - .offset:         72
        .size:           8
        .value_kind:     hidden_global_offset_x
      - .offset:         80
        .size:           8
        .value_kind:     hidden_global_offset_y
      - .offset:         88
        .size:           8
        .value_kind:     hidden_global_offset_z
      - .offset:         96
        .size:           2
        .value_kind:     hidden_grid_dims
    .group_segment_fixed_size: 0
    .kernarg_segment_align: 8
    .kernarg_segment_size: 288
    .language:       OpenCL C
    .language_version:
      - 2
      - 0
    .max_flat_workgroup_size: 128
    .name:           _ZN7rocprim6detail16transform_kernelINS0_24wrapped_transform_configINS_14default_configE12hip_bfloat16EES4_PS4_S6_NS_8identityIS4_EEEEvT1_mT2_T3_
    .private_segment_fixed_size: 0
    .sgpr_count:     44
    .sgpr_spill_count: 0
    .symbol:         _ZN7rocprim6detail16transform_kernelINS0_24wrapped_transform_configINS_14default_configE12hip_bfloat16EES4_PS4_S6_NS_8identityIS4_EEEEvT1_mT2_T3_.kd
    .uniform_work_group_size: 1
    .uses_dynamic_stack: false
    .vgpr_count:     22
    .vgpr_spill_count: 0
    .wavefront_size: 64
  - .agpr_count:     0
    .args:
      - .address_space:  global
        .offset:         0
        .size:           8
        .value_kind:     global_buffer
      - .offset:         8
        .size:           8
        .value_kind:     by_value
      - .offset:         16
        .size:           2
        .value_kind:     by_value
      - .address_space:  global
        .offset:         24
        .size:           8
        .value_kind:     global_buffer
      - .offset:         32
        .size:           1
        .value_kind:     by_value
    .group_segment_fixed_size: 12288
    .kernarg_segment_align: 8
    .kernarg_segment_size: 36
    .language:       OpenCL C
    .language_version:
      - 2
      - 0
    .max_flat_workgroup_size: 256
    .name:           _ZN7rocprim6detail18single_scan_kernelILb0ENS0_19wrapped_scan_configINS_14default_configE12hip_bfloat16EEPS4_S6_N6hipcub3MaxES4_S4_EEvT1_mT4_T2_T3_
    .private_segment_fixed_size: 0
    .sgpr_count:     62
    .sgpr_spill_count: 0
    .symbol:         _ZN7rocprim6detail18single_scan_kernelILb0ENS0_19wrapped_scan_configINS_14default_configE12hip_bfloat16EEPS4_S6_N6hipcub3MaxES4_S4_EEvT1_mT4_T2_T3_.kd
    .uniform_work_group_size: 1
    .uses_dynamic_stack: false
    .vgpr_count:     60
    .vgpr_spill_count: 0
    .wavefront_size: 64
  - .agpr_count:     0
    .args:
      - .offset:         0
        .size:           16
        .value_kind:     by_value
      - .address_space:  global
        .offset:         16
        .size:           8
        .value_kind:     global_buffer
      - .offset:         24
        .size:           8
        .value_kind:     by_value
      - .offset:         32
        .size:           4
        .value_kind:     by_value
      - .offset:         36
        .size:           1
        .value_kind:     by_value
      - .address_space:  global
        .offset:         40
        .size:           8
        .value_kind:     global_buffer
      - .offset:         48
        .size:           4
        .value_kind:     by_value
      - .address_space:  global
        .offset:         56
        .size:           8
        .value_kind:     global_buffer
      - .address_space:  global
        .offset:         64
        .size:           8
        .value_kind:     global_buffer
      - .offset:         72
        .size:           1
        .value_kind:     by_value
      - .offset:         73
        .size:           1
        .value_kind:     by_value
    .group_segment_fixed_size: 0
    .kernarg_segment_align: 8
    .kernarg_segment_size: 76
    .language:       OpenCL C
    .language_version:
      - 2
      - 0
    .max_flat_workgroup_size: 256
    .name:           _ZN7rocprim6detail20lookback_scan_kernelILNS0_25lookback_scan_determinismE0ELb0ENS0_19wrapped_scan_configINS_14default_configEiEEN6hipcub22TransformInputIteratorIiNS6_6CastOpIiEEPilEEPdNS6_3SumEiiNS0_19lookback_scan_stateIiLb1ELb1EEEEEvT2_T3_mT5_T4_T7_jPT6_SM_bb
    .private_segment_fixed_size: 0
    .sgpr_count:     6
    .sgpr_spill_count: 0
    .symbol:         _ZN7rocprim6detail20lookback_scan_kernelILNS0_25lookback_scan_determinismE0ELb0ENS0_19wrapped_scan_configINS_14default_configEiEEN6hipcub22TransformInputIteratorIiNS6_6CastOpIiEEPilEEPdNS6_3SumEiiNS0_19lookback_scan_stateIiLb1ELb1EEEEEvT2_T3_mT5_T4_T7_jPT6_SM_bb.kd
    .uniform_work_group_size: 1
    .uses_dynamic_stack: false
    .vgpr_count:     0
    .vgpr_spill_count: 0
    .wavefront_size: 64
  - .agpr_count:     0
    .args:
      - .offset:         0
        .size:           16
        .value_kind:     by_value
      - .address_space:  global
        .offset:         16
        .size:           8
        .value_kind:     global_buffer
      - .offset:         24
        .size:           8
        .value_kind:     by_value
      - .offset:         32
        .size:           4
        .value_kind:     by_value
      - .offset:         36
        .size:           1
        .value_kind:     by_value
      - .address_space:  global
        .offset:         40
        .size:           8
        .value_kind:     global_buffer
      - .offset:         48
        .size:           4
        .value_kind:     by_value
      - .address_space:  global
        .offset:         56
        .size:           8
        .value_kind:     global_buffer
      - .address_space:  global
        .offset:         64
        .size:           8
        .value_kind:     global_buffer
      - .offset:         72
        .size:           1
        .value_kind:     by_value
      - .offset:         73
        .size:           1
        .value_kind:     by_value
    .group_segment_fixed_size: 21504
    .kernarg_segment_align: 8
    .kernarg_segment_size: 76
    .language:       OpenCL C
    .language_version:
      - 2
      - 0
    .max_flat_workgroup_size: 256
    .name:           _ZN7rocprim6detail20lookback_scan_kernelILNS0_25lookback_scan_determinismE0ELb0ENS0_19wrapped_scan_configINS_14default_configEiEEN6hipcub22TransformInputIteratorIiNS6_6CastOpIiEEPilEEPdNS6_3SumEiiNS0_19lookback_scan_stateIiLb0ELb1EEEEEvT2_T3_mT5_T4_T7_jPT6_SM_bb
    .private_segment_fixed_size: 0
    .sgpr_count:     30
    .sgpr_spill_count: 0
    .symbol:         _ZN7rocprim6detail20lookback_scan_kernelILNS0_25lookback_scan_determinismE0ELb0ENS0_19wrapped_scan_configINS_14default_configEiEEN6hipcub22TransformInputIteratorIiNS6_6CastOpIiEEPilEEPdNS6_3SumEiiNS0_19lookback_scan_stateIiLb0ELb1EEEEEvT2_T3_mT5_T4_T7_jPT6_SM_bb.kd
    .uniform_work_group_size: 1
    .uses_dynamic_stack: false
    .vgpr_count:     52
    .vgpr_spill_count: 0
    .wavefront_size: 64
  - .agpr_count:     0
    .args:
      - .offset:         0
        .size:           16
        .value_kind:     by_value
      - .offset:         16
        .size:           8
        .value_kind:     by_value
      - .offset:         24
        .size:           4
        .value_kind:     by_value
      - .address_space:  global
        .offset:         32
        .size:           8
        .value_kind:     global_buffer
      - .offset:         40
        .size:           1
        .value_kind:     by_value
    .group_segment_fixed_size: 21504
    .kernarg_segment_align: 8
    .kernarg_segment_size: 44
    .language:       OpenCL C
    .language_version:
      - 2
      - 0
    .max_flat_workgroup_size: 256
    .name:           _ZN7rocprim6detail18single_scan_kernelILb0ENS0_19wrapped_scan_configINS_14default_configEiEEN6hipcub22TransformInputIteratorIiNS5_6CastOpIiEEPilEEPdNS5_3SumEiiEEvT1_mT4_T2_T3_
    .private_segment_fixed_size: 0
    .sgpr_count:     54
    .sgpr_spill_count: 0
    .symbol:         _ZN7rocprim6detail18single_scan_kernelILb0ENS0_19wrapped_scan_configINS_14default_configEiEEN6hipcub22TransformInputIteratorIiNS5_6CastOpIiEEPilEEPdNS5_3SumEiiEEvT1_mT4_T2_T3_.kd
    .uniform_work_group_size: 1
    .uses_dynamic_stack: false
    .vgpr_count:     29
    .vgpr_spill_count: 0
    .wavefront_size: 64
  - .agpr_count:     0
    .args:
      - .address_space:  global
        .offset:         0
        .size:           8
        .value_kind:     global_buffer
      - .offset:         8
        .size:           4
        .value_kind:     by_value
      - .offset:         12
        .size:           4
        .value_kind:     by_value
      - .address_space:  global
        .offset:         16
        .size:           8
        .value_kind:     global_buffer
      - .offset:         24
        .size:           4
        .value_kind:     hidden_block_count_x
      - .offset:         28
        .size:           4
        .value_kind:     hidden_block_count_y
      - .offset:         32
        .size:           4
        .value_kind:     hidden_block_count_z
      - .offset:         36
        .size:           2
        .value_kind:     hidden_group_size_x
      - .offset:         38
        .size:           2
        .value_kind:     hidden_group_size_y
      - .offset:         40
        .size:           2
        .value_kind:     hidden_group_size_z
      - .offset:         42
        .size:           2
        .value_kind:     hidden_remainder_x
      - .offset:         44
        .size:           2
        .value_kind:     hidden_remainder_y
      - .offset:         46
        .size:           2
        .value_kind:     hidden_remainder_z
      - .offset:         64
        .size:           8
        .value_kind:     hidden_global_offset_x
      - .offset:         72
        .size:           8
        .value_kind:     hidden_global_offset_y
      - .offset:         80
        .size:           8
        .value_kind:     hidden_global_offset_z
      - .offset:         88
        .size:           2
        .value_kind:     hidden_grid_dims
    .group_segment_fixed_size: 0
    .kernarg_segment_align: 8
    .kernarg_segment_size: 280
    .language:       OpenCL C
    .language_version:
      - 2
      - 0
    .max_flat_workgroup_size: 256
    .name:           _ZN7rocprim6detail31init_lookback_scan_state_kernelINS0_19lookback_scan_stateIsLb1ELb1EEEEEvT_jjPNS4_10value_typeE
    .private_segment_fixed_size: 0
    .sgpr_count:     18
    .sgpr_spill_count: 0
    .symbol:         _ZN7rocprim6detail31init_lookback_scan_state_kernelINS0_19lookback_scan_stateIsLb1ELb1EEEEEvT_jjPNS4_10value_typeE.kd
    .uniform_work_group_size: 1
    .uses_dynamic_stack: false
    .vgpr_count:     6
    .vgpr_spill_count: 0
    .wavefront_size: 64
  - .agpr_count:     0
    .args:
      - .address_space:  global
        .offset:         0
        .size:           8
        .value_kind:     global_buffer
      - .offset:         8
        .size:           4
        .value_kind:     by_value
      - .offset:         12
        .size:           4
        .value_kind:     by_value
      - .address_space:  global
        .offset:         16
        .size:           8
        .value_kind:     global_buffer
      - .offset:         24
        .size:           4
        .value_kind:     hidden_block_count_x
      - .offset:         28
        .size:           4
        .value_kind:     hidden_block_count_y
      - .offset:         32
        .size:           4
        .value_kind:     hidden_block_count_z
      - .offset:         36
        .size:           2
        .value_kind:     hidden_group_size_x
      - .offset:         38
        .size:           2
        .value_kind:     hidden_group_size_y
      - .offset:         40
        .size:           2
        .value_kind:     hidden_group_size_z
      - .offset:         42
        .size:           2
        .value_kind:     hidden_remainder_x
      - .offset:         44
        .size:           2
        .value_kind:     hidden_remainder_y
      - .offset:         46
        .size:           2
        .value_kind:     hidden_remainder_z
      - .offset:         64
        .size:           8
        .value_kind:     hidden_global_offset_x
      - .offset:         72
        .size:           8
        .value_kind:     hidden_global_offset_y
      - .offset:         80
        .size:           8
        .value_kind:     hidden_global_offset_z
      - .offset:         88
        .size:           2
        .value_kind:     hidden_grid_dims
    .group_segment_fixed_size: 0
    .kernarg_segment_align: 8
    .kernarg_segment_size: 280
    .language:       OpenCL C
    .language_version:
      - 2
      - 0
    .max_flat_workgroup_size: 256
    .name:           _ZN7rocprim6detail31init_lookback_scan_state_kernelINS0_19lookback_scan_stateIsLb0ELb1EEEEEvT_jjPNS4_10value_typeE
    .private_segment_fixed_size: 0
    .sgpr_count:     16
    .sgpr_spill_count: 0
    .symbol:         _ZN7rocprim6detail31init_lookback_scan_state_kernelINS0_19lookback_scan_stateIsLb0ELb1EEEEEvT_jjPNS4_10value_typeE.kd
    .uniform_work_group_size: 1
    .uses_dynamic_stack: false
    .vgpr_count:     6
    .vgpr_spill_count: 0
    .wavefront_size: 64
  - .agpr_count:     0
    .args:
      - .offset:         0
        .size:           16
        .value_kind:     by_value
      - .address_space:  global
        .offset:         16
        .size:           8
        .value_kind:     global_buffer
      - .offset:         24
        .size:           8
        .value_kind:     by_value
      - .offset:         32
        .size:           2
        .value_kind:     by_value
      - .offset:         34
        .size:           1
        .value_kind:     by_value
      - .address_space:  global
        .offset:         40
        .size:           8
        .value_kind:     global_buffer
      - .offset:         48
        .size:           4
        .value_kind:     by_value
      - .address_space:  global
        .offset:         56
        .size:           8
        .value_kind:     global_buffer
      - .address_space:  global
        .offset:         64
        .size:           8
        .value_kind:     global_buffer
      - .offset:         72
        .size:           1
        .value_kind:     by_value
      - .offset:         73
        .size:           1
        .value_kind:     by_value
    .group_segment_fixed_size: 0
    .kernarg_segment_align: 8
    .kernarg_segment_size: 76
    .language:       OpenCL C
    .language_version:
      - 2
      - 0
    .max_flat_workgroup_size: 256
    .name:           _ZN7rocprim6detail20lookback_scan_kernelILNS0_25lookback_scan_determinismE0ELb0ENS0_19wrapped_scan_configINS_14default_configEsEEN6hipcub22TransformInputIteratorIsNS6_6CastOpIsEEPslEEPfNS6_3MaxEssNS0_19lookback_scan_stateIsLb1ELb1EEEEEvT2_T3_mT5_T4_T7_jPT6_SM_bb
    .private_segment_fixed_size: 0
    .sgpr_count:     6
    .sgpr_spill_count: 0
    .symbol:         _ZN7rocprim6detail20lookback_scan_kernelILNS0_25lookback_scan_determinismE0ELb0ENS0_19wrapped_scan_configINS_14default_configEsEEN6hipcub22TransformInputIteratorIsNS6_6CastOpIsEEPslEEPfNS6_3MaxEssNS0_19lookback_scan_stateIsLb1ELb1EEEEEvT2_T3_mT5_T4_T7_jPT6_SM_bb.kd
    .uniform_work_group_size: 1
    .uses_dynamic_stack: false
    .vgpr_count:     0
    .vgpr_spill_count: 0
    .wavefront_size: 64
  - .agpr_count:     0
    .args:
      - .offset:         0
        .size:           16
        .value_kind:     by_value
      - .address_space:  global
        .offset:         16
        .size:           8
        .value_kind:     global_buffer
      - .offset:         24
        .size:           8
        .value_kind:     by_value
      - .offset:         32
        .size:           2
        .value_kind:     by_value
      - .offset:         34
        .size:           1
        .value_kind:     by_value
      - .address_space:  global
        .offset:         40
        .size:           8
        .value_kind:     global_buffer
      - .offset:         48
        .size:           4
        .value_kind:     by_value
      - .address_space:  global
        .offset:         56
        .size:           8
        .value_kind:     global_buffer
      - .address_space:  global
        .offset:         64
        .size:           8
        .value_kind:     global_buffer
      - .offset:         72
        .size:           1
        .value_kind:     by_value
      - .offset:         73
        .size:           1
        .value_kind:     by_value
    .group_segment_fixed_size: 12288
    .kernarg_segment_align: 8
    .kernarg_segment_size: 76
    .language:       OpenCL C
    .language_version:
      - 2
      - 0
    .max_flat_workgroup_size: 256
    .name:           _ZN7rocprim6detail20lookback_scan_kernelILNS0_25lookback_scan_determinismE0ELb0ENS0_19wrapped_scan_configINS_14default_configEsEEN6hipcub22TransformInputIteratorIsNS6_6CastOpIsEEPslEEPfNS6_3MaxEssNS0_19lookback_scan_stateIsLb0ELb1EEEEEvT2_T3_mT5_T4_T7_jPT6_SM_bb
    .private_segment_fixed_size: 0
    .sgpr_count:     32
    .sgpr_spill_count: 0
    .symbol:         _ZN7rocprim6detail20lookback_scan_kernelILNS0_25lookback_scan_determinismE0ELb0ENS0_19wrapped_scan_configINS_14default_configEsEEN6hipcub22TransformInputIteratorIsNS6_6CastOpIsEEPslEEPfNS6_3MaxEssNS0_19lookback_scan_stateIsLb0ELb1EEEEEvT2_T3_mT5_T4_T7_jPT6_SM_bb.kd
    .uniform_work_group_size: 1
    .uses_dynamic_stack: false
    .vgpr_count:     57
    .vgpr_spill_count: 0
    .wavefront_size: 64
  - .agpr_count:     0
    .args:
      - .address_space:  global
        .offset:         0
        .size:           8
        .value_kind:     global_buffer
      - .offset:         8
        .size:           8
        .value_kind:     by_value
      - .address_space:  global
        .offset:         16
        .size:           8
        .value_kind:     global_buffer
      - .offset:         24
        .size:           1
        .value_kind:     by_value
      - .offset:         32
        .size:           4
        .value_kind:     hidden_block_count_x
      - .offset:         36
        .size:           4
        .value_kind:     hidden_block_count_y
      - .offset:         40
        .size:           4
        .value_kind:     hidden_block_count_z
      - .offset:         44
        .size:           2
        .value_kind:     hidden_group_size_x
      - .offset:         46
        .size:           2
        .value_kind:     hidden_group_size_y
      - .offset:         48
        .size:           2
        .value_kind:     hidden_group_size_z
      - .offset:         50
        .size:           2
        .value_kind:     hidden_remainder_x
      - .offset:         52
        .size:           2
        .value_kind:     hidden_remainder_y
      - .offset:         54
        .size:           2
        .value_kind:     hidden_remainder_z
      - .offset:         72
        .size:           8
        .value_kind:     hidden_global_offset_x
      - .offset:         80
        .size:           8
        .value_kind:     hidden_global_offset_y
      - .offset:         88
        .size:           8
        .value_kind:     hidden_global_offset_z
      - .offset:         96
        .size:           2
        .value_kind:     hidden_grid_dims
    .group_segment_fixed_size: 0
    .kernarg_segment_align: 8
    .kernarg_segment_size: 288
    .language:       OpenCL C
    .language_version:
      - 2
      - 0
    .max_flat_workgroup_size: 256
    .name:           _ZN7rocprim6detail16transform_kernelINS0_24wrapped_transform_configINS_14default_configEsEEsPsS5_NS_8identityIsEEEEvT1_mT2_T3_
    .private_segment_fixed_size: 0
    .sgpr_count:     29
    .sgpr_spill_count: 0
    .symbol:         _ZN7rocprim6detail16transform_kernelINS0_24wrapped_transform_configINS_14default_configEsEEsPsS5_NS_8identityIsEEEEvT1_mT2_T3_.kd
    .uniform_work_group_size: 1
    .uses_dynamic_stack: false
    .vgpr_count:     12
    .vgpr_spill_count: 0
    .wavefront_size: 64
  - .agpr_count:     0
    .args:
      - .offset:         0
        .size:           16
        .value_kind:     by_value
      - .offset:         16
        .size:           8
        .value_kind:     by_value
      - .offset:         24
        .size:           2
        .value_kind:     by_value
      - .address_space:  global
        .offset:         32
        .size:           8
        .value_kind:     global_buffer
      - .offset:         40
        .size:           1
        .value_kind:     by_value
    .group_segment_fixed_size: 12288
    .kernarg_segment_align: 8
    .kernarg_segment_size: 44
    .language:       OpenCL C
    .language_version:
      - 2
      - 0
    .max_flat_workgroup_size: 256
    .name:           _ZN7rocprim6detail18single_scan_kernelILb0ENS0_19wrapped_scan_configINS_14default_configEsEEN6hipcub22TransformInputIteratorIsNS5_6CastOpIsEEPslEEPfNS5_3MaxEssEEvT1_mT4_T2_T3_
    .private_segment_fixed_size: 0
    .sgpr_count:     60
    .sgpr_spill_count: 0
    .symbol:         _ZN7rocprim6detail18single_scan_kernelILb0ENS0_19wrapped_scan_configINS_14default_configEsEEN6hipcub22TransformInputIteratorIsNS5_6CastOpIsEEPslEEPfNS5_3MaxEssEEvT1_mT4_T2_T3_.kd
    .uniform_work_group_size: 1
    .uses_dynamic_stack: false
    .vgpr_count:     32
    .vgpr_spill_count: 0
    .wavefront_size: 64
  - .agpr_count:     0
    .args:
      - .address_space:  global
        .offset:         0
        .size:           8
        .value_kind:     global_buffer
      - .offset:         8
        .size:           4
        .value_kind:     by_value
      - .offset:         12
        .size:           4
        .value_kind:     by_value
      - .address_space:  global
        .offset:         16
        .size:           8
        .value_kind:     global_buffer
      - .offset:         24
        .size:           4
        .value_kind:     hidden_block_count_x
      - .offset:         28
        .size:           4
        .value_kind:     hidden_block_count_y
      - .offset:         32
        .size:           4
        .value_kind:     hidden_block_count_z
      - .offset:         36
        .size:           2
        .value_kind:     hidden_group_size_x
      - .offset:         38
        .size:           2
        .value_kind:     hidden_group_size_y
      - .offset:         40
        .size:           2
        .value_kind:     hidden_group_size_z
      - .offset:         42
        .size:           2
        .value_kind:     hidden_remainder_x
      - .offset:         44
        .size:           2
        .value_kind:     hidden_remainder_y
      - .offset:         46
        .size:           2
        .value_kind:     hidden_remainder_z
      - .offset:         64
        .size:           8
        .value_kind:     hidden_global_offset_x
      - .offset:         72
        .size:           8
        .value_kind:     hidden_global_offset_y
      - .offset:         80
        .size:           8
        .value_kind:     hidden_global_offset_z
      - .offset:         88
        .size:           2
        .value_kind:     hidden_grid_dims
    .group_segment_fixed_size: 0
    .kernarg_segment_align: 8
    .kernarg_segment_size: 280
    .language:       OpenCL C
    .language_version:
      - 2
      - 0
    .max_flat_workgroup_size: 256
    .name:           _ZN7rocprim6detail31init_lookback_scan_state_kernelINS0_19lookback_scan_stateImLb1ELb1EEEEEvT_jjPNS4_10value_typeE
    .private_segment_fixed_size: 0
    .sgpr_count:     20
    .sgpr_spill_count: 0
    .symbol:         _ZN7rocprim6detail31init_lookback_scan_state_kernelINS0_19lookback_scan_stateImLb1ELb1EEEEEvT_jjPNS4_10value_typeE.kd
    .uniform_work_group_size: 1
    .uses_dynamic_stack: false
    .vgpr_count:     10
    .vgpr_spill_count: 0
    .wavefront_size: 64
  - .agpr_count:     0
    .args:
      - .address_space:  global
        .offset:         0
        .size:           8
        .value_kind:     global_buffer
      - .offset:         8
        .size:           4
        .value_kind:     by_value
      - .offset:         12
        .size:           4
        .value_kind:     by_value
      - .address_space:  global
        .offset:         16
        .size:           8
        .value_kind:     global_buffer
      - .offset:         24
        .size:           4
        .value_kind:     hidden_block_count_x
      - .offset:         28
        .size:           4
        .value_kind:     hidden_block_count_y
      - .offset:         32
        .size:           4
        .value_kind:     hidden_block_count_z
      - .offset:         36
        .size:           2
        .value_kind:     hidden_group_size_x
      - .offset:         38
        .size:           2
        .value_kind:     hidden_group_size_y
      - .offset:         40
        .size:           2
        .value_kind:     hidden_group_size_z
      - .offset:         42
        .size:           2
        .value_kind:     hidden_remainder_x
      - .offset:         44
        .size:           2
        .value_kind:     hidden_remainder_y
      - .offset:         46
        .size:           2
        .value_kind:     hidden_remainder_z
      - .offset:         64
        .size:           8
        .value_kind:     hidden_global_offset_x
      - .offset:         72
        .size:           8
        .value_kind:     hidden_global_offset_y
      - .offset:         80
        .size:           8
        .value_kind:     hidden_global_offset_z
      - .offset:         88
        .size:           2
        .value_kind:     hidden_grid_dims
    .group_segment_fixed_size: 0
    .kernarg_segment_align: 8
    .kernarg_segment_size: 280
    .language:       OpenCL C
    .language_version:
      - 2
      - 0
    .max_flat_workgroup_size: 256
    .name:           _ZN7rocprim6detail31init_lookback_scan_state_kernelINS0_19lookback_scan_stateImLb0ELb1EEEEEvT_jjPNS4_10value_typeE
    .private_segment_fixed_size: 0
    .sgpr_count:     20
    .sgpr_spill_count: 0
    .symbol:         _ZN7rocprim6detail31init_lookback_scan_state_kernelINS0_19lookback_scan_stateImLb0ELb1EEEEEvT_jjPNS4_10value_typeE.kd
    .uniform_work_group_size: 1
    .uses_dynamic_stack: false
    .vgpr_count:     10
    .vgpr_spill_count: 0
    .wavefront_size: 64
  - .agpr_count:     0
    .args:
      - .address_space:  global
        .offset:         0
        .size:           8
        .value_kind:     global_buffer
      - .address_space:  global
        .offset:         8
        .size:           8
        .value_kind:     global_buffer
      - .offset:         16
        .size:           8
        .value_kind:     by_value
      - .offset:         24
        .size:           8
        .value_kind:     by_value
      - .offset:         32
        .size:           1
        .value_kind:     by_value
      - .address_space:  global
        .offset:         40
        .size:           8
        .value_kind:     global_buffer
      - .offset:         48
        .size:           4
        .value_kind:     by_value
      - .address_space:  global
        .offset:         56
        .size:           8
        .value_kind:     global_buffer
      - .address_space:  global
        .offset:         64
        .size:           8
        .value_kind:     global_buffer
      - .offset:         72
        .size:           1
        .value_kind:     by_value
      - .offset:         73
        .size:           1
        .value_kind:     by_value
    .group_segment_fixed_size: 0
    .kernarg_segment_align: 8
    .kernarg_segment_size: 76
    .language:       OpenCL C
    .language_version:
      - 2
      - 0
    .max_flat_workgroup_size: 256
    .name:           _ZN7rocprim6detail20lookback_scan_kernelILNS0_25lookback_scan_determinismE0ELb0ENS0_19wrapped_scan_configINS_14default_configEmEEPmS6_N6hipcub3SumEmmNS0_19lookback_scan_stateImLb1ELb1EEEEEvT2_T3_mT5_T4_T7_jPT6_SH_bb
    .private_segment_fixed_size: 0
    .sgpr_count:     6
    .sgpr_spill_count: 0
    .symbol:         _ZN7rocprim6detail20lookback_scan_kernelILNS0_25lookback_scan_determinismE0ELb0ENS0_19wrapped_scan_configINS_14default_configEmEEPmS6_N6hipcub3SumEmmNS0_19lookback_scan_stateImLb1ELb1EEEEEvT2_T3_mT5_T4_T7_jPT6_SH_bb.kd
    .uniform_work_group_size: 1
    .uses_dynamic_stack: false
    .vgpr_count:     0
    .vgpr_spill_count: 0
    .wavefront_size: 64
  - .agpr_count:     0
    .args:
      - .address_space:  global
        .offset:         0
        .size:           8
        .value_kind:     global_buffer
      - .address_space:  global
        .offset:         8
        .size:           8
        .value_kind:     global_buffer
      - .offset:         16
        .size:           8
        .value_kind:     by_value
      - .offset:         24
        .size:           8
        .value_kind:     by_value
      - .offset:         32
        .size:           1
        .value_kind:     by_value
      - .address_space:  global
        .offset:         40
        .size:           8
        .value_kind:     global_buffer
      - .offset:         48
        .size:           4
        .value_kind:     by_value
      - .address_space:  global
        .offset:         56
        .size:           8
        .value_kind:     global_buffer
      - .address_space:  global
        .offset:         64
        .size:           8
        .value_kind:     global_buffer
      - .offset:         72
        .size:           1
        .value_kind:     by_value
      - .offset:         73
        .size:           1
        .value_kind:     by_value
    .group_segment_fixed_size: 30720
    .kernarg_segment_align: 8
    .kernarg_segment_size: 76
    .language:       OpenCL C
    .language_version:
      - 2
      - 0
    .max_flat_workgroup_size: 256
    .name:           _ZN7rocprim6detail20lookback_scan_kernelILNS0_25lookback_scan_determinismE0ELb0ENS0_19wrapped_scan_configINS_14default_configEmEEPmS6_N6hipcub3SumEmmNS0_19lookback_scan_stateImLb0ELb1EEEEEvT2_T3_mT5_T4_T7_jPT6_SH_bb
    .private_segment_fixed_size: 0
    .sgpr_count:     74
    .sgpr_spill_count: 0
    .symbol:         _ZN7rocprim6detail20lookback_scan_kernelILNS0_25lookback_scan_determinismE0ELb0ENS0_19wrapped_scan_configINS_14default_configEmEEPmS6_N6hipcub3SumEmmNS0_19lookback_scan_stateImLb0ELb1EEEEEvT2_T3_mT5_T4_T7_jPT6_SH_bb.kd
    .uniform_work_group_size: 1
    .uses_dynamic_stack: false
    .vgpr_count:     70
    .vgpr_spill_count: 0
    .wavefront_size: 64
  - .agpr_count:     0
    .args:
      - .address_space:  global
        .offset:         0
        .size:           8
        .value_kind:     global_buffer
      - .offset:         8
        .size:           8
        .value_kind:     by_value
      - .address_space:  global
        .offset:         16
        .size:           8
        .value_kind:     global_buffer
      - .offset:         24
        .size:           1
        .value_kind:     by_value
      - .offset:         32
        .size:           4
        .value_kind:     hidden_block_count_x
      - .offset:         36
        .size:           4
        .value_kind:     hidden_block_count_y
      - .offset:         40
        .size:           4
        .value_kind:     hidden_block_count_z
      - .offset:         44
        .size:           2
        .value_kind:     hidden_group_size_x
      - .offset:         46
        .size:           2
        .value_kind:     hidden_group_size_y
      - .offset:         48
        .size:           2
        .value_kind:     hidden_group_size_z
      - .offset:         50
        .size:           2
        .value_kind:     hidden_remainder_x
      - .offset:         52
        .size:           2
        .value_kind:     hidden_remainder_y
      - .offset:         54
        .size:           2
        .value_kind:     hidden_remainder_z
      - .offset:         72
        .size:           8
        .value_kind:     hidden_global_offset_x
      - .offset:         80
        .size:           8
        .value_kind:     hidden_global_offset_y
      - .offset:         88
        .size:           8
        .value_kind:     hidden_global_offset_z
      - .offset:         96
        .size:           2
        .value_kind:     hidden_grid_dims
    .group_segment_fixed_size: 0
    .kernarg_segment_align: 8
    .kernarg_segment_size: 288
    .language:       OpenCL C
    .language_version:
      - 2
      - 0
    .max_flat_workgroup_size: 256
    .name:           _ZN7rocprim6detail16transform_kernelINS0_24wrapped_transform_configINS_14default_configEmEEmPmS5_NS_8identityImEEEEvT1_mT2_T3_
    .private_segment_fixed_size: 0
    .sgpr_count:     18
    .sgpr_spill_count: 0
    .symbol:         _ZN7rocprim6detail16transform_kernelINS0_24wrapped_transform_configINS_14default_configEmEEmPmS5_NS_8identityImEEEEvT1_mT2_T3_.kd
    .uniform_work_group_size: 1
    .uses_dynamic_stack: false
    .vgpr_count:     10
    .vgpr_spill_count: 0
    .wavefront_size: 64
  - .agpr_count:     0
    .args:
      - .address_space:  global
        .offset:         0
        .size:           8
        .value_kind:     global_buffer
      - .offset:         8
        .size:           8
        .value_kind:     by_value
      - .offset:         16
        .size:           8
        .value_kind:     by_value
      - .address_space:  global
        .offset:         24
        .size:           8
        .value_kind:     global_buffer
      - .offset:         32
        .size:           1
        .value_kind:     by_value
    .group_segment_fixed_size: 30720
    .kernarg_segment_align: 8
    .kernarg_segment_size: 36
    .language:       OpenCL C
    .language_version:
      - 2
      - 0
    .max_flat_workgroup_size: 256
    .name:           _ZN7rocprim6detail18single_scan_kernelILb0ENS0_19wrapped_scan_configINS_14default_configEmEEPmS5_N6hipcub3SumEmmEEvT1_mT4_T2_T3_
    .private_segment_fixed_size: 0
    .sgpr_count:     74
    .sgpr_spill_count: 0
    .symbol:         _ZN7rocprim6detail18single_scan_kernelILb0ENS0_19wrapped_scan_configINS_14default_configEmEEPmS5_N6hipcub3SumEmmEEvT1_mT4_T2_T3_.kd
    .uniform_work_group_size: 1
    .uses_dynamic_stack: false
    .vgpr_count:     54
    .vgpr_spill_count: 0
    .wavefront_size: 64
  - .agpr_count:     0
    .args:
      - .address_space:  global
        .offset:         0
        .size:           8
        .value_kind:     global_buffer
      - .offset:         8
        .size:           4
        .value_kind:     by_value
      - .offset:         12
        .size:           4
        .value_kind:     by_value
      - .address_space:  global
        .offset:         16
        .size:           8
        .value_kind:     global_buffer
      - .offset:         24
        .size:           4
        .value_kind:     hidden_block_count_x
      - .offset:         28
        .size:           4
        .value_kind:     hidden_block_count_y
      - .offset:         32
        .size:           4
        .value_kind:     hidden_block_count_z
      - .offset:         36
        .size:           2
        .value_kind:     hidden_group_size_x
      - .offset:         38
        .size:           2
        .value_kind:     hidden_group_size_y
      - .offset:         40
        .size:           2
        .value_kind:     hidden_group_size_z
      - .offset:         42
        .size:           2
        .value_kind:     hidden_remainder_x
      - .offset:         44
        .size:           2
        .value_kind:     hidden_remainder_y
      - .offset:         46
        .size:           2
        .value_kind:     hidden_remainder_z
      - .offset:         64
        .size:           8
        .value_kind:     hidden_global_offset_x
      - .offset:         72
        .size:           8
        .value_kind:     hidden_global_offset_y
      - .offset:         80
        .size:           8
        .value_kind:     hidden_global_offset_z
      - .offset:         88
        .size:           2
        .value_kind:     hidden_grid_dims
    .group_segment_fixed_size: 0
    .kernarg_segment_align: 8
    .kernarg_segment_size: 280
    .language:       OpenCL C
    .language_version:
      - 2
      - 0
    .max_flat_workgroup_size: 256
    .name:           _ZN7rocprim6detail31init_lookback_scan_state_kernelINS0_19lookback_scan_stateIyLb1ELb1EEEEEvT_jjPNS4_10value_typeE
    .private_segment_fixed_size: 0
    .sgpr_count:     20
    .sgpr_spill_count: 0
    .symbol:         _ZN7rocprim6detail31init_lookback_scan_state_kernelINS0_19lookback_scan_stateIyLb1ELb1EEEEEvT_jjPNS4_10value_typeE.kd
    .uniform_work_group_size: 1
    .uses_dynamic_stack: false
    .vgpr_count:     10
    .vgpr_spill_count: 0
    .wavefront_size: 64
  - .agpr_count:     0
    .args:
      - .address_space:  global
        .offset:         0
        .size:           8
        .value_kind:     global_buffer
      - .offset:         8
        .size:           4
        .value_kind:     by_value
      - .offset:         12
        .size:           4
        .value_kind:     by_value
      - .address_space:  global
        .offset:         16
        .size:           8
        .value_kind:     global_buffer
      - .offset:         24
        .size:           4
        .value_kind:     hidden_block_count_x
      - .offset:         28
        .size:           4
        .value_kind:     hidden_block_count_y
      - .offset:         32
        .size:           4
        .value_kind:     hidden_block_count_z
      - .offset:         36
        .size:           2
        .value_kind:     hidden_group_size_x
      - .offset:         38
        .size:           2
        .value_kind:     hidden_group_size_y
      - .offset:         40
        .size:           2
        .value_kind:     hidden_group_size_z
      - .offset:         42
        .size:           2
        .value_kind:     hidden_remainder_x
      - .offset:         44
        .size:           2
        .value_kind:     hidden_remainder_y
      - .offset:         46
        .size:           2
        .value_kind:     hidden_remainder_z
      - .offset:         64
        .size:           8
        .value_kind:     hidden_global_offset_x
      - .offset:         72
        .size:           8
        .value_kind:     hidden_global_offset_y
      - .offset:         80
        .size:           8
        .value_kind:     hidden_global_offset_z
      - .offset:         88
        .size:           2
        .value_kind:     hidden_grid_dims
    .group_segment_fixed_size: 0
    .kernarg_segment_align: 8
    .kernarg_segment_size: 280
    .language:       OpenCL C
    .language_version:
      - 2
      - 0
    .max_flat_workgroup_size: 256
    .name:           _ZN7rocprim6detail31init_lookback_scan_state_kernelINS0_19lookback_scan_stateIyLb0ELb1EEEEEvT_jjPNS4_10value_typeE
    .private_segment_fixed_size: 0
    .sgpr_count:     20
    .sgpr_spill_count: 0
    .symbol:         _ZN7rocprim6detail31init_lookback_scan_state_kernelINS0_19lookback_scan_stateIyLb0ELb1EEEEEvT_jjPNS4_10value_typeE.kd
    .uniform_work_group_size: 1
    .uses_dynamic_stack: false
    .vgpr_count:     10
    .vgpr_spill_count: 0
    .wavefront_size: 64
  - .agpr_count:     0
    .args:
      - .address_space:  global
        .offset:         0
        .size:           8
        .value_kind:     global_buffer
      - .address_space:  global
        .offset:         8
        .size:           8
        .value_kind:     global_buffer
      - .offset:         16
        .size:           8
        .value_kind:     by_value
      - .offset:         24
        .size:           8
        .value_kind:     by_value
      - .offset:         32
        .size:           1
        .value_kind:     by_value
      - .address_space:  global
        .offset:         40
        .size:           8
        .value_kind:     global_buffer
      - .offset:         48
        .size:           4
        .value_kind:     by_value
      - .address_space:  global
        .offset:         56
        .size:           8
        .value_kind:     global_buffer
      - .address_space:  global
        .offset:         64
        .size:           8
        .value_kind:     global_buffer
      - .offset:         72
        .size:           1
        .value_kind:     by_value
      - .offset:         73
        .size:           1
        .value_kind:     by_value
    .group_segment_fixed_size: 0
    .kernarg_segment_align: 8
    .kernarg_segment_size: 76
    .language:       OpenCL C
    .language_version:
      - 2
      - 0
    .max_flat_workgroup_size: 256
    .name:           _ZN7rocprim6detail20lookback_scan_kernelILNS0_25lookback_scan_determinismE0ELb0ENS0_19wrapped_scan_configINS_14default_configEyEEPyS6_N6hipcub3MinEyyNS0_19lookback_scan_stateIyLb1ELb1EEEEEvT2_T3_mT5_T4_T7_jPT6_SH_bb
    .private_segment_fixed_size: 0
    .sgpr_count:     6
    .sgpr_spill_count: 0
    .symbol:         _ZN7rocprim6detail20lookback_scan_kernelILNS0_25lookback_scan_determinismE0ELb0ENS0_19wrapped_scan_configINS_14default_configEyEEPyS6_N6hipcub3MinEyyNS0_19lookback_scan_stateIyLb1ELb1EEEEEvT2_T3_mT5_T4_T7_jPT6_SH_bb.kd
    .uniform_work_group_size: 1
    .uses_dynamic_stack: false
    .vgpr_count:     0
    .vgpr_spill_count: 0
    .wavefront_size: 64
  - .agpr_count:     0
    .args:
      - .address_space:  global
        .offset:         0
        .size:           8
        .value_kind:     global_buffer
      - .address_space:  global
        .offset:         8
        .size:           8
        .value_kind:     global_buffer
      - .offset:         16
        .size:           8
        .value_kind:     by_value
      - .offset:         24
        .size:           8
        .value_kind:     by_value
      - .offset:         32
        .size:           1
        .value_kind:     by_value
      - .address_space:  global
        .offset:         40
        .size:           8
        .value_kind:     global_buffer
      - .offset:         48
        .size:           4
        .value_kind:     by_value
      - .address_space:  global
        .offset:         56
        .size:           8
        .value_kind:     global_buffer
      - .address_space:  global
        .offset:         64
        .size:           8
        .value_kind:     global_buffer
      - .offset:         72
        .size:           1
        .value_kind:     by_value
      - .offset:         73
        .size:           1
        .value_kind:     by_value
    .group_segment_fixed_size: 30720
    .kernarg_segment_align: 8
    .kernarg_segment_size: 76
    .language:       OpenCL C
    .language_version:
      - 2
      - 0
    .max_flat_workgroup_size: 256
    .name:           _ZN7rocprim6detail20lookback_scan_kernelILNS0_25lookback_scan_determinismE0ELb0ENS0_19wrapped_scan_configINS_14default_configEyEEPyS6_N6hipcub3MinEyyNS0_19lookback_scan_stateIyLb0ELb1EEEEEvT2_T3_mT5_T4_T7_jPT6_SH_bb
    .private_segment_fixed_size: 0
    .sgpr_count:     74
    .sgpr_spill_count: 0
    .symbol:         _ZN7rocprim6detail20lookback_scan_kernelILNS0_25lookback_scan_determinismE0ELb0ENS0_19wrapped_scan_configINS_14default_configEyEEPyS6_N6hipcub3MinEyyNS0_19lookback_scan_stateIyLb0ELb1EEEEEvT2_T3_mT5_T4_T7_jPT6_SH_bb.kd
    .uniform_work_group_size: 1
    .uses_dynamic_stack: false
    .vgpr_count:     67
    .vgpr_spill_count: 0
    .wavefront_size: 64
  - .agpr_count:     0
    .args:
      - .address_space:  global
        .offset:         0
        .size:           8
        .value_kind:     global_buffer
      - .offset:         8
        .size:           8
        .value_kind:     by_value
      - .address_space:  global
        .offset:         16
        .size:           8
        .value_kind:     global_buffer
      - .offset:         24
        .size:           1
        .value_kind:     by_value
      - .offset:         32
        .size:           4
        .value_kind:     hidden_block_count_x
      - .offset:         36
        .size:           4
        .value_kind:     hidden_block_count_y
      - .offset:         40
        .size:           4
        .value_kind:     hidden_block_count_z
      - .offset:         44
        .size:           2
        .value_kind:     hidden_group_size_x
      - .offset:         46
        .size:           2
        .value_kind:     hidden_group_size_y
      - .offset:         48
        .size:           2
        .value_kind:     hidden_group_size_z
      - .offset:         50
        .size:           2
        .value_kind:     hidden_remainder_x
      - .offset:         52
        .size:           2
        .value_kind:     hidden_remainder_y
      - .offset:         54
        .size:           2
        .value_kind:     hidden_remainder_z
      - .offset:         72
        .size:           8
        .value_kind:     hidden_global_offset_x
      - .offset:         80
        .size:           8
        .value_kind:     hidden_global_offset_y
      - .offset:         88
        .size:           8
        .value_kind:     hidden_global_offset_z
      - .offset:         96
        .size:           2
        .value_kind:     hidden_grid_dims
    .group_segment_fixed_size: 0
    .kernarg_segment_align: 8
    .kernarg_segment_size: 288
    .language:       OpenCL C
    .language_version:
      - 2
      - 0
    .max_flat_workgroup_size: 256
    .name:           _ZN7rocprim6detail16transform_kernelINS0_24wrapped_transform_configINS_14default_configEyEEyPyS5_NS_8identityIyEEEEvT1_mT2_T3_
    .private_segment_fixed_size: 0
    .sgpr_count:     18
    .sgpr_spill_count: 0
    .symbol:         _ZN7rocprim6detail16transform_kernelINS0_24wrapped_transform_configINS_14default_configEyEEyPyS5_NS_8identityIyEEEEvT1_mT2_T3_.kd
    .uniform_work_group_size: 1
    .uses_dynamic_stack: false
    .vgpr_count:     10
    .vgpr_spill_count: 0
    .wavefront_size: 64
  - .agpr_count:     0
    .args:
      - .address_space:  global
        .offset:         0
        .size:           8
        .value_kind:     global_buffer
      - .offset:         8
        .size:           8
        .value_kind:     by_value
      - .offset:         16
        .size:           8
        .value_kind:     by_value
      - .address_space:  global
        .offset:         24
        .size:           8
        .value_kind:     global_buffer
      - .offset:         32
        .size:           1
        .value_kind:     by_value
    .group_segment_fixed_size: 30720
    .kernarg_segment_align: 8
    .kernarg_segment_size: 36
    .language:       OpenCL C
    .language_version:
      - 2
      - 0
    .max_flat_workgroup_size: 256
    .name:           _ZN7rocprim6detail18single_scan_kernelILb0ENS0_19wrapped_scan_configINS_14default_configEyEEPyS5_N6hipcub3MinEyyEEvT1_mT4_T2_T3_
    .private_segment_fixed_size: 0
    .sgpr_count:     74
    .sgpr_spill_count: 0
    .symbol:         _ZN7rocprim6detail18single_scan_kernelILb0ENS0_19wrapped_scan_configINS_14default_configEyEEPyS5_N6hipcub3MinEyyEEvT1_mT4_T2_T3_.kd
    .uniform_work_group_size: 1
    .uses_dynamic_stack: false
    .vgpr_count:     50
    .vgpr_spill_count: 0
    .wavefront_size: 64
  - .agpr_count:     0
    .args:
      - .address_space:  global
        .offset:         0
        .size:           8
        .value_kind:     global_buffer
      - .offset:         8
        .size:           4
        .value_kind:     by_value
      - .offset:         12
        .size:           4
        .value_kind:     by_value
      - .address_space:  global
        .offset:         16
        .size:           8
        .value_kind:     global_buffer
      - .offset:         24
        .size:           4
        .value_kind:     hidden_block_count_x
      - .offset:         28
        .size:           4
        .value_kind:     hidden_block_count_y
      - .offset:         32
        .size:           4
        .value_kind:     hidden_block_count_z
      - .offset:         36
        .size:           2
        .value_kind:     hidden_group_size_x
      - .offset:         38
        .size:           2
        .value_kind:     hidden_group_size_y
      - .offset:         40
        .size:           2
        .value_kind:     hidden_group_size_z
      - .offset:         42
        .size:           2
        .value_kind:     hidden_remainder_x
      - .offset:         44
        .size:           2
        .value_kind:     hidden_remainder_y
      - .offset:         46
        .size:           2
        .value_kind:     hidden_remainder_z
      - .offset:         64
        .size:           8
        .value_kind:     hidden_global_offset_x
      - .offset:         72
        .size:           8
        .value_kind:     hidden_global_offset_y
      - .offset:         80
        .size:           8
        .value_kind:     hidden_global_offset_z
      - .offset:         88
        .size:           2
        .value_kind:     hidden_grid_dims
    .group_segment_fixed_size: 0
    .kernarg_segment_align: 8
    .kernarg_segment_size: 280
    .language:       OpenCL C
    .language_version:
      - 2
      - 0
    .max_flat_workgroup_size: 256
    .name:           _ZN7rocprim6detail31init_lookback_scan_state_kernelINS0_19lookback_scan_stateINS_5tupleIJibEEELb1ELb1EEEEEvT_jjPNS6_10value_typeE
    .private_segment_fixed_size: 0
    .sgpr_count:     20
    .sgpr_spill_count: 0
    .symbol:         _ZN7rocprim6detail31init_lookback_scan_state_kernelINS0_19lookback_scan_stateINS_5tupleIJibEEELb1ELb1EEEEEvT_jjPNS6_10value_typeE.kd
    .uniform_work_group_size: 1
    .uses_dynamic_stack: false
    .vgpr_count:     10
    .vgpr_spill_count: 0
    .wavefront_size: 64
  - .agpr_count:     0
    .args:
      - .address_space:  global
        .offset:         0
        .size:           8
        .value_kind:     global_buffer
      - .offset:         8
        .size:           4
        .value_kind:     by_value
      - .offset:         12
        .size:           4
        .value_kind:     by_value
      - .address_space:  global
        .offset:         16
        .size:           8
        .value_kind:     global_buffer
      - .offset:         24
        .size:           4
        .value_kind:     hidden_block_count_x
      - .offset:         28
        .size:           4
        .value_kind:     hidden_block_count_y
      - .offset:         32
        .size:           4
        .value_kind:     hidden_block_count_z
      - .offset:         36
        .size:           2
        .value_kind:     hidden_group_size_x
      - .offset:         38
        .size:           2
        .value_kind:     hidden_group_size_y
      - .offset:         40
        .size:           2
        .value_kind:     hidden_group_size_z
      - .offset:         42
        .size:           2
        .value_kind:     hidden_remainder_x
      - .offset:         44
        .size:           2
        .value_kind:     hidden_remainder_y
      - .offset:         46
        .size:           2
        .value_kind:     hidden_remainder_z
      - .offset:         64
        .size:           8
        .value_kind:     hidden_global_offset_x
      - .offset:         72
        .size:           8
        .value_kind:     hidden_global_offset_y
      - .offset:         80
        .size:           8
        .value_kind:     hidden_global_offset_z
      - .offset:         88
        .size:           2
        .value_kind:     hidden_grid_dims
    .group_segment_fixed_size: 0
    .kernarg_segment_align: 8
    .kernarg_segment_size: 280
    .language:       OpenCL C
    .language_version:
      - 2
      - 0
    .max_flat_workgroup_size: 256
    .name:           _ZN7rocprim6detail31init_lookback_scan_state_kernelINS0_19lookback_scan_stateINS_5tupleIJibEEELb0ELb1EEEEEvT_jjPNS6_10value_typeE
    .private_segment_fixed_size: 0
    .sgpr_count:     20
    .sgpr_spill_count: 0
    .symbol:         _ZN7rocprim6detail31init_lookback_scan_state_kernelINS0_19lookback_scan_stateINS_5tupleIJibEEELb0ELb1EEEEEvT_jjPNS6_10value_typeE.kd
    .uniform_work_group_size: 1
    .uses_dynamic_stack: false
    .vgpr_count:     10
    .vgpr_spill_count: 0
    .wavefront_size: 64
  - .agpr_count:     0
    .args:
      - .address_space:  global
        .offset:         0
        .size:           8
        .value_kind:     global_buffer
      - .offset:         8
        .size:           16
        .value_kind:     by_value
      - .address_space:  global
        .offset:         24
        .size:           8
        .value_kind:     global_buffer
      - .offset:         32
        .size:           4
        .value_kind:     by_value
      - .offset:         36
        .size:           1
        .value_kind:     by_value
      - .offset:         37
        .size:           1
        .value_kind:     by_value
      - .address_space:  global
        .offset:         40
        .size:           8
        .value_kind:     global_buffer
      - .offset:         48
        .size:           8
        .value_kind:     by_value
      - .offset:         56
        .size:           8
        .value_kind:     by_value
      - .offset:         64
        .size:           8
        .value_kind:     by_value
      - .address_space:  global
        .offset:         72
        .size:           8
        .value_kind:     global_buffer
    .group_segment_fixed_size: 0
    .kernarg_segment_align: 8
    .kernarg_segment_size: 80
    .language:       OpenCL C
    .language_version:
      - 2
      - 0
    .max_flat_workgroup_size: 256
    .name:           _ZN7rocprim6detail25device_scan_by_key_kernelILNS0_25lookback_scan_determinismE0ELb0ENS0_26wrapped_scan_by_key_configINS_14default_configEiiEEPiN6hipcub22TransformInputIteratorIiNS7_6CastOpIiEES6_lEEPliNS7_8EqualityENS7_3SumENS0_19lookback_scan_stateINS_5tupleIJibEEELb1ELb1EEEiEEvT2_T3_T4_T5_T6_T7_T8_mmmPKNSG_IJT9_bEEE
    .private_segment_fixed_size: 0
    .sgpr_count:     6
    .sgpr_spill_count: 0
    .symbol:         _ZN7rocprim6detail25device_scan_by_key_kernelILNS0_25lookback_scan_determinismE0ELb0ENS0_26wrapped_scan_by_key_configINS_14default_configEiiEEPiN6hipcub22TransformInputIteratorIiNS7_6CastOpIiEES6_lEEPliNS7_8EqualityENS7_3SumENS0_19lookback_scan_stateINS_5tupleIJibEEELb1ELb1EEEiEEvT2_T3_T4_T5_T6_T7_T8_mmmPKNSG_IJT9_bEEE.kd
    .uniform_work_group_size: 1
    .uses_dynamic_stack: false
    .vgpr_count:     0
    .vgpr_spill_count: 0
    .wavefront_size: 64
  - .agpr_count:     0
    .args:
      - .address_space:  global
        .offset:         0
        .size:           8
        .value_kind:     global_buffer
      - .offset:         8
        .size:           16
        .value_kind:     by_value
      - .address_space:  global
        .offset:         24
        .size:           8
        .value_kind:     global_buffer
      - .offset:         32
        .size:           4
        .value_kind:     by_value
      - .offset:         36
        .size:           1
        .value_kind:     by_value
      - .offset:         37
        .size:           1
        .value_kind:     by_value
      - .address_space:  global
        .offset:         40
        .size:           8
        .value_kind:     global_buffer
      - .offset:         48
        .size:           8
        .value_kind:     by_value
      - .offset:         56
        .size:           8
        .value_kind:     by_value
      - .offset:         64
        .size:           8
        .value_kind:     by_value
      - .address_space:  global
        .offset:         72
        .size:           8
        .value_kind:     global_buffer
    .group_segment_fixed_size: 25600
    .kernarg_segment_align: 8
    .kernarg_segment_size: 80
    .language:       OpenCL C
    .language_version:
      - 2
      - 0
    .max_flat_workgroup_size: 256
    .name:           _ZN7rocprim6detail25device_scan_by_key_kernelILNS0_25lookback_scan_determinismE0ELb0ENS0_26wrapped_scan_by_key_configINS_14default_configEiiEEPiN6hipcub22TransformInputIteratorIiNS7_6CastOpIiEES6_lEEPliNS7_8EqualityENS7_3SumENS0_19lookback_scan_stateINS_5tupleIJibEEELb0ELb1EEEiEEvT2_T3_T4_T5_T6_T7_T8_mmmPKNSG_IJT9_bEEE
    .private_segment_fixed_size: 0
    .sgpr_count:     84
    .sgpr_spill_count: 0
    .symbol:         _ZN7rocprim6detail25device_scan_by_key_kernelILNS0_25lookback_scan_determinismE0ELb0ENS0_26wrapped_scan_by_key_configINS_14default_configEiiEEPiN6hipcub22TransformInputIteratorIiNS7_6CastOpIiEES6_lEEPliNS7_8EqualityENS7_3SumENS0_19lookback_scan_stateINS_5tupleIJibEEELb0ELb1EEEiEEvT2_T3_T4_T5_T6_T7_T8_mmmPKNSG_IJT9_bEEE.kd
    .uniform_work_group_size: 1
    .uses_dynamic_stack: false
    .vgpr_count:     79
    .vgpr_spill_count: 0
    .wavefront_size: 64
  - .agpr_count:     0
    .args:
      - .address_space:  global
        .offset:         0
        .size:           8
        .value_kind:     global_buffer
      - .offset:         8
        .size:           4
        .value_kind:     by_value
      - .offset:         12
        .size:           4
        .value_kind:     by_value
      - .address_space:  global
        .offset:         16
        .size:           8
        .value_kind:     global_buffer
      - .offset:         24
        .size:           4
        .value_kind:     hidden_block_count_x
      - .offset:         28
        .size:           4
        .value_kind:     hidden_block_count_y
      - .offset:         32
        .size:           4
        .value_kind:     hidden_block_count_z
      - .offset:         36
        .size:           2
        .value_kind:     hidden_group_size_x
      - .offset:         38
        .size:           2
        .value_kind:     hidden_group_size_y
      - .offset:         40
        .size:           2
        .value_kind:     hidden_group_size_z
      - .offset:         42
        .size:           2
        .value_kind:     hidden_remainder_x
      - .offset:         44
        .size:           2
        .value_kind:     hidden_remainder_y
      - .offset:         46
        .size:           2
        .value_kind:     hidden_remainder_z
      - .offset:         64
        .size:           8
        .value_kind:     hidden_global_offset_x
      - .offset:         72
        .size:           8
        .value_kind:     hidden_global_offset_y
      - .offset:         80
        .size:           8
        .value_kind:     hidden_global_offset_z
      - .offset:         88
        .size:           2
        .value_kind:     hidden_grid_dims
    .group_segment_fixed_size: 0
    .kernarg_segment_align: 8
    .kernarg_segment_size: 280
    .language:       OpenCL C
    .language_version:
      - 2
      - 0
    .max_flat_workgroup_size: 256
    .name:           _ZN7rocprim6detail31init_lookback_scan_state_kernelINS0_19lookback_scan_stateINS_5tupleIJ6__halfbEEELb1ELb1EEEEEvT_jjPNS7_10value_typeE
    .private_segment_fixed_size: 0
    .sgpr_count:     18
    .sgpr_spill_count: 0
    .symbol:         _ZN7rocprim6detail31init_lookback_scan_state_kernelINS0_19lookback_scan_stateINS_5tupleIJ6__halfbEEELb1ELb1EEEEEvT_jjPNS7_10value_typeE.kd
    .uniform_work_group_size: 1
    .uses_dynamic_stack: false
    .vgpr_count:     6
    .vgpr_spill_count: 0
    .wavefront_size: 64
  - .agpr_count:     0
    .args:
      - .address_space:  global
        .offset:         0
        .size:           8
        .value_kind:     global_buffer
      - .offset:         8
        .size:           4
        .value_kind:     by_value
      - .offset:         12
        .size:           4
        .value_kind:     by_value
      - .address_space:  global
        .offset:         16
        .size:           8
        .value_kind:     global_buffer
      - .offset:         24
        .size:           4
        .value_kind:     hidden_block_count_x
      - .offset:         28
        .size:           4
        .value_kind:     hidden_block_count_y
      - .offset:         32
        .size:           4
        .value_kind:     hidden_block_count_z
      - .offset:         36
        .size:           2
        .value_kind:     hidden_group_size_x
      - .offset:         38
        .size:           2
        .value_kind:     hidden_group_size_y
      - .offset:         40
        .size:           2
        .value_kind:     hidden_group_size_z
      - .offset:         42
        .size:           2
        .value_kind:     hidden_remainder_x
      - .offset:         44
        .size:           2
        .value_kind:     hidden_remainder_y
      - .offset:         46
        .size:           2
        .value_kind:     hidden_remainder_z
      - .offset:         64
        .size:           8
        .value_kind:     hidden_global_offset_x
      - .offset:         72
        .size:           8
        .value_kind:     hidden_global_offset_y
      - .offset:         80
        .size:           8
        .value_kind:     hidden_global_offset_z
      - .offset:         88
        .size:           2
        .value_kind:     hidden_grid_dims
    .group_segment_fixed_size: 0
    .kernarg_segment_align: 8
    .kernarg_segment_size: 280
    .language:       OpenCL C
    .language_version:
      - 2
      - 0
    .max_flat_workgroup_size: 256
    .name:           _ZN7rocprim6detail31init_lookback_scan_state_kernelINS0_19lookback_scan_stateINS_5tupleIJ6__halfbEEELb0ELb1EEEEEvT_jjPNS7_10value_typeE
    .private_segment_fixed_size: 0
    .sgpr_count:     16
    .sgpr_spill_count: 0
    .symbol:         _ZN7rocprim6detail31init_lookback_scan_state_kernelINS0_19lookback_scan_stateINS_5tupleIJ6__halfbEEELb0ELb1EEEEEvT_jjPNS7_10value_typeE.kd
    .uniform_work_group_size: 1
    .uses_dynamic_stack: false
    .vgpr_count:     6
    .vgpr_spill_count: 0
    .wavefront_size: 64
  - .agpr_count:     0
    .args:
      - .address_space:  global
        .offset:         0
        .size:           8
        .value_kind:     global_buffer
      - .offset:         8
        .size:           16
        .value_kind:     by_value
      - .address_space:  global
        .offset:         24
        .size:           8
        .value_kind:     global_buffer
      - .offset:         32
        .size:           2
        .value_kind:     by_value
      - .offset:         34
        .size:           1
        .value_kind:     by_value
      - .offset:         35
        .size:           1
        .value_kind:     by_value
      - .address_space:  global
        .offset:         40
        .size:           8
        .value_kind:     global_buffer
      - .offset:         48
        .size:           8
        .value_kind:     by_value
      - .offset:         56
        .size:           8
        .value_kind:     by_value
      - .offset:         64
        .size:           8
        .value_kind:     by_value
      - .address_space:  global
        .offset:         72
        .size:           8
        .value_kind:     global_buffer
    .group_segment_fixed_size: 0
    .kernarg_segment_align: 8
    .kernarg_segment_size: 80
    .language:       OpenCL C
    .language_version:
      - 2
      - 0
    .max_flat_workgroup_size: 256
    .name:           _ZN7rocprim6detail25device_scan_by_key_kernelILNS0_25lookback_scan_determinismE0ELb0ENS0_26wrapped_scan_by_key_configINS_14default_configEi6__halfEEPiN6hipcub22TransformInputIteratorIS5_NS8_6CastOpIS5_EEPS5_lEESC_S5_NS8_8EqualityENS8_3SumENS0_19lookback_scan_stateINS_5tupleIJS5_bEEELb1ELb1EEES5_EEvT2_T3_T4_T5_T6_T7_T8_mmmPKNSH_IJT9_bEEE
    .private_segment_fixed_size: 0
    .sgpr_count:     6
    .sgpr_spill_count: 0
    .symbol:         _ZN7rocprim6detail25device_scan_by_key_kernelILNS0_25lookback_scan_determinismE0ELb0ENS0_26wrapped_scan_by_key_configINS_14default_configEi6__halfEEPiN6hipcub22TransformInputIteratorIS5_NS8_6CastOpIS5_EEPS5_lEESC_S5_NS8_8EqualityENS8_3SumENS0_19lookback_scan_stateINS_5tupleIJS5_bEEELb1ELb1EEES5_EEvT2_T3_T4_T5_T6_T7_T8_mmmPKNSH_IJT9_bEEE.kd
    .uniform_work_group_size: 1
    .uses_dynamic_stack: false
    .vgpr_count:     0
    .vgpr_spill_count: 0
    .wavefront_size: 64
  - .agpr_count:     0
    .args:
      - .address_space:  global
        .offset:         0
        .size:           8
        .value_kind:     global_buffer
      - .offset:         8
        .size:           16
        .value_kind:     by_value
      - .address_space:  global
        .offset:         24
        .size:           8
        .value_kind:     global_buffer
      - .offset:         32
        .size:           2
        .value_kind:     by_value
      - .offset:         34
        .size:           1
        .value_kind:     by_value
      - .offset:         35
        .size:           1
        .value_kind:     by_value
      - .address_space:  global
        .offset:         40
        .size:           8
        .value_kind:     global_buffer
      - .offset:         48
        .size:           8
        .value_kind:     by_value
      - .offset:         56
        .size:           8
        .value_kind:     by_value
      - .offset:         64
        .size:           8
        .value_kind:     by_value
      - .address_space:  global
        .offset:         72
        .size:           8
        .value_kind:     global_buffer
    .group_segment_fixed_size: 26624
    .kernarg_segment_align: 8
    .kernarg_segment_size: 80
    .language:       OpenCL C
    .language_version:
      - 2
      - 0
    .max_flat_workgroup_size: 256
    .name:           _ZN7rocprim6detail25device_scan_by_key_kernelILNS0_25lookback_scan_determinismE0ELb0ENS0_26wrapped_scan_by_key_configINS_14default_configEi6__halfEEPiN6hipcub22TransformInputIteratorIS5_NS8_6CastOpIS5_EEPS5_lEESC_S5_NS8_8EqualityENS8_3SumENS0_19lookback_scan_stateINS_5tupleIJS5_bEEELb0ELb1EEES5_EEvT2_T3_T4_T5_T6_T7_T8_mmmPKNSH_IJT9_bEEE
    .private_segment_fixed_size: 0
    .sgpr_count:     106
    .sgpr_spill_count: 0
    .symbol:         _ZN7rocprim6detail25device_scan_by_key_kernelILNS0_25lookback_scan_determinismE0ELb0ENS0_26wrapped_scan_by_key_configINS_14default_configEi6__halfEEPiN6hipcub22TransformInputIteratorIS5_NS8_6CastOpIS5_EEPS5_lEESC_S5_NS8_8EqualityENS8_3SumENS0_19lookback_scan_stateINS_5tupleIJS5_bEEELb0ELb1EEES5_EEvT2_T3_T4_T5_T6_T7_T8_mmmPKNSH_IJT9_bEEE.kd
    .uniform_work_group_size: 1
    .uses_dynamic_stack: false
    .vgpr_count:     77
    .vgpr_spill_count: 0
    .wavefront_size: 64
  - .agpr_count:     0
    .args:
      - .address_space:  global
        .offset:         0
        .size:           8
        .value_kind:     global_buffer
      - .offset:         8
        .size:           16
        .value_kind:     by_value
      - .address_space:  global
        .offset:         24
        .size:           8
        .value_kind:     global_buffer
      - .offset:         32
        .size:           2
        .value_kind:     by_value
      - .offset:         34
        .size:           1
        .value_kind:     by_value
      - .offset:         35
        .size:           1
        .value_kind:     by_value
      - .address_space:  global
        .offset:         40
        .size:           8
        .value_kind:     global_buffer
      - .offset:         48
        .size:           8
        .value_kind:     by_value
      - .offset:         56
        .size:           8
        .value_kind:     by_value
      - .offset:         64
        .size:           8
        .value_kind:     by_value
      - .address_space:  global
        .offset:         72
        .size:           8
        .value_kind:     global_buffer
    .group_segment_fixed_size: 0
    .kernarg_segment_align: 8
    .kernarg_segment_size: 80
    .language:       OpenCL C
    .language_version:
      - 2
      - 0
    .max_flat_workgroup_size: 256
    .name:           _ZN7rocprim6detail25device_scan_by_key_kernelILNS0_25lookback_scan_determinismE0ELb0ENS0_26wrapped_scan_by_key_configINS_14default_configEi6__halfEEPiN6hipcub22TransformInputIteratorIS5_NS8_6CastOpIS5_EEPS5_lEESC_S5_NS8_8EqualityENS8_3MaxENS0_19lookback_scan_stateINS_5tupleIJS5_bEEELb1ELb1EEES5_EEvT2_T3_T4_T5_T6_T7_T8_mmmPKNSH_IJT9_bEEE
    .private_segment_fixed_size: 0
    .sgpr_count:     6
    .sgpr_spill_count: 0
    .symbol:         _ZN7rocprim6detail25device_scan_by_key_kernelILNS0_25lookback_scan_determinismE0ELb0ENS0_26wrapped_scan_by_key_configINS_14default_configEi6__halfEEPiN6hipcub22TransformInputIteratorIS5_NS8_6CastOpIS5_EEPS5_lEESC_S5_NS8_8EqualityENS8_3MaxENS0_19lookback_scan_stateINS_5tupleIJS5_bEEELb1ELb1EEES5_EEvT2_T3_T4_T5_T6_T7_T8_mmmPKNSH_IJT9_bEEE.kd
    .uniform_work_group_size: 1
    .uses_dynamic_stack: false
    .vgpr_count:     0
    .vgpr_spill_count: 0
    .wavefront_size: 64
  - .agpr_count:     0
    .args:
      - .address_space:  global
        .offset:         0
        .size:           8
        .value_kind:     global_buffer
      - .offset:         8
        .size:           16
        .value_kind:     by_value
      - .address_space:  global
        .offset:         24
        .size:           8
        .value_kind:     global_buffer
      - .offset:         32
        .size:           2
        .value_kind:     by_value
      - .offset:         34
        .size:           1
        .value_kind:     by_value
      - .offset:         35
        .size:           1
        .value_kind:     by_value
      - .address_space:  global
        .offset:         40
        .size:           8
        .value_kind:     global_buffer
      - .offset:         48
        .size:           8
        .value_kind:     by_value
      - .offset:         56
        .size:           8
        .value_kind:     by_value
      - .offset:         64
        .size:           8
        .value_kind:     by_value
      - .address_space:  global
        .offset:         72
        .size:           8
        .value_kind:     global_buffer
    .group_segment_fixed_size: 26624
    .kernarg_segment_align: 8
    .kernarg_segment_size: 80
    .language:       OpenCL C
    .language_version:
      - 2
      - 0
    .max_flat_workgroup_size: 256
    .name:           _ZN7rocprim6detail25device_scan_by_key_kernelILNS0_25lookback_scan_determinismE0ELb0ENS0_26wrapped_scan_by_key_configINS_14default_configEi6__halfEEPiN6hipcub22TransformInputIteratorIS5_NS8_6CastOpIS5_EEPS5_lEESC_S5_NS8_8EqualityENS8_3MaxENS0_19lookback_scan_stateINS_5tupleIJS5_bEEELb0ELb1EEES5_EEvT2_T3_T4_T5_T6_T7_T8_mmmPKNSH_IJT9_bEEE
    .private_segment_fixed_size: 0
    .sgpr_count:     104
    .sgpr_spill_count: 0
    .symbol:         _ZN7rocprim6detail25device_scan_by_key_kernelILNS0_25lookback_scan_determinismE0ELb0ENS0_26wrapped_scan_by_key_configINS_14default_configEi6__halfEEPiN6hipcub22TransformInputIteratorIS5_NS8_6CastOpIS5_EEPS5_lEESC_S5_NS8_8EqualityENS8_3MaxENS0_19lookback_scan_stateINS_5tupleIJS5_bEEELb0ELb1EEES5_EEvT2_T3_T4_T5_T6_T7_T8_mmmPKNSH_IJT9_bEEE.kd
    .uniform_work_group_size: 1
    .uses_dynamic_stack: false
    .vgpr_count:     77
    .vgpr_spill_count: 0
    .wavefront_size: 64
  - .agpr_count:     0
    .args:
      - .address_space:  global
        .offset:         0
        .size:           8
        .value_kind:     global_buffer
      - .offset:         8
        .size:           4
        .value_kind:     by_value
      - .offset:         12
        .size:           4
        .value_kind:     by_value
      - .address_space:  global
        .offset:         16
        .size:           8
        .value_kind:     global_buffer
      - .offset:         24
        .size:           4
        .value_kind:     hidden_block_count_x
      - .offset:         28
        .size:           4
        .value_kind:     hidden_block_count_y
      - .offset:         32
        .size:           4
        .value_kind:     hidden_block_count_z
      - .offset:         36
        .size:           2
        .value_kind:     hidden_group_size_x
      - .offset:         38
        .size:           2
        .value_kind:     hidden_group_size_y
      - .offset:         40
        .size:           2
        .value_kind:     hidden_group_size_z
      - .offset:         42
        .size:           2
        .value_kind:     hidden_remainder_x
      - .offset:         44
        .size:           2
        .value_kind:     hidden_remainder_y
      - .offset:         46
        .size:           2
        .value_kind:     hidden_remainder_z
      - .offset:         64
        .size:           8
        .value_kind:     hidden_global_offset_x
      - .offset:         72
        .size:           8
        .value_kind:     hidden_global_offset_y
      - .offset:         80
        .size:           8
        .value_kind:     hidden_global_offset_z
      - .offset:         88
        .size:           2
        .value_kind:     hidden_grid_dims
    .group_segment_fixed_size: 0
    .kernarg_segment_align: 8
    .kernarg_segment_size: 280
    .language:       OpenCL C
    .language_version:
      - 2
      - 0
    .max_flat_workgroup_size: 256
    .name:           _ZN7rocprim6detail31init_lookback_scan_state_kernelINS0_19lookback_scan_stateINS_5tupleIJ12hip_bfloat16bEEELb1ELb1EEEEEvT_jjPNS7_10value_typeE
    .private_segment_fixed_size: 0
    .sgpr_count:     18
    .sgpr_spill_count: 0
    .symbol:         _ZN7rocprim6detail31init_lookback_scan_state_kernelINS0_19lookback_scan_stateINS_5tupleIJ12hip_bfloat16bEEELb1ELb1EEEEEvT_jjPNS7_10value_typeE.kd
    .uniform_work_group_size: 1
    .uses_dynamic_stack: false
    .vgpr_count:     6
    .vgpr_spill_count: 0
    .wavefront_size: 64
  - .agpr_count:     0
    .args:
      - .address_space:  global
        .offset:         0
        .size:           8
        .value_kind:     global_buffer
      - .offset:         8
        .size:           4
        .value_kind:     by_value
      - .offset:         12
        .size:           4
        .value_kind:     by_value
      - .address_space:  global
        .offset:         16
        .size:           8
        .value_kind:     global_buffer
      - .offset:         24
        .size:           4
        .value_kind:     hidden_block_count_x
      - .offset:         28
        .size:           4
        .value_kind:     hidden_block_count_y
      - .offset:         32
        .size:           4
        .value_kind:     hidden_block_count_z
      - .offset:         36
        .size:           2
        .value_kind:     hidden_group_size_x
      - .offset:         38
        .size:           2
        .value_kind:     hidden_group_size_y
      - .offset:         40
        .size:           2
        .value_kind:     hidden_group_size_z
      - .offset:         42
        .size:           2
        .value_kind:     hidden_remainder_x
      - .offset:         44
        .size:           2
        .value_kind:     hidden_remainder_y
      - .offset:         46
        .size:           2
        .value_kind:     hidden_remainder_z
      - .offset:         64
        .size:           8
        .value_kind:     hidden_global_offset_x
      - .offset:         72
        .size:           8
        .value_kind:     hidden_global_offset_y
      - .offset:         80
        .size:           8
        .value_kind:     hidden_global_offset_z
      - .offset:         88
        .size:           2
        .value_kind:     hidden_grid_dims
    .group_segment_fixed_size: 0
    .kernarg_segment_align: 8
    .kernarg_segment_size: 280
    .language:       OpenCL C
    .language_version:
      - 2
      - 0
    .max_flat_workgroup_size: 256
    .name:           _ZN7rocprim6detail31init_lookback_scan_state_kernelINS0_19lookback_scan_stateINS_5tupleIJ12hip_bfloat16bEEELb0ELb1EEEEEvT_jjPNS7_10value_typeE
    .private_segment_fixed_size: 0
    .sgpr_count:     16
    .sgpr_spill_count: 0
    .symbol:         _ZN7rocprim6detail31init_lookback_scan_state_kernelINS0_19lookback_scan_stateINS_5tupleIJ12hip_bfloat16bEEELb0ELb1EEEEEvT_jjPNS7_10value_typeE.kd
    .uniform_work_group_size: 1
    .uses_dynamic_stack: false
    .vgpr_count:     6
    .vgpr_spill_count: 0
    .wavefront_size: 64
  - .agpr_count:     0
    .args:
      - .address_space:  global
        .offset:         0
        .size:           8
        .value_kind:     global_buffer
      - .offset:         8
        .size:           16
        .value_kind:     by_value
      - .address_space:  global
        .offset:         24
        .size:           8
        .value_kind:     global_buffer
      - .offset:         32
        .size:           2
        .value_kind:     by_value
      - .offset:         34
        .size:           1
        .value_kind:     by_value
      - .offset:         35
        .size:           1
        .value_kind:     by_value
      - .address_space:  global
        .offset:         40
        .size:           8
        .value_kind:     global_buffer
      - .offset:         48
        .size:           8
        .value_kind:     by_value
      - .offset:         56
        .size:           8
        .value_kind:     by_value
      - .offset:         64
        .size:           8
        .value_kind:     by_value
      - .address_space:  global
        .offset:         72
        .size:           8
        .value_kind:     global_buffer
    .group_segment_fixed_size: 0
    .kernarg_segment_align: 8
    .kernarg_segment_size: 80
    .language:       OpenCL C
    .language_version:
      - 2
      - 0
    .max_flat_workgroup_size: 256
    .name:           _ZN7rocprim6detail25device_scan_by_key_kernelILNS0_25lookback_scan_determinismE0ELb0ENS0_26wrapped_scan_by_key_configINS_14default_configEi12hip_bfloat16EEPiN6hipcub22TransformInputIteratorIS5_NS8_6CastOpIS5_EEPS5_lEESC_S5_NS8_8EqualityENS8_3SumENS0_19lookback_scan_stateINS_5tupleIJS5_bEEELb1ELb1EEES5_EEvT2_T3_T4_T5_T6_T7_T8_mmmPKNSH_IJT9_bEEE
    .private_segment_fixed_size: 0
    .sgpr_count:     6
    .sgpr_spill_count: 0
    .symbol:         _ZN7rocprim6detail25device_scan_by_key_kernelILNS0_25lookback_scan_determinismE0ELb0ENS0_26wrapped_scan_by_key_configINS_14default_configEi12hip_bfloat16EEPiN6hipcub22TransformInputIteratorIS5_NS8_6CastOpIS5_EEPS5_lEESC_S5_NS8_8EqualityENS8_3SumENS0_19lookback_scan_stateINS_5tupleIJS5_bEEELb1ELb1EEES5_EEvT2_T3_T4_T5_T6_T7_T8_mmmPKNSH_IJT9_bEEE.kd
    .uniform_work_group_size: 1
    .uses_dynamic_stack: false
    .vgpr_count:     0
    .vgpr_spill_count: 0
    .wavefront_size: 64
  - .agpr_count:     0
    .args:
      - .address_space:  global
        .offset:         0
        .size:           8
        .value_kind:     global_buffer
      - .offset:         8
        .size:           16
        .value_kind:     by_value
      - .address_space:  global
        .offset:         24
        .size:           8
        .value_kind:     global_buffer
      - .offset:         32
        .size:           2
        .value_kind:     by_value
      - .offset:         34
        .size:           1
        .value_kind:     by_value
      - .offset:         35
        .size:           1
        .value_kind:     by_value
      - .address_space:  global
        .offset:         40
        .size:           8
        .value_kind:     global_buffer
      - .offset:         48
        .size:           8
        .value_kind:     by_value
      - .offset:         56
        .size:           8
        .value_kind:     by_value
      - .offset:         64
        .size:           8
        .value_kind:     by_value
      - .address_space:  global
        .offset:         72
        .size:           8
        .value_kind:     global_buffer
    .group_segment_fixed_size: 26624
    .kernarg_segment_align: 8
    .kernarg_segment_size: 80
    .language:       OpenCL C
    .language_version:
      - 2
      - 0
    .max_flat_workgroup_size: 256
    .name:           _ZN7rocprim6detail25device_scan_by_key_kernelILNS0_25lookback_scan_determinismE0ELb0ENS0_26wrapped_scan_by_key_configINS_14default_configEi12hip_bfloat16EEPiN6hipcub22TransformInputIteratorIS5_NS8_6CastOpIS5_EEPS5_lEESC_S5_NS8_8EqualityENS8_3SumENS0_19lookback_scan_stateINS_5tupleIJS5_bEEELb0ELb1EEES5_EEvT2_T3_T4_T5_T6_T7_T8_mmmPKNSH_IJT9_bEEE
    .private_segment_fixed_size: 0
    .sgpr_count:     82
    .sgpr_spill_count: 0
    .symbol:         _ZN7rocprim6detail25device_scan_by_key_kernelILNS0_25lookback_scan_determinismE0ELb0ENS0_26wrapped_scan_by_key_configINS_14default_configEi12hip_bfloat16EEPiN6hipcub22TransformInputIteratorIS5_NS8_6CastOpIS5_EEPS5_lEESC_S5_NS8_8EqualityENS8_3SumENS0_19lookback_scan_stateINS_5tupleIJS5_bEEELb0ELb1EEES5_EEvT2_T3_T4_T5_T6_T7_T8_mmmPKNSH_IJT9_bEEE.kd
    .uniform_work_group_size: 1
    .uses_dynamic_stack: false
    .vgpr_count:     76
    .vgpr_spill_count: 0
    .wavefront_size: 64
  - .agpr_count:     0
    .args:
      - .address_space:  global
        .offset:         0
        .size:           8
        .value_kind:     global_buffer
      - .offset:         8
        .size:           16
        .value_kind:     by_value
      - .address_space:  global
        .offset:         24
        .size:           8
        .value_kind:     global_buffer
      - .offset:         32
        .size:           2
        .value_kind:     by_value
      - .offset:         34
        .size:           1
        .value_kind:     by_value
      - .offset:         35
        .size:           1
        .value_kind:     by_value
      - .address_space:  global
        .offset:         40
        .size:           8
        .value_kind:     global_buffer
      - .offset:         48
        .size:           8
        .value_kind:     by_value
      - .offset:         56
        .size:           8
        .value_kind:     by_value
      - .offset:         64
        .size:           8
        .value_kind:     by_value
      - .address_space:  global
        .offset:         72
        .size:           8
        .value_kind:     global_buffer
    .group_segment_fixed_size: 0
    .kernarg_segment_align: 8
    .kernarg_segment_size: 80
    .language:       OpenCL C
    .language_version:
      - 2
      - 0
    .max_flat_workgroup_size: 256
    .name:           _ZN7rocprim6detail25device_scan_by_key_kernelILNS0_25lookback_scan_determinismE0ELb0ENS0_26wrapped_scan_by_key_configINS_14default_configEi12hip_bfloat16EEPiN6hipcub22TransformInputIteratorIS5_NS8_6CastOpIS5_EEPS5_lEESC_S5_NS8_8EqualityENS8_3MaxENS0_19lookback_scan_stateINS_5tupleIJS5_bEEELb1ELb1EEES5_EEvT2_T3_T4_T5_T6_T7_T8_mmmPKNSH_IJT9_bEEE
    .private_segment_fixed_size: 0
    .sgpr_count:     6
    .sgpr_spill_count: 0
    .symbol:         _ZN7rocprim6detail25device_scan_by_key_kernelILNS0_25lookback_scan_determinismE0ELb0ENS0_26wrapped_scan_by_key_configINS_14default_configEi12hip_bfloat16EEPiN6hipcub22TransformInputIteratorIS5_NS8_6CastOpIS5_EEPS5_lEESC_S5_NS8_8EqualityENS8_3MaxENS0_19lookback_scan_stateINS_5tupleIJS5_bEEELb1ELb1EEES5_EEvT2_T3_T4_T5_T6_T7_T8_mmmPKNSH_IJT9_bEEE.kd
    .uniform_work_group_size: 1
    .uses_dynamic_stack: false
    .vgpr_count:     0
    .vgpr_spill_count: 0
    .wavefront_size: 64
  - .agpr_count:     0
    .args:
      - .address_space:  global
        .offset:         0
        .size:           8
        .value_kind:     global_buffer
      - .offset:         8
        .size:           16
        .value_kind:     by_value
      - .address_space:  global
        .offset:         24
        .size:           8
        .value_kind:     global_buffer
      - .offset:         32
        .size:           2
        .value_kind:     by_value
      - .offset:         34
        .size:           1
        .value_kind:     by_value
      - .offset:         35
        .size:           1
        .value_kind:     by_value
      - .address_space:  global
        .offset:         40
        .size:           8
        .value_kind:     global_buffer
      - .offset:         48
        .size:           8
        .value_kind:     by_value
      - .offset:         56
        .size:           8
        .value_kind:     by_value
      - .offset:         64
        .size:           8
        .value_kind:     by_value
      - .address_space:  global
        .offset:         72
        .size:           8
        .value_kind:     global_buffer
    .group_segment_fixed_size: 26624
    .kernarg_segment_align: 8
    .kernarg_segment_size: 80
    .language:       OpenCL C
    .language_version:
      - 2
      - 0
    .max_flat_workgroup_size: 256
    .name:           _ZN7rocprim6detail25device_scan_by_key_kernelILNS0_25lookback_scan_determinismE0ELb0ENS0_26wrapped_scan_by_key_configINS_14default_configEi12hip_bfloat16EEPiN6hipcub22TransformInputIteratorIS5_NS8_6CastOpIS5_EEPS5_lEESC_S5_NS8_8EqualityENS8_3MaxENS0_19lookback_scan_stateINS_5tupleIJS5_bEEELb0ELb1EEES5_EEvT2_T3_T4_T5_T6_T7_T8_mmmPKNSH_IJT9_bEEE
    .private_segment_fixed_size: 0
    .sgpr_count:     82
    .sgpr_spill_count: 0
    .symbol:         _ZN7rocprim6detail25device_scan_by_key_kernelILNS0_25lookback_scan_determinismE0ELb0ENS0_26wrapped_scan_by_key_configINS_14default_configEi12hip_bfloat16EEPiN6hipcub22TransformInputIteratorIS5_NS8_6CastOpIS5_EEPS5_lEESC_S5_NS8_8EqualityENS8_3MaxENS0_19lookback_scan_stateINS_5tupleIJS5_bEEELb0ELb1EEES5_EEvT2_T3_T4_T5_T6_T7_T8_mmmPKNSH_IJT9_bEEE.kd
    .uniform_work_group_size: 1
    .uses_dynamic_stack: false
    .vgpr_count:     81
    .vgpr_spill_count: 0
    .wavefront_size: 64
  - .agpr_count:     0
    .args:
      - .address_space:  global
        .offset:         0
        .size:           8
        .value_kind:     global_buffer
      - .offset:         8
        .size:           16
        .value_kind:     by_value
      - .address_space:  global
        .offset:         24
        .size:           8
        .value_kind:     global_buffer
      - .offset:         32
        .size:           4
        .value_kind:     by_value
      - .offset:         36
        .size:           1
        .value_kind:     by_value
      - .offset:         37
        .size:           1
        .value_kind:     by_value
      - .address_space:  global
        .offset:         40
        .size:           8
        .value_kind:     global_buffer
      - .offset:         48
        .size:           8
        .value_kind:     by_value
      - .offset:         56
        .size:           8
        .value_kind:     by_value
      - .offset:         64
        .size:           8
        .value_kind:     by_value
      - .address_space:  global
        .offset:         72
        .size:           8
        .value_kind:     global_buffer
    .group_segment_fixed_size: 0
    .kernarg_segment_align: 8
    .kernarg_segment_size: 80
    .language:       OpenCL C
    .language_version:
      - 2
      - 0
    .max_flat_workgroup_size: 256
    .name:           _ZN7rocprim6detail25device_scan_by_key_kernelILNS0_25lookback_scan_determinismE0ELb0ENS0_26wrapped_scan_by_key_configINS_14default_configEiiEEPiN6hipcub22TransformInputIteratorIiNS7_6CastOpIiEES6_lEEPdiNS7_8EqualityENS7_3SumENS0_19lookback_scan_stateINS_5tupleIJibEEELb1ELb1EEEiEEvT2_T3_T4_T5_T6_T7_T8_mmmPKNSG_IJT9_bEEE
    .private_segment_fixed_size: 0
    .sgpr_count:     6
    .sgpr_spill_count: 0
    .symbol:         _ZN7rocprim6detail25device_scan_by_key_kernelILNS0_25lookback_scan_determinismE0ELb0ENS0_26wrapped_scan_by_key_configINS_14default_configEiiEEPiN6hipcub22TransformInputIteratorIiNS7_6CastOpIiEES6_lEEPdiNS7_8EqualityENS7_3SumENS0_19lookback_scan_stateINS_5tupleIJibEEELb1ELb1EEEiEEvT2_T3_T4_T5_T6_T7_T8_mmmPKNSG_IJT9_bEEE.kd
    .uniform_work_group_size: 1
    .uses_dynamic_stack: false
    .vgpr_count:     0
    .vgpr_spill_count: 0
    .wavefront_size: 64
  - .agpr_count:     0
    .args:
      - .address_space:  global
        .offset:         0
        .size:           8
        .value_kind:     global_buffer
      - .offset:         8
        .size:           16
        .value_kind:     by_value
      - .address_space:  global
        .offset:         24
        .size:           8
        .value_kind:     global_buffer
      - .offset:         32
        .size:           4
        .value_kind:     by_value
      - .offset:         36
        .size:           1
        .value_kind:     by_value
      - .offset:         37
        .size:           1
        .value_kind:     by_value
      - .address_space:  global
        .offset:         40
        .size:           8
        .value_kind:     global_buffer
      - .offset:         48
        .size:           8
        .value_kind:     by_value
      - .offset:         56
        .size:           8
        .value_kind:     by_value
      - .offset:         64
        .size:           8
        .value_kind:     by_value
      - .address_space:  global
        .offset:         72
        .size:           8
        .value_kind:     global_buffer
    .group_segment_fixed_size: 25600
    .kernarg_segment_align: 8
    .kernarg_segment_size: 80
    .language:       OpenCL C
    .language_version:
      - 2
      - 0
    .max_flat_workgroup_size: 256
    .name:           _ZN7rocprim6detail25device_scan_by_key_kernelILNS0_25lookback_scan_determinismE0ELb0ENS0_26wrapped_scan_by_key_configINS_14default_configEiiEEPiN6hipcub22TransformInputIteratorIiNS7_6CastOpIiEES6_lEEPdiNS7_8EqualityENS7_3SumENS0_19lookback_scan_stateINS_5tupleIJibEEELb0ELb1EEEiEEvT2_T3_T4_T5_T6_T7_T8_mmmPKNSG_IJT9_bEEE
    .private_segment_fixed_size: 0
    .sgpr_count:     84
    .sgpr_spill_count: 0
    .symbol:         _ZN7rocprim6detail25device_scan_by_key_kernelILNS0_25lookback_scan_determinismE0ELb0ENS0_26wrapped_scan_by_key_configINS_14default_configEiiEEPiN6hipcub22TransformInputIteratorIiNS7_6CastOpIiEES6_lEEPdiNS7_8EqualityENS7_3SumENS0_19lookback_scan_stateINS_5tupleIJibEEELb0ELb1EEEiEEvT2_T3_T4_T5_T6_T7_T8_mmmPKNSG_IJT9_bEEE.kd
    .uniform_work_group_size: 1
    .uses_dynamic_stack: false
    .vgpr_count:     79
    .vgpr_spill_count: 0
    .wavefront_size: 64
  - .agpr_count:     0
    .args:
      - .address_space:  global
        .offset:         0
        .size:           8
        .value_kind:     global_buffer
      - .offset:         8
        .size:           16
        .value_kind:     by_value
      - .address_space:  global
        .offset:         24
        .size:           8
        .value_kind:     global_buffer
      - .offset:         32
        .size:           2
        .value_kind:     by_value
      - .offset:         34
        .size:           1
        .value_kind:     by_value
      - .offset:         35
        .size:           1
        .value_kind:     by_value
      - .address_space:  global
        .offset:         40
        .size:           8
        .value_kind:     global_buffer
      - .offset:         48
        .size:           8
        .value_kind:     by_value
      - .offset:         56
        .size:           8
        .value_kind:     by_value
      - .offset:         64
        .size:           8
        .value_kind:     by_value
      - .address_space:  global
        .offset:         72
        .size:           8
        .value_kind:     global_buffer
    .group_segment_fixed_size: 0
    .kernarg_segment_align: 8
    .kernarg_segment_size: 80
    .language:       OpenCL C
    .language_version:
      - 2
      - 0
    .max_flat_workgroup_size: 256
    .name:           _ZN7rocprim6detail25device_scan_by_key_kernelILNS0_25lookback_scan_determinismE0ELb0ENS0_26wrapped_scan_by_key_configINS_14default_configEiiEEPiN6hipcub22TransformInputIteratorIsNS7_6CastOpIsEEPslEEPfsNS7_8EqualityENS7_3SumENS0_19lookback_scan_stateINS_5tupleIJibEEELb1ELb1EEEiEEvT2_T3_T4_T5_T6_T7_T8_mmmPKNSH_IJT9_bEEE
    .private_segment_fixed_size: 0
    .sgpr_count:     6
    .sgpr_spill_count: 0
    .symbol:         _ZN7rocprim6detail25device_scan_by_key_kernelILNS0_25lookback_scan_determinismE0ELb0ENS0_26wrapped_scan_by_key_configINS_14default_configEiiEEPiN6hipcub22TransformInputIteratorIsNS7_6CastOpIsEEPslEEPfsNS7_8EqualityENS7_3SumENS0_19lookback_scan_stateINS_5tupleIJibEEELb1ELb1EEEiEEvT2_T3_T4_T5_T6_T7_T8_mmmPKNSH_IJT9_bEEE.kd
    .uniform_work_group_size: 1
    .uses_dynamic_stack: false
    .vgpr_count:     0
    .vgpr_spill_count: 0
    .wavefront_size: 64
  - .agpr_count:     0
    .args:
      - .address_space:  global
        .offset:         0
        .size:           8
        .value_kind:     global_buffer
      - .offset:         8
        .size:           16
        .value_kind:     by_value
      - .address_space:  global
        .offset:         24
        .size:           8
        .value_kind:     global_buffer
      - .offset:         32
        .size:           2
        .value_kind:     by_value
      - .offset:         34
        .size:           1
        .value_kind:     by_value
      - .offset:         35
        .size:           1
        .value_kind:     by_value
      - .address_space:  global
        .offset:         40
        .size:           8
        .value_kind:     global_buffer
      - .offset:         48
        .size:           8
        .value_kind:     by_value
      - .offset:         56
        .size:           8
        .value_kind:     by_value
      - .offset:         64
        .size:           8
        .value_kind:     by_value
      - .address_space:  global
        .offset:         72
        .size:           8
        .value_kind:     global_buffer
    .group_segment_fixed_size: 25600
    .kernarg_segment_align: 8
    .kernarg_segment_size: 80
    .language:       OpenCL C
    .language_version:
      - 2
      - 0
    .max_flat_workgroup_size: 256
    .name:           _ZN7rocprim6detail25device_scan_by_key_kernelILNS0_25lookback_scan_determinismE0ELb0ENS0_26wrapped_scan_by_key_configINS_14default_configEiiEEPiN6hipcub22TransformInputIteratorIsNS7_6CastOpIsEEPslEEPfsNS7_8EqualityENS7_3SumENS0_19lookback_scan_stateINS_5tupleIJibEEELb0ELb1EEEiEEvT2_T3_T4_T5_T6_T7_T8_mmmPKNSH_IJT9_bEEE
    .private_segment_fixed_size: 0
    .sgpr_count:     84
    .sgpr_spill_count: 0
    .symbol:         _ZN7rocprim6detail25device_scan_by_key_kernelILNS0_25lookback_scan_determinismE0ELb0ENS0_26wrapped_scan_by_key_configINS_14default_configEiiEEPiN6hipcub22TransformInputIteratorIsNS7_6CastOpIsEEPslEEPfsNS7_8EqualityENS7_3SumENS0_19lookback_scan_stateINS_5tupleIJibEEELb0ELb1EEEiEEvT2_T3_T4_T5_T6_T7_T8_mmmPKNSH_IJT9_bEEE.kd
    .uniform_work_group_size: 1
    .uses_dynamic_stack: false
    .vgpr_count:     80
    .vgpr_spill_count: 0
    .wavefront_size: 64
  - .agpr_count:     0
    .args:
      - .address_space:  global
        .offset:         0
        .size:           8
        .value_kind:     global_buffer
      - .offset:         8
        .size:           4
        .value_kind:     by_value
      - .offset:         12
        .size:           4
        .value_kind:     by_value
      - .address_space:  global
        .offset:         16
        .size:           8
        .value_kind:     global_buffer
      - .offset:         24
        .size:           4
        .value_kind:     hidden_block_count_x
      - .offset:         28
        .size:           4
        .value_kind:     hidden_block_count_y
      - .offset:         32
        .size:           4
        .value_kind:     hidden_block_count_z
      - .offset:         36
        .size:           2
        .value_kind:     hidden_group_size_x
      - .offset:         38
        .size:           2
        .value_kind:     hidden_group_size_y
      - .offset:         40
        .size:           2
        .value_kind:     hidden_group_size_z
      - .offset:         42
        .size:           2
        .value_kind:     hidden_remainder_x
      - .offset:         44
        .size:           2
        .value_kind:     hidden_remainder_y
      - .offset:         46
        .size:           2
        .value_kind:     hidden_remainder_z
      - .offset:         64
        .size:           8
        .value_kind:     hidden_global_offset_x
      - .offset:         72
        .size:           8
        .value_kind:     hidden_global_offset_y
      - .offset:         80
        .size:           8
        .value_kind:     hidden_global_offset_z
      - .offset:         88
        .size:           2
        .value_kind:     hidden_grid_dims
    .group_segment_fixed_size: 0
    .kernarg_segment_align: 8
    .kernarg_segment_size: 280
    .language:       OpenCL C
    .language_version:
      - 2
      - 0
    .max_flat_workgroup_size: 256
    .name:           _ZN7rocprim6detail31init_lookback_scan_state_kernelINS0_19lookback_scan_stateINS_5tupleIJsbEEELb1ELb1EEEEEvT_jjPNS6_10value_typeE
    .private_segment_fixed_size: 0
    .sgpr_count:     18
    .sgpr_spill_count: 0
    .symbol:         _ZN7rocprim6detail31init_lookback_scan_state_kernelINS0_19lookback_scan_stateINS_5tupleIJsbEEELb1ELb1EEEEEvT_jjPNS6_10value_typeE.kd
    .uniform_work_group_size: 1
    .uses_dynamic_stack: false
    .vgpr_count:     6
    .vgpr_spill_count: 0
    .wavefront_size: 64
  - .agpr_count:     0
    .args:
      - .address_space:  global
        .offset:         0
        .size:           8
        .value_kind:     global_buffer
      - .offset:         8
        .size:           4
        .value_kind:     by_value
      - .offset:         12
        .size:           4
        .value_kind:     by_value
      - .address_space:  global
        .offset:         16
        .size:           8
        .value_kind:     global_buffer
      - .offset:         24
        .size:           4
        .value_kind:     hidden_block_count_x
      - .offset:         28
        .size:           4
        .value_kind:     hidden_block_count_y
      - .offset:         32
        .size:           4
        .value_kind:     hidden_block_count_z
      - .offset:         36
        .size:           2
        .value_kind:     hidden_group_size_x
      - .offset:         38
        .size:           2
        .value_kind:     hidden_group_size_y
      - .offset:         40
        .size:           2
        .value_kind:     hidden_group_size_z
      - .offset:         42
        .size:           2
        .value_kind:     hidden_remainder_x
      - .offset:         44
        .size:           2
        .value_kind:     hidden_remainder_y
      - .offset:         46
        .size:           2
        .value_kind:     hidden_remainder_z
      - .offset:         64
        .size:           8
        .value_kind:     hidden_global_offset_x
      - .offset:         72
        .size:           8
        .value_kind:     hidden_global_offset_y
      - .offset:         80
        .size:           8
        .value_kind:     hidden_global_offset_z
      - .offset:         88
        .size:           2
        .value_kind:     hidden_grid_dims
    .group_segment_fixed_size: 0
    .kernarg_segment_align: 8
    .kernarg_segment_size: 280
    .language:       OpenCL C
    .language_version:
      - 2
      - 0
    .max_flat_workgroup_size: 256
    .name:           _ZN7rocprim6detail31init_lookback_scan_state_kernelINS0_19lookback_scan_stateINS_5tupleIJsbEEELb0ELb1EEEEEvT_jjPNS6_10value_typeE
    .private_segment_fixed_size: 0
    .sgpr_count:     16
    .sgpr_spill_count: 0
    .symbol:         _ZN7rocprim6detail31init_lookback_scan_state_kernelINS0_19lookback_scan_stateINS_5tupleIJsbEEELb0ELb1EEEEEvT_jjPNS6_10value_typeE.kd
    .uniform_work_group_size: 1
    .uses_dynamic_stack: false
    .vgpr_count:     6
    .vgpr_spill_count: 0
    .wavefront_size: 64
  - .agpr_count:     0
    .args:
      - .address_space:  global
        .offset:         0
        .size:           8
        .value_kind:     global_buffer
      - .offset:         8
        .size:           16
        .value_kind:     by_value
      - .address_space:  global
        .offset:         24
        .size:           8
        .value_kind:     global_buffer
      - .offset:         32
        .size:           2
        .value_kind:     by_value
      - .offset:         34
        .size:           1
        .value_kind:     by_value
      - .offset:         35
        .size:           1
        .value_kind:     by_value
      - .address_space:  global
        .offset:         40
        .size:           8
        .value_kind:     global_buffer
      - .offset:         48
        .size:           8
        .value_kind:     by_value
      - .offset:         56
        .size:           8
        .value_kind:     by_value
      - .offset:         64
        .size:           8
        .value_kind:     by_value
      - .address_space:  global
        .offset:         72
        .size:           8
        .value_kind:     global_buffer
    .group_segment_fixed_size: 0
    .kernarg_segment_align: 8
    .kernarg_segment_size: 80
    .language:       OpenCL C
    .language_version:
      - 2
      - 0
    .max_flat_workgroup_size: 256
    .name:           _ZN7rocprim6detail25device_scan_by_key_kernelILNS0_25lookback_scan_determinismE0ELb0ENS0_26wrapped_scan_by_key_configINS_14default_configEisEEPiN6hipcub22TransformInputIteratorIsNS7_6CastOpIsEEPslEEPfsNS7_8EqualityENS7_3MaxENS0_19lookback_scan_stateINS_5tupleIJsbEEELb1ELb1EEEsEEvT2_T3_T4_T5_T6_T7_T8_mmmPKNSH_IJT9_bEEE
    .private_segment_fixed_size: 0
    .sgpr_count:     6
    .sgpr_spill_count: 0
    .symbol:         _ZN7rocprim6detail25device_scan_by_key_kernelILNS0_25lookback_scan_determinismE0ELb0ENS0_26wrapped_scan_by_key_configINS_14default_configEisEEPiN6hipcub22TransformInputIteratorIsNS7_6CastOpIsEEPslEEPfsNS7_8EqualityENS7_3MaxENS0_19lookback_scan_stateINS_5tupleIJsbEEELb1ELb1EEEsEEvT2_T3_T4_T5_T6_T7_T8_mmmPKNSH_IJT9_bEEE.kd
    .uniform_work_group_size: 1
    .uses_dynamic_stack: false
    .vgpr_count:     0
    .vgpr_spill_count: 0
    .wavefront_size: 64
  - .agpr_count:     0
    .args:
      - .address_space:  global
        .offset:         0
        .size:           8
        .value_kind:     global_buffer
      - .offset:         8
        .size:           16
        .value_kind:     by_value
      - .address_space:  global
        .offset:         24
        .size:           8
        .value_kind:     global_buffer
      - .offset:         32
        .size:           2
        .value_kind:     by_value
      - .offset:         34
        .size:           1
        .value_kind:     by_value
      - .offset:         35
        .size:           1
        .value_kind:     by_value
      - .address_space:  global
        .offset:         40
        .size:           8
        .value_kind:     global_buffer
      - .offset:         48
        .size:           8
        .value_kind:     by_value
      - .offset:         56
        .size:           8
        .value_kind:     by_value
      - .offset:         64
        .size:           8
        .value_kind:     by_value
      - .address_space:  global
        .offset:         72
        .size:           8
        .value_kind:     global_buffer
    .group_segment_fixed_size: 26624
    .kernarg_segment_align: 8
    .kernarg_segment_size: 80
    .language:       OpenCL C
    .language_version:
      - 2
      - 0
    .max_flat_workgroup_size: 256
    .name:           _ZN7rocprim6detail25device_scan_by_key_kernelILNS0_25lookback_scan_determinismE0ELb0ENS0_26wrapped_scan_by_key_configINS_14default_configEisEEPiN6hipcub22TransformInputIteratorIsNS7_6CastOpIsEEPslEEPfsNS7_8EqualityENS7_3MaxENS0_19lookback_scan_stateINS_5tupleIJsbEEELb0ELb1EEEsEEvT2_T3_T4_T5_T6_T7_T8_mmmPKNSH_IJT9_bEEE
    .private_segment_fixed_size: 0
    .sgpr_count:     82
    .sgpr_spill_count: 0
    .symbol:         _ZN7rocprim6detail25device_scan_by_key_kernelILNS0_25lookback_scan_determinismE0ELb0ENS0_26wrapped_scan_by_key_configINS_14default_configEisEEPiN6hipcub22TransformInputIteratorIsNS7_6CastOpIsEEPslEEPfsNS7_8EqualityENS7_3MaxENS0_19lookback_scan_stateINS_5tupleIJsbEEELb0ELb1EEEsEEvT2_T3_T4_T5_T6_T7_T8_mmmPKNSH_IJT9_bEEE.kd
    .uniform_work_group_size: 1
    .uses_dynamic_stack: false
    .vgpr_count:     60
    .vgpr_spill_count: 0
    .wavefront_size: 64
  - .agpr_count:     0
    .args:
      - .offset:         0
        .size:           24
        .value_kind:     by_value
      - .offset:         24
        .size:           4
        .value_kind:     by_value
      - .offset:         28
        .size:           4
        .value_kind:     by_value
      - .address_space:  global
        .offset:         32
        .size:           8
        .value_kind:     global_buffer
      - .offset:         40
        .size:           4
        .value_kind:     hidden_block_count_x
      - .offset:         44
        .size:           4
        .value_kind:     hidden_block_count_y
      - .offset:         48
        .size:           4
        .value_kind:     hidden_block_count_z
      - .offset:         52
        .size:           2
        .value_kind:     hidden_group_size_x
      - .offset:         54
        .size:           2
        .value_kind:     hidden_group_size_y
      - .offset:         56
        .size:           2
        .value_kind:     hidden_group_size_z
      - .offset:         58
        .size:           2
        .value_kind:     hidden_remainder_x
      - .offset:         60
        .size:           2
        .value_kind:     hidden_remainder_y
      - .offset:         62
        .size:           2
        .value_kind:     hidden_remainder_z
      - .offset:         80
        .size:           8
        .value_kind:     hidden_global_offset_x
      - .offset:         88
        .size:           8
        .value_kind:     hidden_global_offset_y
      - .offset:         96
        .size:           8
        .value_kind:     hidden_global_offset_z
      - .offset:         104
        .size:           2
        .value_kind:     hidden_grid_dims
    .group_segment_fixed_size: 0
    .kernarg_segment_align: 8
    .kernarg_segment_size: 296
    .language:       OpenCL C
    .language_version:
      - 2
      - 0
    .max_flat_workgroup_size: 256
    .name:           _ZN7rocprim6detail31init_lookback_scan_state_kernelINS0_19lookback_scan_stateINS_5tupleIJmbEEELb1ELb0EEEEEvT_jjPNS6_10value_typeE
    .private_segment_fixed_size: 0
    .sgpr_count:     24
    .sgpr_spill_count: 0
    .symbol:         _ZN7rocprim6detail31init_lookback_scan_state_kernelINS0_19lookback_scan_stateINS_5tupleIJmbEEELb1ELb0EEEEEvT_jjPNS6_10value_typeE.kd
    .uniform_work_group_size: 1
    .uses_dynamic_stack: false
    .vgpr_count:     6
    .vgpr_spill_count: 0
    .wavefront_size: 64
  - .agpr_count:     0
    .args:
      - .offset:         0
        .size:           24
        .value_kind:     by_value
      - .offset:         24
        .size:           4
        .value_kind:     by_value
      - .offset:         28
        .size:           4
        .value_kind:     by_value
      - .address_space:  global
        .offset:         32
        .size:           8
        .value_kind:     global_buffer
      - .offset:         40
        .size:           4
        .value_kind:     hidden_block_count_x
      - .offset:         44
        .size:           4
        .value_kind:     hidden_block_count_y
      - .offset:         48
        .size:           4
        .value_kind:     hidden_block_count_z
      - .offset:         52
        .size:           2
        .value_kind:     hidden_group_size_x
      - .offset:         54
        .size:           2
        .value_kind:     hidden_group_size_y
      - .offset:         56
        .size:           2
        .value_kind:     hidden_group_size_z
      - .offset:         58
        .size:           2
        .value_kind:     hidden_remainder_x
      - .offset:         60
        .size:           2
        .value_kind:     hidden_remainder_y
      - .offset:         62
        .size:           2
        .value_kind:     hidden_remainder_z
      - .offset:         80
        .size:           8
        .value_kind:     hidden_global_offset_x
      - .offset:         88
        .size:           8
        .value_kind:     hidden_global_offset_y
      - .offset:         96
        .size:           8
        .value_kind:     hidden_global_offset_z
      - .offset:         104
        .size:           2
        .value_kind:     hidden_grid_dims
    .group_segment_fixed_size: 0
    .kernarg_segment_align: 8
    .kernarg_segment_size: 296
    .language:       OpenCL C
    .language_version:
      - 2
      - 0
    .max_flat_workgroup_size: 256
    .name:           _ZN7rocprim6detail31init_lookback_scan_state_kernelINS0_19lookback_scan_stateINS_5tupleIJmbEEELb0ELb0EEEEEvT_jjPNS6_10value_typeE
    .private_segment_fixed_size: 0
    .sgpr_count:     22
    .sgpr_spill_count: 0
    .symbol:         _ZN7rocprim6detail31init_lookback_scan_state_kernelINS0_19lookback_scan_stateINS_5tupleIJmbEEELb0ELb0EEEEEvT_jjPNS6_10value_typeE.kd
    .uniform_work_group_size: 1
    .uses_dynamic_stack: false
    .vgpr_count:     6
    .vgpr_spill_count: 0
    .wavefront_size: 64
  - .agpr_count:     0
    .args:
      - .address_space:  global
        .offset:         0
        .size:           8
        .value_kind:     global_buffer
      - .offset:         8
        .size:           16
        .value_kind:     by_value
      - .address_space:  global
        .offset:         24
        .size:           8
        .value_kind:     global_buffer
      - .offset:         32
        .size:           8
        .value_kind:     by_value
      - .offset:         40
        .size:           1
        .value_kind:     by_value
      - .offset:         41
        .size:           1
        .value_kind:     by_value
      - .offset:         48
        .size:           24
        .value_kind:     by_value
      - .offset:         72
        .size:           8
        .value_kind:     by_value
      - .offset:         80
        .size:           8
        .value_kind:     by_value
      - .offset:         88
        .size:           8
        .value_kind:     by_value
      - .address_space:  global
        .offset:         96
        .size:           8
        .value_kind:     global_buffer
    .group_segment_fixed_size: 0
    .kernarg_segment_align: 8
    .kernarg_segment_size: 104
    .language:       OpenCL C
    .language_version:
      - 2
      - 0
    .max_flat_workgroup_size: 256
    .name:           _ZN7rocprim6detail25device_scan_by_key_kernelILNS0_25lookback_scan_determinismE0ELb0ENS0_26wrapped_scan_by_key_configINS_14default_configEimEEPiN6hipcub22TransformInputIteratorImNS7_6CastOpImEEPmlEESB_mNS7_8EqualityENS7_3SumENS0_19lookback_scan_stateINS_5tupleIJmbEEELb1ELb0EEEmEEvT2_T3_T4_T5_T6_T7_T8_mmmPKNSG_IJT9_bEEE
    .private_segment_fixed_size: 0
    .sgpr_count:     6
    .sgpr_spill_count: 0
    .symbol:         _ZN7rocprim6detail25device_scan_by_key_kernelILNS0_25lookback_scan_determinismE0ELb0ENS0_26wrapped_scan_by_key_configINS_14default_configEimEEPiN6hipcub22TransformInputIteratorImNS7_6CastOpImEEPmlEESB_mNS7_8EqualityENS7_3SumENS0_19lookback_scan_stateINS_5tupleIJmbEEELb1ELb0EEEmEEvT2_T3_T4_T5_T6_T7_T8_mmmPKNSG_IJT9_bEEE.kd
    .uniform_work_group_size: 1
    .uses_dynamic_stack: false
    .vgpr_count:     0
    .vgpr_spill_count: 0
    .wavefront_size: 64
  - .agpr_count:     0
    .args:
      - .address_space:  global
        .offset:         0
        .size:           8
        .value_kind:     global_buffer
      - .offset:         8
        .size:           16
        .value_kind:     by_value
      - .address_space:  global
        .offset:         24
        .size:           8
        .value_kind:     global_buffer
      - .offset:         32
        .size:           8
        .value_kind:     by_value
      - .offset:         40
        .size:           1
        .value_kind:     by_value
      - .offset:         41
        .size:           1
        .value_kind:     by_value
      - .offset:         48
        .size:           24
        .value_kind:     by_value
      - .offset:         72
        .size:           8
        .value_kind:     by_value
      - .offset:         80
        .size:           8
        .value_kind:     by_value
      - .offset:         88
        .size:           8
        .value_kind:     by_value
      - .address_space:  global
        .offset:         96
        .size:           8
        .value_kind:     global_buffer
    .group_segment_fixed_size: 43008
    .kernarg_segment_align: 8
    .kernarg_segment_size: 104
    .language:       OpenCL C
    .language_version:
      - 2
      - 0
    .max_flat_workgroup_size: 256
    .name:           _ZN7rocprim6detail25device_scan_by_key_kernelILNS0_25lookback_scan_determinismE0ELb0ENS0_26wrapped_scan_by_key_configINS_14default_configEimEEPiN6hipcub22TransformInputIteratorImNS7_6CastOpImEEPmlEESB_mNS7_8EqualityENS7_3SumENS0_19lookback_scan_stateINS_5tupleIJmbEEELb0ELb0EEEmEEvT2_T3_T4_T5_T6_T7_T8_mmmPKNSG_IJT9_bEEE
    .private_segment_fixed_size: 0
    .sgpr_count:     106
    .sgpr_spill_count: 0
    .symbol:         _ZN7rocprim6detail25device_scan_by_key_kernelILNS0_25lookback_scan_determinismE0ELb0ENS0_26wrapped_scan_by_key_configINS_14default_configEimEEPiN6hipcub22TransformInputIteratorImNS7_6CastOpImEEPmlEESB_mNS7_8EqualityENS7_3SumENS0_19lookback_scan_stateINS_5tupleIJmbEEELb0ELb0EEEmEEvT2_T3_T4_T5_T6_T7_T8_mmmPKNSG_IJT9_bEEE.kd
    .uniform_work_group_size: 1
    .uses_dynamic_stack: false
    .vgpr_count:     133
    .vgpr_spill_count: 0
    .wavefront_size: 64
  - .agpr_count:     0
    .args:
      - .offset:         0
        .size:           24
        .value_kind:     by_value
      - .offset:         24
        .size:           4
        .value_kind:     by_value
      - .offset:         28
        .size:           4
        .value_kind:     by_value
      - .address_space:  global
        .offset:         32
        .size:           8
        .value_kind:     global_buffer
      - .offset:         40
        .size:           4
        .value_kind:     hidden_block_count_x
      - .offset:         44
        .size:           4
        .value_kind:     hidden_block_count_y
      - .offset:         48
        .size:           4
        .value_kind:     hidden_block_count_z
      - .offset:         52
        .size:           2
        .value_kind:     hidden_group_size_x
      - .offset:         54
        .size:           2
        .value_kind:     hidden_group_size_y
      - .offset:         56
        .size:           2
        .value_kind:     hidden_group_size_z
      - .offset:         58
        .size:           2
        .value_kind:     hidden_remainder_x
      - .offset:         60
        .size:           2
        .value_kind:     hidden_remainder_y
      - .offset:         62
        .size:           2
        .value_kind:     hidden_remainder_z
      - .offset:         80
        .size:           8
        .value_kind:     hidden_global_offset_x
      - .offset:         88
        .size:           8
        .value_kind:     hidden_global_offset_y
      - .offset:         96
        .size:           8
        .value_kind:     hidden_global_offset_z
      - .offset:         104
        .size:           2
        .value_kind:     hidden_grid_dims
    .group_segment_fixed_size: 0
    .kernarg_segment_align: 8
    .kernarg_segment_size: 296
    .language:       OpenCL C
    .language_version:
      - 2
      - 0
    .max_flat_workgroup_size: 256
    .name:           _ZN7rocprim6detail31init_lookback_scan_state_kernelINS0_19lookback_scan_stateINS_5tupleIJybEEELb1ELb0EEEEEvT_jjPNS6_10value_typeE
    .private_segment_fixed_size: 0
    .sgpr_count:     24
    .sgpr_spill_count: 0
    .symbol:         _ZN7rocprim6detail31init_lookback_scan_state_kernelINS0_19lookback_scan_stateINS_5tupleIJybEEELb1ELb0EEEEEvT_jjPNS6_10value_typeE.kd
    .uniform_work_group_size: 1
    .uses_dynamic_stack: false
    .vgpr_count:     6
    .vgpr_spill_count: 0
    .wavefront_size: 64
  - .agpr_count:     0
    .args:
      - .offset:         0
        .size:           24
        .value_kind:     by_value
      - .offset:         24
        .size:           4
        .value_kind:     by_value
      - .offset:         28
        .size:           4
        .value_kind:     by_value
      - .address_space:  global
        .offset:         32
        .size:           8
        .value_kind:     global_buffer
      - .offset:         40
        .size:           4
        .value_kind:     hidden_block_count_x
      - .offset:         44
        .size:           4
        .value_kind:     hidden_block_count_y
      - .offset:         48
        .size:           4
        .value_kind:     hidden_block_count_z
      - .offset:         52
        .size:           2
        .value_kind:     hidden_group_size_x
      - .offset:         54
        .size:           2
        .value_kind:     hidden_group_size_y
      - .offset:         56
        .size:           2
        .value_kind:     hidden_group_size_z
      - .offset:         58
        .size:           2
        .value_kind:     hidden_remainder_x
      - .offset:         60
        .size:           2
        .value_kind:     hidden_remainder_y
      - .offset:         62
        .size:           2
        .value_kind:     hidden_remainder_z
      - .offset:         80
        .size:           8
        .value_kind:     hidden_global_offset_x
      - .offset:         88
        .size:           8
        .value_kind:     hidden_global_offset_y
      - .offset:         96
        .size:           8
        .value_kind:     hidden_global_offset_z
      - .offset:         104
        .size:           2
        .value_kind:     hidden_grid_dims
    .group_segment_fixed_size: 0
    .kernarg_segment_align: 8
    .kernarg_segment_size: 296
    .language:       OpenCL C
    .language_version:
      - 2
      - 0
    .max_flat_workgroup_size: 256
    .name:           _ZN7rocprim6detail31init_lookback_scan_state_kernelINS0_19lookback_scan_stateINS_5tupleIJybEEELb0ELb0EEEEEvT_jjPNS6_10value_typeE
    .private_segment_fixed_size: 0
    .sgpr_count:     22
    .sgpr_spill_count: 0
    .symbol:         _ZN7rocprim6detail31init_lookback_scan_state_kernelINS0_19lookback_scan_stateINS_5tupleIJybEEELb0ELb0EEEEEvT_jjPNS6_10value_typeE.kd
    .uniform_work_group_size: 1
    .uses_dynamic_stack: false
    .vgpr_count:     6
    .vgpr_spill_count: 0
    .wavefront_size: 64
  - .agpr_count:     0
    .args:
      - .address_space:  global
        .offset:         0
        .size:           8
        .value_kind:     global_buffer
      - .offset:         8
        .size:           16
        .value_kind:     by_value
      - .address_space:  global
        .offset:         24
        .size:           8
        .value_kind:     global_buffer
      - .offset:         32
        .size:           8
        .value_kind:     by_value
      - .offset:         40
        .size:           1
        .value_kind:     by_value
      - .offset:         41
        .size:           1
        .value_kind:     by_value
      - .offset:         48
        .size:           24
        .value_kind:     by_value
      - .offset:         72
        .size:           8
        .value_kind:     by_value
      - .offset:         80
        .size:           8
        .value_kind:     by_value
      - .offset:         88
        .size:           8
        .value_kind:     by_value
      - .address_space:  global
        .offset:         96
        .size:           8
        .value_kind:     global_buffer
    .group_segment_fixed_size: 0
    .kernarg_segment_align: 8
    .kernarg_segment_size: 104
    .language:       OpenCL C
    .language_version:
      - 2
      - 0
    .max_flat_workgroup_size: 256
    .name:           _ZN7rocprim6detail25device_scan_by_key_kernelILNS0_25lookback_scan_determinismE0ELb0ENS0_26wrapped_scan_by_key_configINS_14default_configEiyEEPiN6hipcub22TransformInputIteratorIyNS7_6CastOpIyEEPylEESB_yNS7_8EqualityENS7_3SumENS0_19lookback_scan_stateINS_5tupleIJybEEELb1ELb0EEEyEEvT2_T3_T4_T5_T6_T7_T8_mmmPKNSG_IJT9_bEEE
    .private_segment_fixed_size: 0
    .sgpr_count:     6
    .sgpr_spill_count: 0
    .symbol:         _ZN7rocprim6detail25device_scan_by_key_kernelILNS0_25lookback_scan_determinismE0ELb0ENS0_26wrapped_scan_by_key_configINS_14default_configEiyEEPiN6hipcub22TransformInputIteratorIyNS7_6CastOpIyEEPylEESB_yNS7_8EqualityENS7_3SumENS0_19lookback_scan_stateINS_5tupleIJybEEELb1ELb0EEEyEEvT2_T3_T4_T5_T6_T7_T8_mmmPKNSG_IJT9_bEEE.kd
    .uniform_work_group_size: 1
    .uses_dynamic_stack: false
    .vgpr_count:     0
    .vgpr_spill_count: 0
    .wavefront_size: 64
  - .agpr_count:     0
    .args:
      - .address_space:  global
        .offset:         0
        .size:           8
        .value_kind:     global_buffer
      - .offset:         8
        .size:           16
        .value_kind:     by_value
      - .address_space:  global
        .offset:         24
        .size:           8
        .value_kind:     global_buffer
      - .offset:         32
        .size:           8
        .value_kind:     by_value
      - .offset:         40
        .size:           1
        .value_kind:     by_value
      - .offset:         41
        .size:           1
        .value_kind:     by_value
      - .offset:         48
        .size:           24
        .value_kind:     by_value
      - .offset:         72
        .size:           8
        .value_kind:     by_value
      - .offset:         80
        .size:           8
        .value_kind:     by_value
      - .offset:         88
        .size:           8
        .value_kind:     by_value
      - .address_space:  global
        .offset:         96
        .size:           8
        .value_kind:     global_buffer
    .group_segment_fixed_size: 43008
    .kernarg_segment_align: 8
    .kernarg_segment_size: 104
    .language:       OpenCL C
    .language_version:
      - 2
      - 0
    .max_flat_workgroup_size: 256
    .name:           _ZN7rocprim6detail25device_scan_by_key_kernelILNS0_25lookback_scan_determinismE0ELb0ENS0_26wrapped_scan_by_key_configINS_14default_configEiyEEPiN6hipcub22TransformInputIteratorIyNS7_6CastOpIyEEPylEESB_yNS7_8EqualityENS7_3SumENS0_19lookback_scan_stateINS_5tupleIJybEEELb0ELb0EEEyEEvT2_T3_T4_T5_T6_T7_T8_mmmPKNSG_IJT9_bEEE
    .private_segment_fixed_size: 0
    .sgpr_count:     106
    .sgpr_spill_count: 0
    .symbol:         _ZN7rocprim6detail25device_scan_by_key_kernelILNS0_25lookback_scan_determinismE0ELb0ENS0_26wrapped_scan_by_key_configINS_14default_configEiyEEPiN6hipcub22TransformInputIteratorIyNS7_6CastOpIyEEPylEESB_yNS7_8EqualityENS7_3SumENS0_19lookback_scan_stateINS_5tupleIJybEEELb0ELb0EEEyEEvT2_T3_T4_T5_T6_T7_T8_mmmPKNSG_IJT9_bEEE.kd
    .uniform_work_group_size: 1
    .uses_dynamic_stack: false
    .vgpr_count:     133
    .vgpr_spill_count: 0
    .wavefront_size: 64
  - .agpr_count:     0
    .args:
      - .address_space:  global
        .offset:         0
        .size:           8
        .value_kind:     global_buffer
      - .offset:         8
        .size:           16
        .value_kind:     by_value
      - .address_space:  global
        .offset:         24
        .size:           8
        .value_kind:     global_buffer
      - .offset:         32
        .size:           8
        .value_kind:     by_value
      - .offset:         40
        .size:           1
        .value_kind:     by_value
      - .offset:         41
        .size:           1
        .value_kind:     by_value
      - .offset:         48
        .size:           24
        .value_kind:     by_value
      - .offset:         72
        .size:           8
        .value_kind:     by_value
      - .offset:         80
        .size:           8
        .value_kind:     by_value
      - .offset:         88
        .size:           8
        .value_kind:     by_value
      - .address_space:  global
        .offset:         96
        .size:           8
        .value_kind:     global_buffer
    .group_segment_fixed_size: 0
    .kernarg_segment_align: 8
    .kernarg_segment_size: 104
    .language:       OpenCL C
    .language_version:
      - 2
      - 0
    .max_flat_workgroup_size: 256
    .name:           _ZN7rocprim6detail25device_scan_by_key_kernelILNS0_25lookback_scan_determinismE0ELb0ENS0_26wrapped_scan_by_key_configINS_14default_configEiyEEPiN6hipcub22TransformInputIteratorIyNS7_6CastOpIyEEPylEESB_yNS7_8EqualityENS7_3MinENS0_19lookback_scan_stateINS_5tupleIJybEEELb1ELb0EEEyEEvT2_T3_T4_T5_T6_T7_T8_mmmPKNSG_IJT9_bEEE
    .private_segment_fixed_size: 0
    .sgpr_count:     6
    .sgpr_spill_count: 0
    .symbol:         _ZN7rocprim6detail25device_scan_by_key_kernelILNS0_25lookback_scan_determinismE0ELb0ENS0_26wrapped_scan_by_key_configINS_14default_configEiyEEPiN6hipcub22TransformInputIteratorIyNS7_6CastOpIyEEPylEESB_yNS7_8EqualityENS7_3MinENS0_19lookback_scan_stateINS_5tupleIJybEEELb1ELb0EEEyEEvT2_T3_T4_T5_T6_T7_T8_mmmPKNSG_IJT9_bEEE.kd
    .uniform_work_group_size: 1
    .uses_dynamic_stack: false
    .vgpr_count:     0
    .vgpr_spill_count: 0
    .wavefront_size: 64
  - .agpr_count:     0
    .args:
      - .address_space:  global
        .offset:         0
        .size:           8
        .value_kind:     global_buffer
      - .offset:         8
        .size:           16
        .value_kind:     by_value
      - .address_space:  global
        .offset:         24
        .size:           8
        .value_kind:     global_buffer
      - .offset:         32
        .size:           8
        .value_kind:     by_value
      - .offset:         40
        .size:           1
        .value_kind:     by_value
      - .offset:         41
        .size:           1
        .value_kind:     by_value
      - .offset:         48
        .size:           24
        .value_kind:     by_value
      - .offset:         72
        .size:           8
        .value_kind:     by_value
      - .offset:         80
        .size:           8
        .value_kind:     by_value
      - .offset:         88
        .size:           8
        .value_kind:     by_value
      - .address_space:  global
        .offset:         96
        .size:           8
        .value_kind:     global_buffer
    .group_segment_fixed_size: 43008
    .kernarg_segment_align: 8
    .kernarg_segment_size: 104
    .language:       OpenCL C
    .language_version:
      - 2
      - 0
    .max_flat_workgroup_size: 256
    .name:           _ZN7rocprim6detail25device_scan_by_key_kernelILNS0_25lookback_scan_determinismE0ELb0ENS0_26wrapped_scan_by_key_configINS_14default_configEiyEEPiN6hipcub22TransformInputIteratorIyNS7_6CastOpIyEEPylEESB_yNS7_8EqualityENS7_3MinENS0_19lookback_scan_stateINS_5tupleIJybEEELb0ELb0EEEyEEvT2_T3_T4_T5_T6_T7_T8_mmmPKNSG_IJT9_bEEE
    .private_segment_fixed_size: 0
    .sgpr_count:     106
    .sgpr_spill_count: 2
    .symbol:         _ZN7rocprim6detail25device_scan_by_key_kernelILNS0_25lookback_scan_determinismE0ELb0ENS0_26wrapped_scan_by_key_configINS_14default_configEiyEEPiN6hipcub22TransformInputIteratorIyNS7_6CastOpIyEEPylEESB_yNS7_8EqualityENS7_3MinENS0_19lookback_scan_stateINS_5tupleIJybEEELb0ELb0EEEyEEvT2_T3_T4_T5_T6_T7_T8_mmmPKNSG_IJT9_bEEE.kd
    .uniform_work_group_size: 1
    .uses_dynamic_stack: false
    .vgpr_count:     136
    .vgpr_spill_count: 0
    .wavefront_size: 64
  - .agpr_count:     0
    .args:
      - .offset:         0
        .size:           16
        .value_kind:     by_value
      - .address_space:  global
        .offset:         16
        .size:           8
        .value_kind:     global_buffer
      - .offset:         24
        .size:           8
        .value_kind:     by_value
      - .offset:         32
        .size:           4
        .value_kind:     by_value
      - .offset:         36
        .size:           1
        .value_kind:     by_value
      - .address_space:  global
        .offset:         40
        .size:           8
        .value_kind:     global_buffer
      - .offset:         48
        .size:           4
        .value_kind:     by_value
      - .address_space:  global
        .offset:         56
        .size:           8
        .value_kind:     global_buffer
      - .address_space:  global
        .offset:         64
        .size:           8
        .value_kind:     global_buffer
      - .offset:         72
        .size:           1
        .value_kind:     by_value
      - .offset:         73
        .size:           1
        .value_kind:     by_value
    .group_segment_fixed_size: 0
    .kernarg_segment_align: 8
    .kernarg_segment_size: 76
    .language:       OpenCL C
    .language_version:
      - 2
      - 0
    .max_flat_workgroup_size: 256
    .name:           _ZN7rocprim6detail20lookback_scan_kernelILNS0_25lookback_scan_determinismE0ELb1ENS0_19wrapped_scan_configINS_14default_configEiEEN6hipcub22TransformInputIteratorIiNS6_6CastOpIiEEPilEEPlNS6_3SumEiiNS0_19lookback_scan_stateIiLb1ELb1EEEEEvT2_T3_mT5_T4_T7_jPT6_SM_bb
    .private_segment_fixed_size: 0
    .sgpr_count:     6
    .sgpr_spill_count: 0
    .symbol:         _ZN7rocprim6detail20lookback_scan_kernelILNS0_25lookback_scan_determinismE0ELb1ENS0_19wrapped_scan_configINS_14default_configEiEEN6hipcub22TransformInputIteratorIiNS6_6CastOpIiEEPilEEPlNS6_3SumEiiNS0_19lookback_scan_stateIiLb1ELb1EEEEEvT2_T3_mT5_T4_T7_jPT6_SM_bb.kd
    .uniform_work_group_size: 1
    .uses_dynamic_stack: false
    .vgpr_count:     0
    .vgpr_spill_count: 0
    .wavefront_size: 64
  - .agpr_count:     0
    .args:
      - .offset:         0
        .size:           16
        .value_kind:     by_value
      - .address_space:  global
        .offset:         16
        .size:           8
        .value_kind:     global_buffer
      - .offset:         24
        .size:           8
        .value_kind:     by_value
      - .offset:         32
        .size:           4
        .value_kind:     by_value
      - .offset:         36
        .size:           1
        .value_kind:     by_value
      - .address_space:  global
        .offset:         40
        .size:           8
        .value_kind:     global_buffer
      - .offset:         48
        .size:           4
        .value_kind:     by_value
      - .address_space:  global
        .offset:         56
        .size:           8
        .value_kind:     global_buffer
      - .address_space:  global
        .offset:         64
        .size:           8
        .value_kind:     global_buffer
      - .offset:         72
        .size:           1
        .value_kind:     by_value
      - .offset:         73
        .size:           1
        .value_kind:     by_value
    .group_segment_fixed_size: 21504
    .kernarg_segment_align: 8
    .kernarg_segment_size: 76
    .language:       OpenCL C
    .language_version:
      - 2
      - 0
    .max_flat_workgroup_size: 256
    .name:           _ZN7rocprim6detail20lookback_scan_kernelILNS0_25lookback_scan_determinismE0ELb1ENS0_19wrapped_scan_configINS_14default_configEiEEN6hipcub22TransformInputIteratorIiNS6_6CastOpIiEEPilEEPlNS6_3SumEiiNS0_19lookback_scan_stateIiLb0ELb1EEEEEvT2_T3_mT5_T4_T7_jPT6_SM_bb
    .private_segment_fixed_size: 0
    .sgpr_count:     32
    .sgpr_spill_count: 0
    .symbol:         _ZN7rocprim6detail20lookback_scan_kernelILNS0_25lookback_scan_determinismE0ELb1ENS0_19wrapped_scan_configINS_14default_configEiEEN6hipcub22TransformInputIteratorIiNS6_6CastOpIiEEPilEEPlNS6_3SumEiiNS0_19lookback_scan_stateIiLb0ELb1EEEEEvT2_T3_mT5_T4_T7_jPT6_SM_bb.kd
    .uniform_work_group_size: 1
    .uses_dynamic_stack: false
    .vgpr_count:     70
    .vgpr_spill_count: 0
    .wavefront_size: 64
  - .agpr_count:     0
    .args:
      - .offset:         0
        .size:           16
        .value_kind:     by_value
      - .offset:         16
        .size:           8
        .value_kind:     by_value
      - .offset:         24
        .size:           4
        .value_kind:     by_value
      - .address_space:  global
        .offset:         32
        .size:           8
        .value_kind:     global_buffer
      - .offset:         40
        .size:           1
        .value_kind:     by_value
    .group_segment_fixed_size: 21504
    .kernarg_segment_align: 8
    .kernarg_segment_size: 44
    .language:       OpenCL C
    .language_version:
      - 2
      - 0
    .max_flat_workgroup_size: 256
    .name:           _ZN7rocprim6detail18single_scan_kernelILb1ENS0_19wrapped_scan_configINS_14default_configEiEEN6hipcub22TransformInputIteratorIiNS5_6CastOpIiEEPilEEPlNS5_3SumEiiEEvT1_mT4_T2_T3_
    .private_segment_fixed_size: 0
    .sgpr_count:     54
    .sgpr_spill_count: 0
    .symbol:         _ZN7rocprim6detail18single_scan_kernelILb1ENS0_19wrapped_scan_configINS_14default_configEiEEN6hipcub22TransformInputIteratorIiNS5_6CastOpIiEEPilEEPlNS5_3SumEiiEEvT1_mT4_T2_T3_.kd
    .uniform_work_group_size: 1
    .uses_dynamic_stack: false
    .vgpr_count:     28
    .vgpr_spill_count: 0
    .wavefront_size: 64
  - .agpr_count:     0
    .args:
      - .address_space:  global
        .offset:         0
        .size:           8
        .value_kind:     global_buffer
      - .address_space:  global
        .offset:         8
        .size:           8
        .value_kind:     global_buffer
      - .offset:         16
        .size:           8
        .value_kind:     by_value
      - .offset:         24
        .size:           2
        .value_kind:     by_value
      - .offset:         26
        .size:           1
        .value_kind:     by_value
      - .address_space:  global
        .offset:         32
        .size:           8
        .value_kind:     global_buffer
      - .offset:         40
        .size:           4
        .value_kind:     by_value
      - .address_space:  global
        .offset:         48
        .size:           8
        .value_kind:     global_buffer
      - .address_space:  global
        .offset:         56
        .size:           8
        .value_kind:     global_buffer
      - .offset:         64
        .size:           1
        .value_kind:     by_value
      - .offset:         65
        .size:           1
        .value_kind:     by_value
    .group_segment_fixed_size: 0
    .kernarg_segment_align: 8
    .kernarg_segment_size: 68
    .language:       OpenCL C
    .language_version:
      - 2
      - 0
    .max_flat_workgroup_size: 256
    .name:           _ZN7rocprim6detail20lookback_scan_kernelILNS0_25lookback_scan_determinismE0ELb1ENS0_19wrapped_scan_configINS_14default_configE6__halfEEPS5_S7_N6hipcub3MaxES5_S5_NS0_19lookback_scan_stateIS5_Lb1ELb1EEEEEvT2_T3_mT5_T4_T7_jPT6_SI_bb
    .private_segment_fixed_size: 0
    .sgpr_count:     6
    .sgpr_spill_count: 0
    .symbol:         _ZN7rocprim6detail20lookback_scan_kernelILNS0_25lookback_scan_determinismE0ELb1ENS0_19wrapped_scan_configINS_14default_configE6__halfEEPS5_S7_N6hipcub3MaxES5_S5_NS0_19lookback_scan_stateIS5_Lb1ELb1EEEEEvT2_T3_mT5_T4_T7_jPT6_SI_bb.kd
    .uniform_work_group_size: 1
    .uses_dynamic_stack: false
    .vgpr_count:     0
    .vgpr_spill_count: 0
    .wavefront_size: 64
  - .agpr_count:     0
    .args:
      - .address_space:  global
        .offset:         0
        .size:           8
        .value_kind:     global_buffer
      - .address_space:  global
        .offset:         8
        .size:           8
        .value_kind:     global_buffer
      - .offset:         16
        .size:           8
        .value_kind:     by_value
      - .offset:         24
        .size:           2
        .value_kind:     by_value
      - .offset:         26
        .size:           1
        .value_kind:     by_value
      - .address_space:  global
        .offset:         32
        .size:           8
        .value_kind:     global_buffer
      - .offset:         40
        .size:           4
        .value_kind:     by_value
      - .address_space:  global
        .offset:         48
        .size:           8
        .value_kind:     global_buffer
      - .address_space:  global
        .offset:         56
        .size:           8
        .value_kind:     global_buffer
      - .offset:         64
        .size:           1
        .value_kind:     by_value
      - .offset:         65
        .size:           1
        .value_kind:     by_value
    .group_segment_fixed_size: 12288
    .kernarg_segment_align: 8
    .kernarg_segment_size: 68
    .language:       OpenCL C
    .language_version:
      - 2
      - 0
    .max_flat_workgroup_size: 256
    .name:           _ZN7rocprim6detail20lookback_scan_kernelILNS0_25lookback_scan_determinismE0ELb1ENS0_19wrapped_scan_configINS_14default_configE6__halfEEPS5_S7_N6hipcub3MaxES5_S5_NS0_19lookback_scan_stateIS5_Lb0ELb1EEEEEvT2_T3_mT5_T4_T7_jPT6_SI_bb
    .private_segment_fixed_size: 0
    .sgpr_count:     38
    .sgpr_spill_count: 0
    .symbol:         _ZN7rocprim6detail20lookback_scan_kernelILNS0_25lookback_scan_determinismE0ELb1ENS0_19wrapped_scan_configINS_14default_configE6__halfEEPS5_S7_N6hipcub3MaxES5_S5_NS0_19lookback_scan_stateIS5_Lb0ELb1EEEEEvT2_T3_mT5_T4_T7_jPT6_SI_bb.kd
    .uniform_work_group_size: 1
    .uses_dynamic_stack: false
    .vgpr_count:     59
    .vgpr_spill_count: 0
    .wavefront_size: 64
  - .agpr_count:     0
    .args:
      - .address_space:  global
        .offset:         0
        .size:           8
        .value_kind:     global_buffer
      - .offset:         8
        .size:           8
        .value_kind:     by_value
      - .offset:         16
        .size:           2
        .value_kind:     by_value
      - .address_space:  global
        .offset:         24
        .size:           8
        .value_kind:     global_buffer
      - .offset:         32
        .size:           1
        .value_kind:     by_value
    .group_segment_fixed_size: 12288
    .kernarg_segment_align: 8
    .kernarg_segment_size: 36
    .language:       OpenCL C
    .language_version:
      - 2
      - 0
    .max_flat_workgroup_size: 256
    .name:           _ZN7rocprim6detail18single_scan_kernelILb1ENS0_19wrapped_scan_configINS_14default_configE6__halfEEPS4_S6_N6hipcub3MaxES4_S4_EEvT1_mT4_T2_T3_
    .private_segment_fixed_size: 0
    .sgpr_count:     62
    .sgpr_spill_count: 0
    .symbol:         _ZN7rocprim6detail18single_scan_kernelILb1ENS0_19wrapped_scan_configINS_14default_configE6__halfEEPS4_S6_N6hipcub3MaxES4_S4_EEvT1_mT4_T2_T3_.kd
    .uniform_work_group_size: 1
    .uses_dynamic_stack: false
    .vgpr_count:     32
    .vgpr_spill_count: 0
    .wavefront_size: 64
  - .agpr_count:     0
    .args:
      - .address_space:  global
        .offset:         0
        .size:           8
        .value_kind:     global_buffer
      - .address_space:  global
        .offset:         8
        .size:           8
        .value_kind:     global_buffer
      - .offset:         16
        .size:           8
        .value_kind:     by_value
      - .offset:         24
        .size:           2
        .value_kind:     by_value
      - .offset:         26
        .size:           1
        .value_kind:     by_value
      - .address_space:  global
        .offset:         32
        .size:           8
        .value_kind:     global_buffer
      - .offset:         40
        .size:           4
        .value_kind:     by_value
      - .address_space:  global
        .offset:         48
        .size:           8
        .value_kind:     global_buffer
      - .address_space:  global
        .offset:         56
        .size:           8
        .value_kind:     global_buffer
      - .offset:         64
        .size:           1
        .value_kind:     by_value
      - .offset:         65
        .size:           1
        .value_kind:     by_value
    .group_segment_fixed_size: 0
    .kernarg_segment_align: 8
    .kernarg_segment_size: 68
    .language:       OpenCL C
    .language_version:
      - 2
      - 0
    .max_flat_workgroup_size: 256
    .name:           _ZN7rocprim6detail20lookback_scan_kernelILNS0_25lookback_scan_determinismE0ELb1ENS0_19wrapped_scan_configINS_14default_configE12hip_bfloat16EEPS5_S7_N6hipcub3MaxES5_S5_NS0_19lookback_scan_stateIS5_Lb1ELb1EEEEEvT2_T3_mT5_T4_T7_jPT6_SI_bb
    .private_segment_fixed_size: 0
    .sgpr_count:     6
    .sgpr_spill_count: 0
    .symbol:         _ZN7rocprim6detail20lookback_scan_kernelILNS0_25lookback_scan_determinismE0ELb1ENS0_19wrapped_scan_configINS_14default_configE12hip_bfloat16EEPS5_S7_N6hipcub3MaxES5_S5_NS0_19lookback_scan_stateIS5_Lb1ELb1EEEEEvT2_T3_mT5_T4_T7_jPT6_SI_bb.kd
    .uniform_work_group_size: 1
    .uses_dynamic_stack: false
    .vgpr_count:     0
    .vgpr_spill_count: 0
    .wavefront_size: 64
  - .agpr_count:     0
    .args:
      - .address_space:  global
        .offset:         0
        .size:           8
        .value_kind:     global_buffer
      - .address_space:  global
        .offset:         8
        .size:           8
        .value_kind:     global_buffer
      - .offset:         16
        .size:           8
        .value_kind:     by_value
      - .offset:         24
        .size:           2
        .value_kind:     by_value
      - .offset:         26
        .size:           1
        .value_kind:     by_value
      - .address_space:  global
        .offset:         32
        .size:           8
        .value_kind:     global_buffer
      - .offset:         40
        .size:           4
        .value_kind:     by_value
      - .address_space:  global
        .offset:         48
        .size:           8
        .value_kind:     global_buffer
      - .address_space:  global
        .offset:         56
        .size:           8
        .value_kind:     global_buffer
      - .offset:         64
        .size:           1
        .value_kind:     by_value
      - .offset:         65
        .size:           1
        .value_kind:     by_value
    .group_segment_fixed_size: 12288
    .kernarg_segment_align: 8
    .kernarg_segment_size: 68
    .language:       OpenCL C
    .language_version:
      - 2
      - 0
    .max_flat_workgroup_size: 256
    .name:           _ZN7rocprim6detail20lookback_scan_kernelILNS0_25lookback_scan_determinismE0ELb1ENS0_19wrapped_scan_configINS_14default_configE12hip_bfloat16EEPS5_S7_N6hipcub3MaxES5_S5_NS0_19lookback_scan_stateIS5_Lb0ELb1EEEEEvT2_T3_mT5_T4_T7_jPT6_SI_bb
    .private_segment_fixed_size: 0
    .sgpr_count:     38
    .sgpr_spill_count: 0
    .symbol:         _ZN7rocprim6detail20lookback_scan_kernelILNS0_25lookback_scan_determinismE0ELb1ENS0_19wrapped_scan_configINS_14default_configE12hip_bfloat16EEPS5_S7_N6hipcub3MaxES5_S5_NS0_19lookback_scan_stateIS5_Lb0ELb1EEEEEvT2_T3_mT5_T4_T7_jPT6_SI_bb.kd
    .uniform_work_group_size: 1
    .uses_dynamic_stack: false
    .vgpr_count:     84
    .vgpr_spill_count: 0
    .wavefront_size: 64
  - .agpr_count:     0
    .args:
      - .address_space:  global
        .offset:         0
        .size:           8
        .value_kind:     global_buffer
      - .offset:         8
        .size:           8
        .value_kind:     by_value
      - .offset:         16
        .size:           2
        .value_kind:     by_value
      - .address_space:  global
        .offset:         24
        .size:           8
        .value_kind:     global_buffer
      - .offset:         32
        .size:           1
        .value_kind:     by_value
    .group_segment_fixed_size: 12288
    .kernarg_segment_align: 8
    .kernarg_segment_size: 36
    .language:       OpenCL C
    .language_version:
      - 2
      - 0
    .max_flat_workgroup_size: 256
    .name:           _ZN7rocprim6detail18single_scan_kernelILb1ENS0_19wrapped_scan_configINS_14default_configE12hip_bfloat16EEPS4_S6_N6hipcub3MaxES4_S4_EEvT1_mT4_T2_T3_
    .private_segment_fixed_size: 0
    .sgpr_count:     62
    .sgpr_spill_count: 0
    .symbol:         _ZN7rocprim6detail18single_scan_kernelILb1ENS0_19wrapped_scan_configINS_14default_configE12hip_bfloat16EEPS4_S6_N6hipcub3MaxES4_S4_EEvT1_mT4_T2_T3_.kd
    .uniform_work_group_size: 1
    .uses_dynamic_stack: false
    .vgpr_count:     58
    .vgpr_spill_count: 0
    .wavefront_size: 64
  - .agpr_count:     0
    .args:
      - .offset:         0
        .size:           16
        .value_kind:     by_value
      - .address_space:  global
        .offset:         16
        .size:           8
        .value_kind:     global_buffer
      - .offset:         24
        .size:           8
        .value_kind:     by_value
      - .offset:         32
        .size:           4
        .value_kind:     by_value
      - .offset:         36
        .size:           1
        .value_kind:     by_value
      - .address_space:  global
        .offset:         40
        .size:           8
        .value_kind:     global_buffer
      - .offset:         48
        .size:           4
        .value_kind:     by_value
      - .address_space:  global
        .offset:         56
        .size:           8
        .value_kind:     global_buffer
      - .address_space:  global
        .offset:         64
        .size:           8
        .value_kind:     global_buffer
      - .offset:         72
        .size:           1
        .value_kind:     by_value
      - .offset:         73
        .size:           1
        .value_kind:     by_value
    .group_segment_fixed_size: 0
    .kernarg_segment_align: 8
    .kernarg_segment_size: 76
    .language:       OpenCL C
    .language_version:
      - 2
      - 0
    .max_flat_workgroup_size: 256
    .name:           _ZN7rocprim6detail20lookback_scan_kernelILNS0_25lookback_scan_determinismE0ELb1ENS0_19wrapped_scan_configINS_14default_configEiEEN6hipcub22TransformInputIteratorIiNS6_6CastOpIiEEPilEEPdNS6_3SumEiiNS0_19lookback_scan_stateIiLb1ELb1EEEEEvT2_T3_mT5_T4_T7_jPT6_SM_bb
    .private_segment_fixed_size: 0
    .sgpr_count:     6
    .sgpr_spill_count: 0
    .symbol:         _ZN7rocprim6detail20lookback_scan_kernelILNS0_25lookback_scan_determinismE0ELb1ENS0_19wrapped_scan_configINS_14default_configEiEEN6hipcub22TransformInputIteratorIiNS6_6CastOpIiEEPilEEPdNS6_3SumEiiNS0_19lookback_scan_stateIiLb1ELb1EEEEEvT2_T3_mT5_T4_T7_jPT6_SM_bb.kd
    .uniform_work_group_size: 1
    .uses_dynamic_stack: false
    .vgpr_count:     0
    .vgpr_spill_count: 0
    .wavefront_size: 64
  - .agpr_count:     0
    .args:
      - .offset:         0
        .size:           16
        .value_kind:     by_value
      - .address_space:  global
        .offset:         16
        .size:           8
        .value_kind:     global_buffer
      - .offset:         24
        .size:           8
        .value_kind:     by_value
      - .offset:         32
        .size:           4
        .value_kind:     by_value
      - .offset:         36
        .size:           1
        .value_kind:     by_value
      - .address_space:  global
        .offset:         40
        .size:           8
        .value_kind:     global_buffer
      - .offset:         48
        .size:           4
        .value_kind:     by_value
      - .address_space:  global
        .offset:         56
        .size:           8
        .value_kind:     global_buffer
      - .address_space:  global
        .offset:         64
        .size:           8
        .value_kind:     global_buffer
      - .offset:         72
        .size:           1
        .value_kind:     by_value
      - .offset:         73
        .size:           1
        .value_kind:     by_value
    .group_segment_fixed_size: 21504
    .kernarg_segment_align: 8
    .kernarg_segment_size: 76
    .language:       OpenCL C
    .language_version:
      - 2
      - 0
    .max_flat_workgroup_size: 256
    .name:           _ZN7rocprim6detail20lookback_scan_kernelILNS0_25lookback_scan_determinismE0ELb1ENS0_19wrapped_scan_configINS_14default_configEiEEN6hipcub22TransformInputIteratorIiNS6_6CastOpIiEEPilEEPdNS6_3SumEiiNS0_19lookback_scan_stateIiLb0ELb1EEEEEvT2_T3_mT5_T4_T7_jPT6_SM_bb
    .private_segment_fixed_size: 0
    .sgpr_count:     32
    .sgpr_spill_count: 0
    .symbol:         _ZN7rocprim6detail20lookback_scan_kernelILNS0_25lookback_scan_determinismE0ELb1ENS0_19wrapped_scan_configINS_14default_configEiEEN6hipcub22TransformInputIteratorIiNS6_6CastOpIiEEPilEEPdNS6_3SumEiiNS0_19lookback_scan_stateIiLb0ELb1EEEEEvT2_T3_mT5_T4_T7_jPT6_SM_bb.kd
    .uniform_work_group_size: 1
    .uses_dynamic_stack: false
    .vgpr_count:     53
    .vgpr_spill_count: 0
    .wavefront_size: 64
  - .agpr_count:     0
    .args:
      - .offset:         0
        .size:           16
        .value_kind:     by_value
      - .offset:         16
        .size:           8
        .value_kind:     by_value
      - .offset:         24
        .size:           4
        .value_kind:     by_value
      - .address_space:  global
        .offset:         32
        .size:           8
        .value_kind:     global_buffer
      - .offset:         40
        .size:           1
        .value_kind:     by_value
    .group_segment_fixed_size: 21504
    .kernarg_segment_align: 8
    .kernarg_segment_size: 44
    .language:       OpenCL C
    .language_version:
      - 2
      - 0
    .max_flat_workgroup_size: 256
    .name:           _ZN7rocprim6detail18single_scan_kernelILb1ENS0_19wrapped_scan_configINS_14default_configEiEEN6hipcub22TransformInputIteratorIiNS5_6CastOpIiEEPilEEPdNS5_3SumEiiEEvT1_mT4_T2_T3_
    .private_segment_fixed_size: 0
    .sgpr_count:     54
    .sgpr_spill_count: 0
    .symbol:         _ZN7rocprim6detail18single_scan_kernelILb1ENS0_19wrapped_scan_configINS_14default_configEiEEN6hipcub22TransformInputIteratorIiNS5_6CastOpIiEEPilEEPdNS5_3SumEiiEEvT1_mT4_T2_T3_.kd
    .uniform_work_group_size: 1
    .uses_dynamic_stack: false
    .vgpr_count:     28
    .vgpr_spill_count: 0
    .wavefront_size: 64
  - .agpr_count:     0
    .args:
      - .offset:         0
        .size:           16
        .value_kind:     by_value
      - .address_space:  global
        .offset:         16
        .size:           8
        .value_kind:     global_buffer
      - .offset:         24
        .size:           8
        .value_kind:     by_value
      - .offset:         32
        .size:           2
        .value_kind:     by_value
      - .offset:         34
        .size:           1
        .value_kind:     by_value
      - .address_space:  global
        .offset:         40
        .size:           8
        .value_kind:     global_buffer
      - .offset:         48
        .size:           4
        .value_kind:     by_value
      - .address_space:  global
        .offset:         56
        .size:           8
        .value_kind:     global_buffer
      - .address_space:  global
        .offset:         64
        .size:           8
        .value_kind:     global_buffer
      - .offset:         72
        .size:           1
        .value_kind:     by_value
      - .offset:         73
        .size:           1
        .value_kind:     by_value
    .group_segment_fixed_size: 0
    .kernarg_segment_align: 8
    .kernarg_segment_size: 76
    .language:       OpenCL C
    .language_version:
      - 2
      - 0
    .max_flat_workgroup_size: 256
    .name:           _ZN7rocprim6detail20lookback_scan_kernelILNS0_25lookback_scan_determinismE0ELb1ENS0_19wrapped_scan_configINS_14default_configEsEEN6hipcub22TransformInputIteratorIsNS6_6CastOpIsEEPslEEPfNS6_3MaxEssNS0_19lookback_scan_stateIsLb1ELb1EEEEEvT2_T3_mT5_T4_T7_jPT6_SM_bb
    .private_segment_fixed_size: 0
    .sgpr_count:     6
    .sgpr_spill_count: 0
    .symbol:         _ZN7rocprim6detail20lookback_scan_kernelILNS0_25lookback_scan_determinismE0ELb1ENS0_19wrapped_scan_configINS_14default_configEsEEN6hipcub22TransformInputIteratorIsNS6_6CastOpIsEEPslEEPfNS6_3MaxEssNS0_19lookback_scan_stateIsLb1ELb1EEEEEvT2_T3_mT5_T4_T7_jPT6_SM_bb.kd
    .uniform_work_group_size: 1
    .uses_dynamic_stack: false
    .vgpr_count:     0
    .vgpr_spill_count: 0
    .wavefront_size: 64
  - .agpr_count:     0
    .args:
      - .offset:         0
        .size:           16
        .value_kind:     by_value
      - .address_space:  global
        .offset:         16
        .size:           8
        .value_kind:     global_buffer
      - .offset:         24
        .size:           8
        .value_kind:     by_value
      - .offset:         32
        .size:           2
        .value_kind:     by_value
      - .offset:         34
        .size:           1
        .value_kind:     by_value
      - .address_space:  global
        .offset:         40
        .size:           8
        .value_kind:     global_buffer
      - .offset:         48
        .size:           4
        .value_kind:     by_value
      - .address_space:  global
        .offset:         56
        .size:           8
        .value_kind:     global_buffer
      - .address_space:  global
        .offset:         64
        .size:           8
        .value_kind:     global_buffer
      - .offset:         72
        .size:           1
        .value_kind:     by_value
      - .offset:         73
        .size:           1
        .value_kind:     by_value
    .group_segment_fixed_size: 12288
    .kernarg_segment_align: 8
    .kernarg_segment_size: 76
    .language:       OpenCL C
    .language_version:
      - 2
      - 0
    .max_flat_workgroup_size: 256
    .name:           _ZN7rocprim6detail20lookback_scan_kernelILNS0_25lookback_scan_determinismE0ELb1ENS0_19wrapped_scan_configINS_14default_configEsEEN6hipcub22TransformInputIteratorIsNS6_6CastOpIsEEPslEEPfNS6_3MaxEssNS0_19lookback_scan_stateIsLb0ELb1EEEEEvT2_T3_mT5_T4_T7_jPT6_SM_bb
    .private_segment_fixed_size: 0
    .sgpr_count:     32
    .sgpr_spill_count: 0
    .symbol:         _ZN7rocprim6detail20lookback_scan_kernelILNS0_25lookback_scan_determinismE0ELb1ENS0_19wrapped_scan_configINS_14default_configEsEEN6hipcub22TransformInputIteratorIsNS6_6CastOpIsEEPslEEPfNS6_3MaxEssNS0_19lookback_scan_stateIsLb0ELb1EEEEEvT2_T3_mT5_T4_T7_jPT6_SM_bb.kd
    .uniform_work_group_size: 1
    .uses_dynamic_stack: false
    .vgpr_count:     58
    .vgpr_spill_count: 0
    .wavefront_size: 64
  - .agpr_count:     0
    .args:
      - .offset:         0
        .size:           16
        .value_kind:     by_value
      - .offset:         16
        .size:           8
        .value_kind:     by_value
      - .offset:         24
        .size:           2
        .value_kind:     by_value
      - .address_space:  global
        .offset:         32
        .size:           8
        .value_kind:     global_buffer
      - .offset:         40
        .size:           1
        .value_kind:     by_value
    .group_segment_fixed_size: 12288
    .kernarg_segment_align: 8
    .kernarg_segment_size: 44
    .language:       OpenCL C
    .language_version:
      - 2
      - 0
    .max_flat_workgroup_size: 256
    .name:           _ZN7rocprim6detail18single_scan_kernelILb1ENS0_19wrapped_scan_configINS_14default_configEsEEN6hipcub22TransformInputIteratorIsNS5_6CastOpIsEEPslEEPfNS5_3MaxEssEEvT1_mT4_T2_T3_
    .private_segment_fixed_size: 0
    .sgpr_count:     60
    .sgpr_spill_count: 0
    .symbol:         _ZN7rocprim6detail18single_scan_kernelILb1ENS0_19wrapped_scan_configINS_14default_configEsEEN6hipcub22TransformInputIteratorIsNS5_6CastOpIsEEPslEEPfNS5_3MaxEssEEvT1_mT4_T2_T3_.kd
    .uniform_work_group_size: 1
    .uses_dynamic_stack: false
    .vgpr_count:     31
    .vgpr_spill_count: 0
    .wavefront_size: 64
  - .agpr_count:     0
    .args:
      - .address_space:  global
        .offset:         0
        .size:           8
        .value_kind:     global_buffer
      - .address_space:  global
        .offset:         8
        .size:           8
        .value_kind:     global_buffer
      - .offset:         16
        .size:           8
        .value_kind:     by_value
      - .offset:         24
        .size:           8
        .value_kind:     by_value
      - .offset:         32
        .size:           1
        .value_kind:     by_value
      - .address_space:  global
        .offset:         40
        .size:           8
        .value_kind:     global_buffer
      - .offset:         48
        .size:           4
        .value_kind:     by_value
      - .address_space:  global
        .offset:         56
        .size:           8
        .value_kind:     global_buffer
      - .address_space:  global
        .offset:         64
        .size:           8
        .value_kind:     global_buffer
      - .offset:         72
        .size:           1
        .value_kind:     by_value
      - .offset:         73
        .size:           1
        .value_kind:     by_value
    .group_segment_fixed_size: 0
    .kernarg_segment_align: 8
    .kernarg_segment_size: 76
    .language:       OpenCL C
    .language_version:
      - 2
      - 0
    .max_flat_workgroup_size: 256
    .name:           _ZN7rocprim6detail20lookback_scan_kernelILNS0_25lookback_scan_determinismE0ELb1ENS0_19wrapped_scan_configINS_14default_configEmEEPmS6_N6hipcub3SumEmmNS0_19lookback_scan_stateImLb1ELb1EEEEEvT2_T3_mT5_T4_T7_jPT6_SH_bb
    .private_segment_fixed_size: 0
    .sgpr_count:     6
    .sgpr_spill_count: 0
    .symbol:         _ZN7rocprim6detail20lookback_scan_kernelILNS0_25lookback_scan_determinismE0ELb1ENS0_19wrapped_scan_configINS_14default_configEmEEPmS6_N6hipcub3SumEmmNS0_19lookback_scan_stateImLb1ELb1EEEEEvT2_T3_mT5_T4_T7_jPT6_SH_bb.kd
    .uniform_work_group_size: 1
    .uses_dynamic_stack: false
    .vgpr_count:     0
    .vgpr_spill_count: 0
    .wavefront_size: 64
  - .agpr_count:     0
    .args:
      - .address_space:  global
        .offset:         0
        .size:           8
        .value_kind:     global_buffer
      - .address_space:  global
        .offset:         8
        .size:           8
        .value_kind:     global_buffer
      - .offset:         16
        .size:           8
        .value_kind:     by_value
      - .offset:         24
        .size:           8
        .value_kind:     by_value
      - .offset:         32
        .size:           1
        .value_kind:     by_value
      - .address_space:  global
        .offset:         40
        .size:           8
        .value_kind:     global_buffer
      - .offset:         48
        .size:           4
        .value_kind:     by_value
      - .address_space:  global
        .offset:         56
        .size:           8
        .value_kind:     global_buffer
      - .address_space:  global
        .offset:         64
        .size:           8
        .value_kind:     global_buffer
      - .offset:         72
        .size:           1
        .value_kind:     by_value
      - .offset:         73
        .size:           1
        .value_kind:     by_value
    .group_segment_fixed_size: 30720
    .kernarg_segment_align: 8
    .kernarg_segment_size: 76
    .language:       OpenCL C
    .language_version:
      - 2
      - 0
    .max_flat_workgroup_size: 256
    .name:           _ZN7rocprim6detail20lookback_scan_kernelILNS0_25lookback_scan_determinismE0ELb1ENS0_19wrapped_scan_configINS_14default_configEmEEPmS6_N6hipcub3SumEmmNS0_19lookback_scan_stateImLb0ELb1EEEEEvT2_T3_mT5_T4_T7_jPT6_SH_bb
    .private_segment_fixed_size: 0
    .sgpr_count:     74
    .sgpr_spill_count: 0
    .symbol:         _ZN7rocprim6detail20lookback_scan_kernelILNS0_25lookback_scan_determinismE0ELb1ENS0_19wrapped_scan_configINS_14default_configEmEEPmS6_N6hipcub3SumEmmNS0_19lookback_scan_stateImLb0ELb1EEEEEvT2_T3_mT5_T4_T7_jPT6_SH_bb.kd
    .uniform_work_group_size: 1
    .uses_dynamic_stack: false
    .vgpr_count:     72
    .vgpr_spill_count: 0
    .wavefront_size: 64
  - .agpr_count:     0
    .args:
      - .address_space:  global
        .offset:         0
        .size:           8
        .value_kind:     global_buffer
      - .offset:         8
        .size:           8
        .value_kind:     by_value
      - .offset:         16
        .size:           8
        .value_kind:     by_value
      - .address_space:  global
        .offset:         24
        .size:           8
        .value_kind:     global_buffer
      - .offset:         32
        .size:           1
        .value_kind:     by_value
    .group_segment_fixed_size: 30720
    .kernarg_segment_align: 8
    .kernarg_segment_size: 36
    .language:       OpenCL C
    .language_version:
      - 2
      - 0
    .max_flat_workgroup_size: 256
    .name:           _ZN7rocprim6detail18single_scan_kernelILb1ENS0_19wrapped_scan_configINS_14default_configEmEEPmS5_N6hipcub3SumEmmEEvT1_mT4_T2_T3_
    .private_segment_fixed_size: 0
    .sgpr_count:     82
    .sgpr_spill_count: 0
    .symbol:         _ZN7rocprim6detail18single_scan_kernelILb1ENS0_19wrapped_scan_configINS_14default_configEmEEPmS5_N6hipcub3SumEmmEEvT1_mT4_T2_T3_.kd
    .uniform_work_group_size: 1
    .uses_dynamic_stack: false
    .vgpr_count:     52
    .vgpr_spill_count: 0
    .wavefront_size: 64
  - .agpr_count:     0
    .args:
      - .address_space:  global
        .offset:         0
        .size:           8
        .value_kind:     global_buffer
      - .address_space:  global
        .offset:         8
        .size:           8
        .value_kind:     global_buffer
      - .offset:         16
        .size:           8
        .value_kind:     by_value
      - .offset:         24
        .size:           8
        .value_kind:     by_value
      - .offset:         32
        .size:           1
        .value_kind:     by_value
      - .address_space:  global
        .offset:         40
        .size:           8
        .value_kind:     global_buffer
      - .offset:         48
        .size:           4
        .value_kind:     by_value
      - .address_space:  global
        .offset:         56
        .size:           8
        .value_kind:     global_buffer
      - .address_space:  global
        .offset:         64
        .size:           8
        .value_kind:     global_buffer
      - .offset:         72
        .size:           1
        .value_kind:     by_value
      - .offset:         73
        .size:           1
        .value_kind:     by_value
    .group_segment_fixed_size: 0
    .kernarg_segment_align: 8
    .kernarg_segment_size: 76
    .language:       OpenCL C
    .language_version:
      - 2
      - 0
    .max_flat_workgroup_size: 256
    .name:           _ZN7rocprim6detail20lookback_scan_kernelILNS0_25lookback_scan_determinismE0ELb1ENS0_19wrapped_scan_configINS_14default_configEyEEPyS6_N6hipcub3MinEyyNS0_19lookback_scan_stateIyLb1ELb1EEEEEvT2_T3_mT5_T4_T7_jPT6_SH_bb
    .private_segment_fixed_size: 0
    .sgpr_count:     6
    .sgpr_spill_count: 0
    .symbol:         _ZN7rocprim6detail20lookback_scan_kernelILNS0_25lookback_scan_determinismE0ELb1ENS0_19wrapped_scan_configINS_14default_configEyEEPyS6_N6hipcub3MinEyyNS0_19lookback_scan_stateIyLb1ELb1EEEEEvT2_T3_mT5_T4_T7_jPT6_SH_bb.kd
    .uniform_work_group_size: 1
    .uses_dynamic_stack: false
    .vgpr_count:     0
    .vgpr_spill_count: 0
    .wavefront_size: 64
  - .agpr_count:     0
    .args:
      - .address_space:  global
        .offset:         0
        .size:           8
        .value_kind:     global_buffer
      - .address_space:  global
        .offset:         8
        .size:           8
        .value_kind:     global_buffer
      - .offset:         16
        .size:           8
        .value_kind:     by_value
      - .offset:         24
        .size:           8
        .value_kind:     by_value
      - .offset:         32
        .size:           1
        .value_kind:     by_value
      - .address_space:  global
        .offset:         40
        .size:           8
        .value_kind:     global_buffer
      - .offset:         48
        .size:           4
        .value_kind:     by_value
      - .address_space:  global
        .offset:         56
        .size:           8
        .value_kind:     global_buffer
      - .address_space:  global
        .offset:         64
        .size:           8
        .value_kind:     global_buffer
      - .offset:         72
        .size:           1
        .value_kind:     by_value
      - .offset:         73
        .size:           1
        .value_kind:     by_value
    .group_segment_fixed_size: 30720
    .kernarg_segment_align: 8
    .kernarg_segment_size: 76
    .language:       OpenCL C
    .language_version:
      - 2
      - 0
    .max_flat_workgroup_size: 256
    .name:           _ZN7rocprim6detail20lookback_scan_kernelILNS0_25lookback_scan_determinismE0ELb1ENS0_19wrapped_scan_configINS_14default_configEyEEPyS6_N6hipcub3MinEyyNS0_19lookback_scan_stateIyLb0ELb1EEEEEvT2_T3_mT5_T4_T7_jPT6_SH_bb
    .private_segment_fixed_size: 0
    .sgpr_count:     74
    .sgpr_spill_count: 0
    .symbol:         _ZN7rocprim6detail20lookback_scan_kernelILNS0_25lookback_scan_determinismE0ELb1ENS0_19wrapped_scan_configINS_14default_configEyEEPyS6_N6hipcub3MinEyyNS0_19lookback_scan_stateIyLb0ELb1EEEEEvT2_T3_mT5_T4_T7_jPT6_SH_bb.kd
    .uniform_work_group_size: 1
    .uses_dynamic_stack: false
    .vgpr_count:     67
    .vgpr_spill_count: 0
    .wavefront_size: 64
  - .agpr_count:     0
    .args:
      - .address_space:  global
        .offset:         0
        .size:           8
        .value_kind:     global_buffer
      - .offset:         8
        .size:           8
        .value_kind:     by_value
      - .offset:         16
        .size:           8
        .value_kind:     by_value
      - .address_space:  global
        .offset:         24
        .size:           8
        .value_kind:     global_buffer
      - .offset:         32
        .size:           1
        .value_kind:     by_value
    .group_segment_fixed_size: 30720
    .kernarg_segment_align: 8
    .kernarg_segment_size: 36
    .language:       OpenCL C
    .language_version:
      - 2
      - 0
    .max_flat_workgroup_size: 256
    .name:           _ZN7rocprim6detail18single_scan_kernelILb1ENS0_19wrapped_scan_configINS_14default_configEyEEPyS5_N6hipcub3MinEyyEEvT1_mT4_T2_T3_
    .private_segment_fixed_size: 0
    .sgpr_count:     82
    .sgpr_spill_count: 0
    .symbol:         _ZN7rocprim6detail18single_scan_kernelILb1ENS0_19wrapped_scan_configINS_14default_configEyEEPyS5_N6hipcub3MinEyyEEvT1_mT4_T2_T3_.kd
    .uniform_work_group_size: 1
    .uses_dynamic_stack: false
    .vgpr_count:     48
    .vgpr_spill_count: 0
    .wavefront_size: 64
  - .agpr_count:     0
    .args:
      - .address_space:  global
        .offset:         0
        .size:           8
        .value_kind:     global_buffer
      - .offset:         8
        .size:           16
        .value_kind:     by_value
      - .address_space:  global
        .offset:         24
        .size:           8
        .value_kind:     global_buffer
      - .offset:         32
        .size:           4
        .value_kind:     by_value
      - .offset:         36
        .size:           1
        .value_kind:     by_value
      - .offset:         37
        .size:           1
        .value_kind:     by_value
      - .address_space:  global
        .offset:         40
        .size:           8
        .value_kind:     global_buffer
      - .offset:         48
        .size:           8
        .value_kind:     by_value
      - .offset:         56
        .size:           8
        .value_kind:     by_value
      - .offset:         64
        .size:           8
        .value_kind:     by_value
      - .address_space:  global
        .offset:         72
        .size:           8
        .value_kind:     global_buffer
    .group_segment_fixed_size: 0
    .kernarg_segment_align: 8
    .kernarg_segment_size: 80
    .language:       OpenCL C
    .language_version:
      - 2
      - 0
    .max_flat_workgroup_size: 256
    .name:           _ZN7rocprim6detail25device_scan_by_key_kernelILNS0_25lookback_scan_determinismE0ELb1ENS0_26wrapped_scan_by_key_configINS_14default_configEiiEEPiN6hipcub22TransformInputIteratorIiNS7_6CastOpIiEES6_lEEPliNS7_8EqualityENS7_3SumENS0_19lookback_scan_stateINS_5tupleIJibEEELb1ELb1EEEiEEvT2_T3_T4_T5_T6_T7_T8_mmmPKNSG_IJT9_bEEE
    .private_segment_fixed_size: 0
    .sgpr_count:     6
    .sgpr_spill_count: 0
    .symbol:         _ZN7rocprim6detail25device_scan_by_key_kernelILNS0_25lookback_scan_determinismE0ELb1ENS0_26wrapped_scan_by_key_configINS_14default_configEiiEEPiN6hipcub22TransformInputIteratorIiNS7_6CastOpIiEES6_lEEPliNS7_8EqualityENS7_3SumENS0_19lookback_scan_stateINS_5tupleIJibEEELb1ELb1EEEiEEvT2_T3_T4_T5_T6_T7_T8_mmmPKNSG_IJT9_bEEE.kd
    .uniform_work_group_size: 1
    .uses_dynamic_stack: false
    .vgpr_count:     0
    .vgpr_spill_count: 0
    .wavefront_size: 64
  - .agpr_count:     0
    .args:
      - .address_space:  global
        .offset:         0
        .size:           8
        .value_kind:     global_buffer
      - .offset:         8
        .size:           16
        .value_kind:     by_value
      - .address_space:  global
        .offset:         24
        .size:           8
        .value_kind:     global_buffer
      - .offset:         32
        .size:           4
        .value_kind:     by_value
      - .offset:         36
        .size:           1
        .value_kind:     by_value
      - .offset:         37
        .size:           1
        .value_kind:     by_value
      - .address_space:  global
        .offset:         40
        .size:           8
        .value_kind:     global_buffer
      - .offset:         48
        .size:           8
        .value_kind:     by_value
      - .offset:         56
        .size:           8
        .value_kind:     by_value
      - .offset:         64
        .size:           8
        .value_kind:     by_value
      - .address_space:  global
        .offset:         72
        .size:           8
        .value_kind:     global_buffer
    .group_segment_fixed_size: 25600
    .kernarg_segment_align: 8
    .kernarg_segment_size: 80
    .language:       OpenCL C
    .language_version:
      - 2
      - 0
    .max_flat_workgroup_size: 256
    .name:           _ZN7rocprim6detail25device_scan_by_key_kernelILNS0_25lookback_scan_determinismE0ELb1ENS0_26wrapped_scan_by_key_configINS_14default_configEiiEEPiN6hipcub22TransformInputIteratorIiNS7_6CastOpIiEES6_lEEPliNS7_8EqualityENS7_3SumENS0_19lookback_scan_stateINS_5tupleIJibEEELb0ELb1EEEiEEvT2_T3_T4_T5_T6_T7_T8_mmmPKNSG_IJT9_bEEE
    .private_segment_fixed_size: 0
    .sgpr_count:     83
    .sgpr_spill_count: 0
    .symbol:         _ZN7rocprim6detail25device_scan_by_key_kernelILNS0_25lookback_scan_determinismE0ELb1ENS0_26wrapped_scan_by_key_configINS_14default_configEiiEEPiN6hipcub22TransformInputIteratorIiNS7_6CastOpIiEES6_lEEPliNS7_8EqualityENS7_3SumENS0_19lookback_scan_stateINS_5tupleIJibEEELb0ELb1EEEiEEvT2_T3_T4_T5_T6_T7_T8_mmmPKNSG_IJT9_bEEE.kd
    .uniform_work_group_size: 1
    .uses_dynamic_stack: false
    .vgpr_count:     79
    .vgpr_spill_count: 0
    .wavefront_size: 64
  - .agpr_count:     0
    .args:
      - .address_space:  global
        .offset:         0
        .size:           8
        .value_kind:     global_buffer
      - .offset:         8
        .size:           16
        .value_kind:     by_value
      - .address_space:  global
        .offset:         24
        .size:           8
        .value_kind:     global_buffer
      - .offset:         32
        .size:           2
        .value_kind:     by_value
      - .offset:         34
        .size:           1
        .value_kind:     by_value
      - .offset:         35
        .size:           1
        .value_kind:     by_value
      - .address_space:  global
        .offset:         40
        .size:           8
        .value_kind:     global_buffer
      - .offset:         48
        .size:           8
        .value_kind:     by_value
      - .offset:         56
        .size:           8
        .value_kind:     by_value
      - .offset:         64
        .size:           8
        .value_kind:     by_value
      - .address_space:  global
        .offset:         72
        .size:           8
        .value_kind:     global_buffer
    .group_segment_fixed_size: 0
    .kernarg_segment_align: 8
    .kernarg_segment_size: 80
    .language:       OpenCL C
    .language_version:
      - 2
      - 0
    .max_flat_workgroup_size: 256
    .name:           _ZN7rocprim6detail25device_scan_by_key_kernelILNS0_25lookback_scan_determinismE0ELb1ENS0_26wrapped_scan_by_key_configINS_14default_configEi6__halfEEPiN6hipcub22TransformInputIteratorIS5_NS8_6CastOpIS5_EEPS5_lEESC_S5_NS8_8EqualityENS8_3SumENS0_19lookback_scan_stateINS_5tupleIJS5_bEEELb1ELb1EEES5_EEvT2_T3_T4_T5_T6_T7_T8_mmmPKNSH_IJT9_bEEE
    .private_segment_fixed_size: 0
    .sgpr_count:     6
    .sgpr_spill_count: 0
    .symbol:         _ZN7rocprim6detail25device_scan_by_key_kernelILNS0_25lookback_scan_determinismE0ELb1ENS0_26wrapped_scan_by_key_configINS_14default_configEi6__halfEEPiN6hipcub22TransformInputIteratorIS5_NS8_6CastOpIS5_EEPS5_lEESC_S5_NS8_8EqualityENS8_3SumENS0_19lookback_scan_stateINS_5tupleIJS5_bEEELb1ELb1EEES5_EEvT2_T3_T4_T5_T6_T7_T8_mmmPKNSH_IJT9_bEEE.kd
    .uniform_work_group_size: 1
    .uses_dynamic_stack: false
    .vgpr_count:     0
    .vgpr_spill_count: 0
    .wavefront_size: 64
  - .agpr_count:     0
    .args:
      - .address_space:  global
        .offset:         0
        .size:           8
        .value_kind:     global_buffer
      - .offset:         8
        .size:           16
        .value_kind:     by_value
      - .address_space:  global
        .offset:         24
        .size:           8
        .value_kind:     global_buffer
      - .offset:         32
        .size:           2
        .value_kind:     by_value
      - .offset:         34
        .size:           1
        .value_kind:     by_value
      - .offset:         35
        .size:           1
        .value_kind:     by_value
      - .address_space:  global
        .offset:         40
        .size:           8
        .value_kind:     global_buffer
      - .offset:         48
        .size:           8
        .value_kind:     by_value
      - .offset:         56
        .size:           8
        .value_kind:     by_value
      - .offset:         64
        .size:           8
        .value_kind:     by_value
      - .address_space:  global
        .offset:         72
        .size:           8
        .value_kind:     global_buffer
    .group_segment_fixed_size: 26624
    .kernarg_segment_align: 8
    .kernarg_segment_size: 80
    .language:       OpenCL C
    .language_version:
      - 2
      - 0
    .max_flat_workgroup_size: 256
    .name:           _ZN7rocprim6detail25device_scan_by_key_kernelILNS0_25lookback_scan_determinismE0ELb1ENS0_26wrapped_scan_by_key_configINS_14default_configEi6__halfEEPiN6hipcub22TransformInputIteratorIS5_NS8_6CastOpIS5_EEPS5_lEESC_S5_NS8_8EqualityENS8_3SumENS0_19lookback_scan_stateINS_5tupleIJS5_bEEELb0ELb1EEES5_EEvT2_T3_T4_T5_T6_T7_T8_mmmPKNSH_IJT9_bEEE
    .private_segment_fixed_size: 0
    .sgpr_count:     81
    .sgpr_spill_count: 0
    .symbol:         _ZN7rocprim6detail25device_scan_by_key_kernelILNS0_25lookback_scan_determinismE0ELb1ENS0_26wrapped_scan_by_key_configINS_14default_configEi6__halfEEPiN6hipcub22TransformInputIteratorIS5_NS8_6CastOpIS5_EEPS5_lEESC_S5_NS8_8EqualityENS8_3SumENS0_19lookback_scan_stateINS_5tupleIJS5_bEEELb0ELb1EEES5_EEvT2_T3_T4_T5_T6_T7_T8_mmmPKNSH_IJT9_bEEE.kd
    .uniform_work_group_size: 1
    .uses_dynamic_stack: false
    .vgpr_count:     83
    .vgpr_spill_count: 0
    .wavefront_size: 64
  - .agpr_count:     0
    .args:
      - .address_space:  global
        .offset:         0
        .size:           8
        .value_kind:     global_buffer
      - .offset:         8
        .size:           16
        .value_kind:     by_value
      - .address_space:  global
        .offset:         24
        .size:           8
        .value_kind:     global_buffer
      - .offset:         32
        .size:           2
        .value_kind:     by_value
      - .offset:         34
        .size:           1
        .value_kind:     by_value
      - .offset:         35
        .size:           1
        .value_kind:     by_value
      - .address_space:  global
        .offset:         40
        .size:           8
        .value_kind:     global_buffer
      - .offset:         48
        .size:           8
        .value_kind:     by_value
      - .offset:         56
        .size:           8
        .value_kind:     by_value
      - .offset:         64
        .size:           8
        .value_kind:     by_value
      - .address_space:  global
        .offset:         72
        .size:           8
        .value_kind:     global_buffer
    .group_segment_fixed_size: 0
    .kernarg_segment_align: 8
    .kernarg_segment_size: 80
    .language:       OpenCL C
    .language_version:
      - 2
      - 0
    .max_flat_workgroup_size: 256
    .name:           _ZN7rocprim6detail25device_scan_by_key_kernelILNS0_25lookback_scan_determinismE0ELb1ENS0_26wrapped_scan_by_key_configINS_14default_configEi6__halfEEPiN6hipcub22TransformInputIteratorIS5_NS8_6CastOpIS5_EEPS5_lEESC_S5_NS8_8EqualityENS8_3MaxENS0_19lookback_scan_stateINS_5tupleIJS5_bEEELb1ELb1EEES5_EEvT2_T3_T4_T5_T6_T7_T8_mmmPKNSH_IJT9_bEEE
    .private_segment_fixed_size: 0
    .sgpr_count:     6
    .sgpr_spill_count: 0
    .symbol:         _ZN7rocprim6detail25device_scan_by_key_kernelILNS0_25lookback_scan_determinismE0ELb1ENS0_26wrapped_scan_by_key_configINS_14default_configEi6__halfEEPiN6hipcub22TransformInputIteratorIS5_NS8_6CastOpIS5_EEPS5_lEESC_S5_NS8_8EqualityENS8_3MaxENS0_19lookback_scan_stateINS_5tupleIJS5_bEEELb1ELb1EEES5_EEvT2_T3_T4_T5_T6_T7_T8_mmmPKNSH_IJT9_bEEE.kd
    .uniform_work_group_size: 1
    .uses_dynamic_stack: false
    .vgpr_count:     0
    .vgpr_spill_count: 0
    .wavefront_size: 64
  - .agpr_count:     0
    .args:
      - .address_space:  global
        .offset:         0
        .size:           8
        .value_kind:     global_buffer
      - .offset:         8
        .size:           16
        .value_kind:     by_value
      - .address_space:  global
        .offset:         24
        .size:           8
        .value_kind:     global_buffer
      - .offset:         32
        .size:           2
        .value_kind:     by_value
      - .offset:         34
        .size:           1
        .value_kind:     by_value
      - .offset:         35
        .size:           1
        .value_kind:     by_value
      - .address_space:  global
        .offset:         40
        .size:           8
        .value_kind:     global_buffer
      - .offset:         48
        .size:           8
        .value_kind:     by_value
      - .offset:         56
        .size:           8
        .value_kind:     by_value
      - .offset:         64
        .size:           8
        .value_kind:     by_value
      - .address_space:  global
        .offset:         72
        .size:           8
        .value_kind:     global_buffer
    .group_segment_fixed_size: 26624
    .kernarg_segment_align: 8
    .kernarg_segment_size: 80
    .language:       OpenCL C
    .language_version:
      - 2
      - 0
    .max_flat_workgroup_size: 256
    .name:           _ZN7rocprim6detail25device_scan_by_key_kernelILNS0_25lookback_scan_determinismE0ELb1ENS0_26wrapped_scan_by_key_configINS_14default_configEi6__halfEEPiN6hipcub22TransformInputIteratorIS5_NS8_6CastOpIS5_EEPS5_lEESC_S5_NS8_8EqualityENS8_3MaxENS0_19lookback_scan_stateINS_5tupleIJS5_bEEELb0ELb1EEES5_EEvT2_T3_T4_T5_T6_T7_T8_mmmPKNSH_IJT9_bEEE
    .private_segment_fixed_size: 0
    .sgpr_count:     81
    .sgpr_spill_count: 0
    .symbol:         _ZN7rocprim6detail25device_scan_by_key_kernelILNS0_25lookback_scan_determinismE0ELb1ENS0_26wrapped_scan_by_key_configINS_14default_configEi6__halfEEPiN6hipcub22TransformInputIteratorIS5_NS8_6CastOpIS5_EEPS5_lEESC_S5_NS8_8EqualityENS8_3MaxENS0_19lookback_scan_stateINS_5tupleIJS5_bEEELb0ELb1EEES5_EEvT2_T3_T4_T5_T6_T7_T8_mmmPKNSH_IJT9_bEEE.kd
    .uniform_work_group_size: 1
    .uses_dynamic_stack: false
    .vgpr_count:     80
    .vgpr_spill_count: 0
    .wavefront_size: 64
  - .agpr_count:     0
    .args:
      - .address_space:  global
        .offset:         0
        .size:           8
        .value_kind:     global_buffer
      - .offset:         8
        .size:           16
        .value_kind:     by_value
      - .address_space:  global
        .offset:         24
        .size:           8
        .value_kind:     global_buffer
      - .offset:         32
        .size:           2
        .value_kind:     by_value
      - .offset:         34
        .size:           1
        .value_kind:     by_value
      - .offset:         35
        .size:           1
        .value_kind:     by_value
      - .address_space:  global
        .offset:         40
        .size:           8
        .value_kind:     global_buffer
      - .offset:         48
        .size:           8
        .value_kind:     by_value
      - .offset:         56
        .size:           8
        .value_kind:     by_value
      - .offset:         64
        .size:           8
        .value_kind:     by_value
      - .address_space:  global
        .offset:         72
        .size:           8
        .value_kind:     global_buffer
    .group_segment_fixed_size: 0
    .kernarg_segment_align: 8
    .kernarg_segment_size: 80
    .language:       OpenCL C
    .language_version:
      - 2
      - 0
    .max_flat_workgroup_size: 256
    .name:           _ZN7rocprim6detail25device_scan_by_key_kernelILNS0_25lookback_scan_determinismE0ELb1ENS0_26wrapped_scan_by_key_configINS_14default_configEi12hip_bfloat16EEPiN6hipcub22TransformInputIteratorIS5_NS8_6CastOpIS5_EEPS5_lEESC_S5_NS8_8EqualityENS8_3SumENS0_19lookback_scan_stateINS_5tupleIJS5_bEEELb1ELb1EEES5_EEvT2_T3_T4_T5_T6_T7_T8_mmmPKNSH_IJT9_bEEE
    .private_segment_fixed_size: 0
    .sgpr_count:     6
    .sgpr_spill_count: 0
    .symbol:         _ZN7rocprim6detail25device_scan_by_key_kernelILNS0_25lookback_scan_determinismE0ELb1ENS0_26wrapped_scan_by_key_configINS_14default_configEi12hip_bfloat16EEPiN6hipcub22TransformInputIteratorIS5_NS8_6CastOpIS5_EEPS5_lEESC_S5_NS8_8EqualityENS8_3SumENS0_19lookback_scan_stateINS_5tupleIJS5_bEEELb1ELb1EEES5_EEvT2_T3_T4_T5_T6_T7_T8_mmmPKNSH_IJT9_bEEE.kd
    .uniform_work_group_size: 1
    .uses_dynamic_stack: false
    .vgpr_count:     0
    .vgpr_spill_count: 0
    .wavefront_size: 64
  - .agpr_count:     0
    .args:
      - .address_space:  global
        .offset:         0
        .size:           8
        .value_kind:     global_buffer
      - .offset:         8
        .size:           16
        .value_kind:     by_value
      - .address_space:  global
        .offset:         24
        .size:           8
        .value_kind:     global_buffer
      - .offset:         32
        .size:           2
        .value_kind:     by_value
      - .offset:         34
        .size:           1
        .value_kind:     by_value
      - .offset:         35
        .size:           1
        .value_kind:     by_value
      - .address_space:  global
        .offset:         40
        .size:           8
        .value_kind:     global_buffer
      - .offset:         48
        .size:           8
        .value_kind:     by_value
      - .offset:         56
        .size:           8
        .value_kind:     by_value
      - .offset:         64
        .size:           8
        .value_kind:     by_value
      - .address_space:  global
        .offset:         72
        .size:           8
        .value_kind:     global_buffer
    .group_segment_fixed_size: 26624
    .kernarg_segment_align: 8
    .kernarg_segment_size: 80
    .language:       OpenCL C
    .language_version:
      - 2
      - 0
    .max_flat_workgroup_size: 256
    .name:           _ZN7rocprim6detail25device_scan_by_key_kernelILNS0_25lookback_scan_determinismE0ELb1ENS0_26wrapped_scan_by_key_configINS_14default_configEi12hip_bfloat16EEPiN6hipcub22TransformInputIteratorIS5_NS8_6CastOpIS5_EEPS5_lEESC_S5_NS8_8EqualityENS8_3SumENS0_19lookback_scan_stateINS_5tupleIJS5_bEEELb0ELb1EEES5_EEvT2_T3_T4_T5_T6_T7_T8_mmmPKNSH_IJT9_bEEE
    .private_segment_fixed_size: 0
    .sgpr_count:     83
    .sgpr_spill_count: 0
    .symbol:         _ZN7rocprim6detail25device_scan_by_key_kernelILNS0_25lookback_scan_determinismE0ELb1ENS0_26wrapped_scan_by_key_configINS_14default_configEi12hip_bfloat16EEPiN6hipcub22TransformInputIteratorIS5_NS8_6CastOpIS5_EEPS5_lEESC_S5_NS8_8EqualityENS8_3SumENS0_19lookback_scan_stateINS_5tupleIJS5_bEEELb0ELb1EEES5_EEvT2_T3_T4_T5_T6_T7_T8_mmmPKNSH_IJT9_bEEE.kd
    .uniform_work_group_size: 1
    .uses_dynamic_stack: false
    .vgpr_count:     76
    .vgpr_spill_count: 0
    .wavefront_size: 64
  - .agpr_count:     0
    .args:
      - .address_space:  global
        .offset:         0
        .size:           8
        .value_kind:     global_buffer
      - .offset:         8
        .size:           16
        .value_kind:     by_value
      - .address_space:  global
        .offset:         24
        .size:           8
        .value_kind:     global_buffer
      - .offset:         32
        .size:           2
        .value_kind:     by_value
      - .offset:         34
        .size:           1
        .value_kind:     by_value
      - .offset:         35
        .size:           1
        .value_kind:     by_value
      - .address_space:  global
        .offset:         40
        .size:           8
        .value_kind:     global_buffer
      - .offset:         48
        .size:           8
        .value_kind:     by_value
      - .offset:         56
        .size:           8
        .value_kind:     by_value
      - .offset:         64
        .size:           8
        .value_kind:     by_value
      - .address_space:  global
        .offset:         72
        .size:           8
        .value_kind:     global_buffer
    .group_segment_fixed_size: 0
    .kernarg_segment_align: 8
    .kernarg_segment_size: 80
    .language:       OpenCL C
    .language_version:
      - 2
      - 0
    .max_flat_workgroup_size: 256
    .name:           _ZN7rocprim6detail25device_scan_by_key_kernelILNS0_25lookback_scan_determinismE0ELb1ENS0_26wrapped_scan_by_key_configINS_14default_configEi12hip_bfloat16EEPiN6hipcub22TransformInputIteratorIS5_NS8_6CastOpIS5_EEPS5_lEESC_S5_NS8_8EqualityENS8_3MaxENS0_19lookback_scan_stateINS_5tupleIJS5_bEEELb1ELb1EEES5_EEvT2_T3_T4_T5_T6_T7_T8_mmmPKNSH_IJT9_bEEE
    .private_segment_fixed_size: 0
    .sgpr_count:     6
    .sgpr_spill_count: 0
    .symbol:         _ZN7rocprim6detail25device_scan_by_key_kernelILNS0_25lookback_scan_determinismE0ELb1ENS0_26wrapped_scan_by_key_configINS_14default_configEi12hip_bfloat16EEPiN6hipcub22TransformInputIteratorIS5_NS8_6CastOpIS5_EEPS5_lEESC_S5_NS8_8EqualityENS8_3MaxENS0_19lookback_scan_stateINS_5tupleIJS5_bEEELb1ELb1EEES5_EEvT2_T3_T4_T5_T6_T7_T8_mmmPKNSH_IJT9_bEEE.kd
    .uniform_work_group_size: 1
    .uses_dynamic_stack: false
    .vgpr_count:     0
    .vgpr_spill_count: 0
    .wavefront_size: 64
  - .agpr_count:     0
    .args:
      - .address_space:  global
        .offset:         0
        .size:           8
        .value_kind:     global_buffer
      - .offset:         8
        .size:           16
        .value_kind:     by_value
      - .address_space:  global
        .offset:         24
        .size:           8
        .value_kind:     global_buffer
      - .offset:         32
        .size:           2
        .value_kind:     by_value
      - .offset:         34
        .size:           1
        .value_kind:     by_value
      - .offset:         35
        .size:           1
        .value_kind:     by_value
      - .address_space:  global
        .offset:         40
        .size:           8
        .value_kind:     global_buffer
      - .offset:         48
        .size:           8
        .value_kind:     by_value
      - .offset:         56
        .size:           8
        .value_kind:     by_value
      - .offset:         64
        .size:           8
        .value_kind:     by_value
      - .address_space:  global
        .offset:         72
        .size:           8
        .value_kind:     global_buffer
    .group_segment_fixed_size: 26624
    .kernarg_segment_align: 8
    .kernarg_segment_size: 80
    .language:       OpenCL C
    .language_version:
      - 2
      - 0
    .max_flat_workgroup_size: 256
    .name:           _ZN7rocprim6detail25device_scan_by_key_kernelILNS0_25lookback_scan_determinismE0ELb1ENS0_26wrapped_scan_by_key_configINS_14default_configEi12hip_bfloat16EEPiN6hipcub22TransformInputIteratorIS5_NS8_6CastOpIS5_EEPS5_lEESC_S5_NS8_8EqualityENS8_3MaxENS0_19lookback_scan_stateINS_5tupleIJS5_bEEELb0ELb1EEES5_EEvT2_T3_T4_T5_T6_T7_T8_mmmPKNSH_IJT9_bEEE
    .private_segment_fixed_size: 0
    .sgpr_count:     94
    .sgpr_spill_count: 0
    .symbol:         _ZN7rocprim6detail25device_scan_by_key_kernelILNS0_25lookback_scan_determinismE0ELb1ENS0_26wrapped_scan_by_key_configINS_14default_configEi12hip_bfloat16EEPiN6hipcub22TransformInputIteratorIS5_NS8_6CastOpIS5_EEPS5_lEESC_S5_NS8_8EqualityENS8_3MaxENS0_19lookback_scan_stateINS_5tupleIJS5_bEEELb0ELb1EEES5_EEvT2_T3_T4_T5_T6_T7_T8_mmmPKNSH_IJT9_bEEE.kd
    .uniform_work_group_size: 1
    .uses_dynamic_stack: false
    .vgpr_count:     81
    .vgpr_spill_count: 0
    .wavefront_size: 64
  - .agpr_count:     0
    .args:
      - .address_space:  global
        .offset:         0
        .size:           8
        .value_kind:     global_buffer
      - .offset:         8
        .size:           16
        .value_kind:     by_value
      - .address_space:  global
        .offset:         24
        .size:           8
        .value_kind:     global_buffer
      - .offset:         32
        .size:           4
        .value_kind:     by_value
      - .offset:         36
        .size:           1
        .value_kind:     by_value
      - .offset:         37
        .size:           1
        .value_kind:     by_value
      - .address_space:  global
        .offset:         40
        .size:           8
        .value_kind:     global_buffer
      - .offset:         48
        .size:           8
        .value_kind:     by_value
      - .offset:         56
        .size:           8
        .value_kind:     by_value
      - .offset:         64
        .size:           8
        .value_kind:     by_value
      - .address_space:  global
        .offset:         72
        .size:           8
        .value_kind:     global_buffer
    .group_segment_fixed_size: 0
    .kernarg_segment_align: 8
    .kernarg_segment_size: 80
    .language:       OpenCL C
    .language_version:
      - 2
      - 0
    .max_flat_workgroup_size: 256
    .name:           _ZN7rocprim6detail25device_scan_by_key_kernelILNS0_25lookback_scan_determinismE0ELb1ENS0_26wrapped_scan_by_key_configINS_14default_configEiiEEPiN6hipcub22TransformInputIteratorIiNS7_6CastOpIiEES6_lEEPdiNS7_8EqualityENS7_3SumENS0_19lookback_scan_stateINS_5tupleIJibEEELb1ELb1EEEiEEvT2_T3_T4_T5_T6_T7_T8_mmmPKNSG_IJT9_bEEE
    .private_segment_fixed_size: 0
    .sgpr_count:     6
    .sgpr_spill_count: 0
    .symbol:         _ZN7rocprim6detail25device_scan_by_key_kernelILNS0_25lookback_scan_determinismE0ELb1ENS0_26wrapped_scan_by_key_configINS_14default_configEiiEEPiN6hipcub22TransformInputIteratorIiNS7_6CastOpIiEES6_lEEPdiNS7_8EqualityENS7_3SumENS0_19lookback_scan_stateINS_5tupleIJibEEELb1ELb1EEEiEEvT2_T3_T4_T5_T6_T7_T8_mmmPKNSG_IJT9_bEEE.kd
    .uniform_work_group_size: 1
    .uses_dynamic_stack: false
    .vgpr_count:     0
    .vgpr_spill_count: 0
    .wavefront_size: 64
  - .agpr_count:     0
    .args:
      - .address_space:  global
        .offset:         0
        .size:           8
        .value_kind:     global_buffer
      - .offset:         8
        .size:           16
        .value_kind:     by_value
      - .address_space:  global
        .offset:         24
        .size:           8
        .value_kind:     global_buffer
      - .offset:         32
        .size:           4
        .value_kind:     by_value
      - .offset:         36
        .size:           1
        .value_kind:     by_value
      - .offset:         37
        .size:           1
        .value_kind:     by_value
      - .address_space:  global
        .offset:         40
        .size:           8
        .value_kind:     global_buffer
      - .offset:         48
        .size:           8
        .value_kind:     by_value
      - .offset:         56
        .size:           8
        .value_kind:     by_value
      - .offset:         64
        .size:           8
        .value_kind:     by_value
      - .address_space:  global
        .offset:         72
        .size:           8
        .value_kind:     global_buffer
    .group_segment_fixed_size: 25600
    .kernarg_segment_align: 8
    .kernarg_segment_size: 80
    .language:       OpenCL C
    .language_version:
      - 2
      - 0
    .max_flat_workgroup_size: 256
    .name:           _ZN7rocprim6detail25device_scan_by_key_kernelILNS0_25lookback_scan_determinismE0ELb1ENS0_26wrapped_scan_by_key_configINS_14default_configEiiEEPiN6hipcub22TransformInputIteratorIiNS7_6CastOpIiEES6_lEEPdiNS7_8EqualityENS7_3SumENS0_19lookback_scan_stateINS_5tupleIJibEEELb0ELb1EEEiEEvT2_T3_T4_T5_T6_T7_T8_mmmPKNSG_IJT9_bEEE
    .private_segment_fixed_size: 0
    .sgpr_count:     83
    .sgpr_spill_count: 0
    .symbol:         _ZN7rocprim6detail25device_scan_by_key_kernelILNS0_25lookback_scan_determinismE0ELb1ENS0_26wrapped_scan_by_key_configINS_14default_configEiiEEPiN6hipcub22TransformInputIteratorIiNS7_6CastOpIiEES6_lEEPdiNS7_8EqualityENS7_3SumENS0_19lookback_scan_stateINS_5tupleIJibEEELb0ELb1EEEiEEvT2_T3_T4_T5_T6_T7_T8_mmmPKNSG_IJT9_bEEE.kd
    .uniform_work_group_size: 1
    .uses_dynamic_stack: false
    .vgpr_count:     79
    .vgpr_spill_count: 0
    .wavefront_size: 64
  - .agpr_count:     0
    .args:
      - .address_space:  global
        .offset:         0
        .size:           8
        .value_kind:     global_buffer
      - .offset:         8
        .size:           16
        .value_kind:     by_value
      - .address_space:  global
        .offset:         24
        .size:           8
        .value_kind:     global_buffer
      - .offset:         32
        .size:           2
        .value_kind:     by_value
      - .offset:         34
        .size:           1
        .value_kind:     by_value
      - .offset:         35
        .size:           1
        .value_kind:     by_value
      - .address_space:  global
        .offset:         40
        .size:           8
        .value_kind:     global_buffer
      - .offset:         48
        .size:           8
        .value_kind:     by_value
      - .offset:         56
        .size:           8
        .value_kind:     by_value
      - .offset:         64
        .size:           8
        .value_kind:     by_value
      - .address_space:  global
        .offset:         72
        .size:           8
        .value_kind:     global_buffer
    .group_segment_fixed_size: 0
    .kernarg_segment_align: 8
    .kernarg_segment_size: 80
    .language:       OpenCL C
    .language_version:
      - 2
      - 0
    .max_flat_workgroup_size: 256
    .name:           _ZN7rocprim6detail25device_scan_by_key_kernelILNS0_25lookback_scan_determinismE0ELb1ENS0_26wrapped_scan_by_key_configINS_14default_configEiiEEPiN6hipcub22TransformInputIteratorIsNS7_6CastOpIsEEPslEEPfsNS7_8EqualityENS7_3SumENS0_19lookback_scan_stateINS_5tupleIJibEEELb1ELb1EEEiEEvT2_T3_T4_T5_T6_T7_T8_mmmPKNSH_IJT9_bEEE
    .private_segment_fixed_size: 0
    .sgpr_count:     6
    .sgpr_spill_count: 0
    .symbol:         _ZN7rocprim6detail25device_scan_by_key_kernelILNS0_25lookback_scan_determinismE0ELb1ENS0_26wrapped_scan_by_key_configINS_14default_configEiiEEPiN6hipcub22TransformInputIteratorIsNS7_6CastOpIsEEPslEEPfsNS7_8EqualityENS7_3SumENS0_19lookback_scan_stateINS_5tupleIJibEEELb1ELb1EEEiEEvT2_T3_T4_T5_T6_T7_T8_mmmPKNSH_IJT9_bEEE.kd
    .uniform_work_group_size: 1
    .uses_dynamic_stack: false
    .vgpr_count:     0
    .vgpr_spill_count: 0
    .wavefront_size: 64
  - .agpr_count:     0
    .args:
      - .address_space:  global
        .offset:         0
        .size:           8
        .value_kind:     global_buffer
      - .offset:         8
        .size:           16
        .value_kind:     by_value
      - .address_space:  global
        .offset:         24
        .size:           8
        .value_kind:     global_buffer
      - .offset:         32
        .size:           2
        .value_kind:     by_value
      - .offset:         34
        .size:           1
        .value_kind:     by_value
      - .offset:         35
        .size:           1
        .value_kind:     by_value
      - .address_space:  global
        .offset:         40
        .size:           8
        .value_kind:     global_buffer
      - .offset:         48
        .size:           8
        .value_kind:     by_value
      - .offset:         56
        .size:           8
        .value_kind:     by_value
      - .offset:         64
        .size:           8
        .value_kind:     by_value
      - .address_space:  global
        .offset:         72
        .size:           8
        .value_kind:     global_buffer
    .group_segment_fixed_size: 25600
    .kernarg_segment_align: 8
    .kernarg_segment_size: 80
    .language:       OpenCL C
    .language_version:
      - 2
      - 0
    .max_flat_workgroup_size: 256
    .name:           _ZN7rocprim6detail25device_scan_by_key_kernelILNS0_25lookback_scan_determinismE0ELb1ENS0_26wrapped_scan_by_key_configINS_14default_configEiiEEPiN6hipcub22TransformInputIteratorIsNS7_6CastOpIsEEPslEEPfsNS7_8EqualityENS7_3SumENS0_19lookback_scan_stateINS_5tupleIJibEEELb0ELb1EEEiEEvT2_T3_T4_T5_T6_T7_T8_mmmPKNSH_IJT9_bEEE
    .private_segment_fixed_size: 0
    .sgpr_count:     82
    .sgpr_spill_count: 0
    .symbol:         _ZN7rocprim6detail25device_scan_by_key_kernelILNS0_25lookback_scan_determinismE0ELb1ENS0_26wrapped_scan_by_key_configINS_14default_configEiiEEPiN6hipcub22TransformInputIteratorIsNS7_6CastOpIsEEPslEEPfsNS7_8EqualityENS7_3SumENS0_19lookback_scan_stateINS_5tupleIJibEEELb0ELb1EEEiEEvT2_T3_T4_T5_T6_T7_T8_mmmPKNSH_IJT9_bEEE.kd
    .uniform_work_group_size: 1
    .uses_dynamic_stack: false
    .vgpr_count:     80
    .vgpr_spill_count: 0
    .wavefront_size: 64
  - .agpr_count:     0
    .args:
      - .address_space:  global
        .offset:         0
        .size:           8
        .value_kind:     global_buffer
      - .offset:         8
        .size:           16
        .value_kind:     by_value
      - .address_space:  global
        .offset:         24
        .size:           8
        .value_kind:     global_buffer
      - .offset:         32
        .size:           2
        .value_kind:     by_value
      - .offset:         34
        .size:           1
        .value_kind:     by_value
      - .offset:         35
        .size:           1
        .value_kind:     by_value
      - .address_space:  global
        .offset:         40
        .size:           8
        .value_kind:     global_buffer
      - .offset:         48
        .size:           8
        .value_kind:     by_value
      - .offset:         56
        .size:           8
        .value_kind:     by_value
      - .offset:         64
        .size:           8
        .value_kind:     by_value
      - .address_space:  global
        .offset:         72
        .size:           8
        .value_kind:     global_buffer
    .group_segment_fixed_size: 0
    .kernarg_segment_align: 8
    .kernarg_segment_size: 80
    .language:       OpenCL C
    .language_version:
      - 2
      - 0
    .max_flat_workgroup_size: 256
    .name:           _ZN7rocprim6detail25device_scan_by_key_kernelILNS0_25lookback_scan_determinismE0ELb1ENS0_26wrapped_scan_by_key_configINS_14default_configEisEEPiN6hipcub22TransformInputIteratorIsNS7_6CastOpIsEEPslEEPfsNS7_8EqualityENS7_3MaxENS0_19lookback_scan_stateINS_5tupleIJsbEEELb1ELb1EEEsEEvT2_T3_T4_T5_T6_T7_T8_mmmPKNSH_IJT9_bEEE
    .private_segment_fixed_size: 0
    .sgpr_count:     6
    .sgpr_spill_count: 0
    .symbol:         _ZN7rocprim6detail25device_scan_by_key_kernelILNS0_25lookback_scan_determinismE0ELb1ENS0_26wrapped_scan_by_key_configINS_14default_configEisEEPiN6hipcub22TransformInputIteratorIsNS7_6CastOpIsEEPslEEPfsNS7_8EqualityENS7_3MaxENS0_19lookback_scan_stateINS_5tupleIJsbEEELb1ELb1EEEsEEvT2_T3_T4_T5_T6_T7_T8_mmmPKNSH_IJT9_bEEE.kd
    .uniform_work_group_size: 1
    .uses_dynamic_stack: false
    .vgpr_count:     0
    .vgpr_spill_count: 0
    .wavefront_size: 64
  - .agpr_count:     0
    .args:
      - .address_space:  global
        .offset:         0
        .size:           8
        .value_kind:     global_buffer
      - .offset:         8
        .size:           16
        .value_kind:     by_value
      - .address_space:  global
        .offset:         24
        .size:           8
        .value_kind:     global_buffer
      - .offset:         32
        .size:           2
        .value_kind:     by_value
      - .offset:         34
        .size:           1
        .value_kind:     by_value
      - .offset:         35
        .size:           1
        .value_kind:     by_value
      - .address_space:  global
        .offset:         40
        .size:           8
        .value_kind:     global_buffer
      - .offset:         48
        .size:           8
        .value_kind:     by_value
      - .offset:         56
        .size:           8
        .value_kind:     by_value
      - .offset:         64
        .size:           8
        .value_kind:     by_value
      - .address_space:  global
        .offset:         72
        .size:           8
        .value_kind:     global_buffer
    .group_segment_fixed_size: 26624
    .kernarg_segment_align: 8
    .kernarg_segment_size: 80
    .language:       OpenCL C
    .language_version:
      - 2
      - 0
    .max_flat_workgroup_size: 256
    .name:           _ZN7rocprim6detail25device_scan_by_key_kernelILNS0_25lookback_scan_determinismE0ELb1ENS0_26wrapped_scan_by_key_configINS_14default_configEisEEPiN6hipcub22TransformInputIteratorIsNS7_6CastOpIsEEPslEEPfsNS7_8EqualityENS7_3MaxENS0_19lookback_scan_stateINS_5tupleIJsbEEELb0ELb1EEEsEEvT2_T3_T4_T5_T6_T7_T8_mmmPKNSH_IJT9_bEEE
    .private_segment_fixed_size: 0
    .sgpr_count:     94
    .sgpr_spill_count: 0
    .symbol:         _ZN7rocprim6detail25device_scan_by_key_kernelILNS0_25lookback_scan_determinismE0ELb1ENS0_26wrapped_scan_by_key_configINS_14default_configEisEEPiN6hipcub22TransformInputIteratorIsNS7_6CastOpIsEEPslEEPfsNS7_8EqualityENS7_3MaxENS0_19lookback_scan_stateINS_5tupleIJsbEEELb0ELb1EEEsEEvT2_T3_T4_T5_T6_T7_T8_mmmPKNSH_IJT9_bEEE.kd
    .uniform_work_group_size: 1
    .uses_dynamic_stack: false
    .vgpr_count:     59
    .vgpr_spill_count: 0
    .wavefront_size: 64
  - .agpr_count:     0
    .args:
      - .address_space:  global
        .offset:         0
        .size:           8
        .value_kind:     global_buffer
      - .offset:         8
        .size:           16
        .value_kind:     by_value
      - .address_space:  global
        .offset:         24
        .size:           8
        .value_kind:     global_buffer
      - .offset:         32
        .size:           8
        .value_kind:     by_value
      - .offset:         40
        .size:           1
        .value_kind:     by_value
      - .offset:         41
        .size:           1
        .value_kind:     by_value
      - .offset:         48
        .size:           24
        .value_kind:     by_value
      - .offset:         72
        .size:           8
        .value_kind:     by_value
      - .offset:         80
        .size:           8
        .value_kind:     by_value
      - .offset:         88
        .size:           8
        .value_kind:     by_value
      - .address_space:  global
        .offset:         96
        .size:           8
        .value_kind:     global_buffer
    .group_segment_fixed_size: 0
    .kernarg_segment_align: 8
    .kernarg_segment_size: 104
    .language:       OpenCL C
    .language_version:
      - 2
      - 0
    .max_flat_workgroup_size: 256
    .name:           _ZN7rocprim6detail25device_scan_by_key_kernelILNS0_25lookback_scan_determinismE0ELb1ENS0_26wrapped_scan_by_key_configINS_14default_configEimEEPiN6hipcub22TransformInputIteratorImNS7_6CastOpImEEPmlEESB_mNS7_8EqualityENS7_3SumENS0_19lookback_scan_stateINS_5tupleIJmbEEELb1ELb0EEEmEEvT2_T3_T4_T5_T6_T7_T8_mmmPKNSG_IJT9_bEEE
    .private_segment_fixed_size: 0
    .sgpr_count:     6
    .sgpr_spill_count: 0
    .symbol:         _ZN7rocprim6detail25device_scan_by_key_kernelILNS0_25lookback_scan_determinismE0ELb1ENS0_26wrapped_scan_by_key_configINS_14default_configEimEEPiN6hipcub22TransformInputIteratorImNS7_6CastOpImEEPmlEESB_mNS7_8EqualityENS7_3SumENS0_19lookback_scan_stateINS_5tupleIJmbEEELb1ELb0EEEmEEvT2_T3_T4_T5_T6_T7_T8_mmmPKNSG_IJT9_bEEE.kd
    .uniform_work_group_size: 1
    .uses_dynamic_stack: false
    .vgpr_count:     0
    .vgpr_spill_count: 0
    .wavefront_size: 64
  - .agpr_count:     0
    .args:
      - .address_space:  global
        .offset:         0
        .size:           8
        .value_kind:     global_buffer
      - .offset:         8
        .size:           16
        .value_kind:     by_value
      - .address_space:  global
        .offset:         24
        .size:           8
        .value_kind:     global_buffer
      - .offset:         32
        .size:           8
        .value_kind:     by_value
      - .offset:         40
        .size:           1
        .value_kind:     by_value
      - .offset:         41
        .size:           1
        .value_kind:     by_value
      - .offset:         48
        .size:           24
        .value_kind:     by_value
      - .offset:         72
        .size:           8
        .value_kind:     by_value
      - .offset:         80
        .size:           8
        .value_kind:     by_value
      - .offset:         88
        .size:           8
        .value_kind:     by_value
      - .address_space:  global
        .offset:         96
        .size:           8
        .value_kind:     global_buffer
    .group_segment_fixed_size: 43008
    .kernarg_segment_align: 8
    .kernarg_segment_size: 104
    .language:       OpenCL C
    .language_version:
      - 2
      - 0
    .max_flat_workgroup_size: 256
    .name:           _ZN7rocprim6detail25device_scan_by_key_kernelILNS0_25lookback_scan_determinismE0ELb1ENS0_26wrapped_scan_by_key_configINS_14default_configEimEEPiN6hipcub22TransformInputIteratorImNS7_6CastOpImEEPmlEESB_mNS7_8EqualityENS7_3SumENS0_19lookback_scan_stateINS_5tupleIJmbEEELb0ELb0EEEmEEvT2_T3_T4_T5_T6_T7_T8_mmmPKNSG_IJT9_bEEE
    .private_segment_fixed_size: 0
    .sgpr_count:     80
    .sgpr_spill_count: 0
    .symbol:         _ZN7rocprim6detail25device_scan_by_key_kernelILNS0_25lookback_scan_determinismE0ELb1ENS0_26wrapped_scan_by_key_configINS_14default_configEimEEPiN6hipcub22TransformInputIteratorImNS7_6CastOpImEEPmlEESB_mNS7_8EqualityENS7_3SumENS0_19lookback_scan_stateINS_5tupleIJmbEEELb0ELb0EEEmEEvT2_T3_T4_T5_T6_T7_T8_mmmPKNSG_IJT9_bEEE.kd
    .uniform_work_group_size: 1
    .uses_dynamic_stack: false
    .vgpr_count:     126
    .vgpr_spill_count: 0
    .wavefront_size: 64
  - .agpr_count:     0
    .args:
      - .address_space:  global
        .offset:         0
        .size:           8
        .value_kind:     global_buffer
      - .offset:         8
        .size:           16
        .value_kind:     by_value
      - .address_space:  global
        .offset:         24
        .size:           8
        .value_kind:     global_buffer
      - .offset:         32
        .size:           8
        .value_kind:     by_value
      - .offset:         40
        .size:           1
        .value_kind:     by_value
      - .offset:         41
        .size:           1
        .value_kind:     by_value
      - .offset:         48
        .size:           24
        .value_kind:     by_value
      - .offset:         72
        .size:           8
        .value_kind:     by_value
      - .offset:         80
        .size:           8
        .value_kind:     by_value
      - .offset:         88
        .size:           8
        .value_kind:     by_value
      - .address_space:  global
        .offset:         96
        .size:           8
        .value_kind:     global_buffer
    .group_segment_fixed_size: 0
    .kernarg_segment_align: 8
    .kernarg_segment_size: 104
    .language:       OpenCL C
    .language_version:
      - 2
      - 0
    .max_flat_workgroup_size: 256
    .name:           _ZN7rocprim6detail25device_scan_by_key_kernelILNS0_25lookback_scan_determinismE0ELb1ENS0_26wrapped_scan_by_key_configINS_14default_configEiyEEPiN6hipcub22TransformInputIteratorIyNS7_6CastOpIyEEPylEESB_yNS7_8EqualityENS7_3SumENS0_19lookback_scan_stateINS_5tupleIJybEEELb1ELb0EEEyEEvT2_T3_T4_T5_T6_T7_T8_mmmPKNSG_IJT9_bEEE
    .private_segment_fixed_size: 0
    .sgpr_count:     6
    .sgpr_spill_count: 0
    .symbol:         _ZN7rocprim6detail25device_scan_by_key_kernelILNS0_25lookback_scan_determinismE0ELb1ENS0_26wrapped_scan_by_key_configINS_14default_configEiyEEPiN6hipcub22TransformInputIteratorIyNS7_6CastOpIyEEPylEESB_yNS7_8EqualityENS7_3SumENS0_19lookback_scan_stateINS_5tupleIJybEEELb1ELb0EEEyEEvT2_T3_T4_T5_T6_T7_T8_mmmPKNSG_IJT9_bEEE.kd
    .uniform_work_group_size: 1
    .uses_dynamic_stack: false
    .vgpr_count:     0
    .vgpr_spill_count: 0
    .wavefront_size: 64
  - .agpr_count:     0
    .args:
      - .address_space:  global
        .offset:         0
        .size:           8
        .value_kind:     global_buffer
      - .offset:         8
        .size:           16
        .value_kind:     by_value
      - .address_space:  global
        .offset:         24
        .size:           8
        .value_kind:     global_buffer
      - .offset:         32
        .size:           8
        .value_kind:     by_value
      - .offset:         40
        .size:           1
        .value_kind:     by_value
      - .offset:         41
        .size:           1
        .value_kind:     by_value
      - .offset:         48
        .size:           24
        .value_kind:     by_value
      - .offset:         72
        .size:           8
        .value_kind:     by_value
      - .offset:         80
        .size:           8
        .value_kind:     by_value
      - .offset:         88
        .size:           8
        .value_kind:     by_value
      - .address_space:  global
        .offset:         96
        .size:           8
        .value_kind:     global_buffer
    .group_segment_fixed_size: 43008
    .kernarg_segment_align: 8
    .kernarg_segment_size: 104
    .language:       OpenCL C
    .language_version:
      - 2
      - 0
    .max_flat_workgroup_size: 256
    .name:           _ZN7rocprim6detail25device_scan_by_key_kernelILNS0_25lookback_scan_determinismE0ELb1ENS0_26wrapped_scan_by_key_configINS_14default_configEiyEEPiN6hipcub22TransformInputIteratorIyNS7_6CastOpIyEEPylEESB_yNS7_8EqualityENS7_3SumENS0_19lookback_scan_stateINS_5tupleIJybEEELb0ELb0EEEyEEvT2_T3_T4_T5_T6_T7_T8_mmmPKNSG_IJT9_bEEE
    .private_segment_fixed_size: 0
    .sgpr_count:     80
    .sgpr_spill_count: 0
    .symbol:         _ZN7rocprim6detail25device_scan_by_key_kernelILNS0_25lookback_scan_determinismE0ELb1ENS0_26wrapped_scan_by_key_configINS_14default_configEiyEEPiN6hipcub22TransformInputIteratorIyNS7_6CastOpIyEEPylEESB_yNS7_8EqualityENS7_3SumENS0_19lookback_scan_stateINS_5tupleIJybEEELb0ELb0EEEyEEvT2_T3_T4_T5_T6_T7_T8_mmmPKNSG_IJT9_bEEE.kd
    .uniform_work_group_size: 1
    .uses_dynamic_stack: false
    .vgpr_count:     126
    .vgpr_spill_count: 0
    .wavefront_size: 64
  - .agpr_count:     0
    .args:
      - .address_space:  global
        .offset:         0
        .size:           8
        .value_kind:     global_buffer
      - .offset:         8
        .size:           16
        .value_kind:     by_value
      - .address_space:  global
        .offset:         24
        .size:           8
        .value_kind:     global_buffer
      - .offset:         32
        .size:           8
        .value_kind:     by_value
      - .offset:         40
        .size:           1
        .value_kind:     by_value
      - .offset:         41
        .size:           1
        .value_kind:     by_value
      - .offset:         48
        .size:           24
        .value_kind:     by_value
      - .offset:         72
        .size:           8
        .value_kind:     by_value
      - .offset:         80
        .size:           8
        .value_kind:     by_value
      - .offset:         88
        .size:           8
        .value_kind:     by_value
      - .address_space:  global
        .offset:         96
        .size:           8
        .value_kind:     global_buffer
    .group_segment_fixed_size: 0
    .kernarg_segment_align: 8
    .kernarg_segment_size: 104
    .language:       OpenCL C
    .language_version:
      - 2
      - 0
    .max_flat_workgroup_size: 256
    .name:           _ZN7rocprim6detail25device_scan_by_key_kernelILNS0_25lookback_scan_determinismE0ELb1ENS0_26wrapped_scan_by_key_configINS_14default_configEiyEEPiN6hipcub22TransformInputIteratorIyNS7_6CastOpIyEEPylEESB_yNS7_8EqualityENS7_3MinENS0_19lookback_scan_stateINS_5tupleIJybEEELb1ELb0EEEyEEvT2_T3_T4_T5_T6_T7_T8_mmmPKNSG_IJT9_bEEE
    .private_segment_fixed_size: 0
    .sgpr_count:     6
    .sgpr_spill_count: 0
    .symbol:         _ZN7rocprim6detail25device_scan_by_key_kernelILNS0_25lookback_scan_determinismE0ELb1ENS0_26wrapped_scan_by_key_configINS_14default_configEiyEEPiN6hipcub22TransformInputIteratorIyNS7_6CastOpIyEEPylEESB_yNS7_8EqualityENS7_3MinENS0_19lookback_scan_stateINS_5tupleIJybEEELb1ELb0EEEyEEvT2_T3_T4_T5_T6_T7_T8_mmmPKNSG_IJT9_bEEE.kd
    .uniform_work_group_size: 1
    .uses_dynamic_stack: false
    .vgpr_count:     0
    .vgpr_spill_count: 0
    .wavefront_size: 64
  - .agpr_count:     0
    .args:
      - .address_space:  global
        .offset:         0
        .size:           8
        .value_kind:     global_buffer
      - .offset:         8
        .size:           16
        .value_kind:     by_value
      - .address_space:  global
        .offset:         24
        .size:           8
        .value_kind:     global_buffer
      - .offset:         32
        .size:           8
        .value_kind:     by_value
      - .offset:         40
        .size:           1
        .value_kind:     by_value
      - .offset:         41
        .size:           1
        .value_kind:     by_value
      - .offset:         48
        .size:           24
        .value_kind:     by_value
      - .offset:         72
        .size:           8
        .value_kind:     by_value
      - .offset:         80
        .size:           8
        .value_kind:     by_value
      - .offset:         88
        .size:           8
        .value_kind:     by_value
      - .address_space:  global
        .offset:         96
        .size:           8
        .value_kind:     global_buffer
    .group_segment_fixed_size: 43008
    .kernarg_segment_align: 8
    .kernarg_segment_size: 104
    .language:       OpenCL C
    .language_version:
      - 2
      - 0
    .max_flat_workgroup_size: 256
    .name:           _ZN7rocprim6detail25device_scan_by_key_kernelILNS0_25lookback_scan_determinismE0ELb1ENS0_26wrapped_scan_by_key_configINS_14default_configEiyEEPiN6hipcub22TransformInputIteratorIyNS7_6CastOpIyEEPylEESB_yNS7_8EqualityENS7_3MinENS0_19lookback_scan_stateINS_5tupleIJybEEELb0ELb0EEEyEEvT2_T3_T4_T5_T6_T7_T8_mmmPKNSG_IJT9_bEEE
    .private_segment_fixed_size: 0
    .sgpr_count:     80
    .sgpr_spill_count: 0
    .symbol:         _ZN7rocprim6detail25device_scan_by_key_kernelILNS0_25lookback_scan_determinismE0ELb1ENS0_26wrapped_scan_by_key_configINS_14default_configEiyEEPiN6hipcub22TransformInputIteratorIyNS7_6CastOpIyEEPylEESB_yNS7_8EqualityENS7_3MinENS0_19lookback_scan_stateINS_5tupleIJybEEELb0ELb0EEEyEEvT2_T3_T4_T5_T6_T7_T8_mmmPKNSG_IJT9_bEEE.kd
    .uniform_work_group_size: 1
    .uses_dynamic_stack: false
    .vgpr_count:     128
    .vgpr_spill_count: 0
    .wavefront_size: 64
  - .agpr_count:     0
    .args:
      - .address_space:  global
        .offset:         0
        .size:           8
        .value_kind:     global_buffer
      - .offset:         8
        .size:           4
        .value_kind:     by_value
      - .offset:         12
        .size:           4
        .value_kind:     by_value
      - .address_space:  global
        .offset:         16
        .size:           8
        .value_kind:     global_buffer
      - .offset:         24
        .size:           4
        .value_kind:     hidden_block_count_x
      - .offset:         28
        .size:           4
        .value_kind:     hidden_block_count_y
      - .offset:         32
        .size:           4
        .value_kind:     hidden_block_count_z
      - .offset:         36
        .size:           2
        .value_kind:     hidden_group_size_x
      - .offset:         38
        .size:           2
        .value_kind:     hidden_group_size_y
      - .offset:         40
        .size:           2
        .value_kind:     hidden_group_size_z
      - .offset:         42
        .size:           2
        .value_kind:     hidden_remainder_x
      - .offset:         44
        .size:           2
        .value_kind:     hidden_remainder_y
      - .offset:         46
        .size:           2
        .value_kind:     hidden_remainder_z
      - .offset:         64
        .size:           8
        .value_kind:     hidden_global_offset_x
      - .offset:         72
        .size:           8
        .value_kind:     hidden_global_offset_y
      - .offset:         80
        .size:           8
        .value_kind:     hidden_global_offset_z
      - .offset:         88
        .size:           2
        .value_kind:     hidden_grid_dims
    .group_segment_fixed_size: 0
    .kernarg_segment_align: 8
    .kernarg_segment_size: 280
    .language:       OpenCL C
    .language_version:
      - 2
      - 0
    .max_flat_workgroup_size: 256
    .name:           _ZN7rocprim6detail31init_lookback_scan_state_kernelINS0_19lookback_scan_stateIjLb1ELb1EEEEEvT_jjPNS4_10value_typeE
    .private_segment_fixed_size: 0
    .sgpr_count:     18
    .sgpr_spill_count: 0
    .symbol:         _ZN7rocprim6detail31init_lookback_scan_state_kernelINS0_19lookback_scan_stateIjLb1ELb1EEEEEvT_jjPNS4_10value_typeE.kd
    .uniform_work_group_size: 1
    .uses_dynamic_stack: false
    .vgpr_count:     6
    .vgpr_spill_count: 0
    .wavefront_size: 64
  - .agpr_count:     0
    .args:
      - .address_space:  global
        .offset:         0
        .size:           8
        .value_kind:     global_buffer
      - .offset:         8
        .size:           4
        .value_kind:     by_value
      - .offset:         12
        .size:           4
        .value_kind:     by_value
      - .address_space:  global
        .offset:         16
        .size:           8
        .value_kind:     global_buffer
      - .offset:         24
        .size:           4
        .value_kind:     hidden_block_count_x
      - .offset:         28
        .size:           4
        .value_kind:     hidden_block_count_y
      - .offset:         32
        .size:           4
        .value_kind:     hidden_block_count_z
      - .offset:         36
        .size:           2
        .value_kind:     hidden_group_size_x
      - .offset:         38
        .size:           2
        .value_kind:     hidden_group_size_y
      - .offset:         40
        .size:           2
        .value_kind:     hidden_group_size_z
      - .offset:         42
        .size:           2
        .value_kind:     hidden_remainder_x
      - .offset:         44
        .size:           2
        .value_kind:     hidden_remainder_y
      - .offset:         46
        .size:           2
        .value_kind:     hidden_remainder_z
      - .offset:         64
        .size:           8
        .value_kind:     hidden_global_offset_x
      - .offset:         72
        .size:           8
        .value_kind:     hidden_global_offset_y
      - .offset:         80
        .size:           8
        .value_kind:     hidden_global_offset_z
      - .offset:         88
        .size:           2
        .value_kind:     hidden_grid_dims
    .group_segment_fixed_size: 0
    .kernarg_segment_align: 8
    .kernarg_segment_size: 280
    .language:       OpenCL C
    .language_version:
      - 2
      - 0
    .max_flat_workgroup_size: 256
    .name:           _ZN7rocprim6detail31init_lookback_scan_state_kernelINS0_19lookback_scan_stateIjLb0ELb1EEEEEvT_jjPNS4_10value_typeE
    .private_segment_fixed_size: 0
    .sgpr_count:     16
    .sgpr_spill_count: 0
    .symbol:         _ZN7rocprim6detail31init_lookback_scan_state_kernelINS0_19lookback_scan_stateIjLb0ELb1EEEEEvT_jjPNS4_10value_typeE.kd
    .uniform_work_group_size: 1
    .uses_dynamic_stack: false
    .vgpr_count:     6
    .vgpr_spill_count: 0
    .wavefront_size: 64
  - .agpr_count:     0
    .args:
      - .offset:         0
        .size:           4
        .value_kind:     by_value
      - .offset:         8
        .size:           24
        .value_kind:     by_value
      - .offset:         32
        .size:           8
        .value_kind:     by_value
      - .offset:         40
        .size:           4
        .value_kind:     by_value
      - .offset:         44
        .size:           1
        .value_kind:     by_value
      - .address_space:  global
        .offset:         48
        .size:           8
        .value_kind:     global_buffer
      - .offset:         56
        .size:           4
        .value_kind:     by_value
      - .address_space:  global
        .offset:         64
        .size:           8
        .value_kind:     global_buffer
      - .address_space:  global
        .offset:         72
        .size:           8
        .value_kind:     global_buffer
      - .offset:         80
        .size:           1
        .value_kind:     by_value
      - .offset:         81
        .size:           1
        .value_kind:     by_value
    .group_segment_fixed_size: 0
    .kernarg_segment_align: 8
    .kernarg_segment_size: 84
    .language:       OpenCL C
    .language_version:
      - 2
      - 0
    .max_flat_workgroup_size: 256
    .name:           _ZN7rocprim6detail20lookback_scan_kernelILNS0_25lookback_scan_determinismE0ELb0ENS0_19wrapped_scan_configINS_14default_configEjEEN6hipcub21CountingInputIteratorIjlEEN10test_utils21single_index_iteratorIjEENS6_3SumEjjNS0_19lookback_scan_stateIjLb1ELb1EEEEEvT2_T3_mT5_T4_T7_jPT6_SL_bb
    .private_segment_fixed_size: 0
    .sgpr_count:     6
    .sgpr_spill_count: 0
    .symbol:         _ZN7rocprim6detail20lookback_scan_kernelILNS0_25lookback_scan_determinismE0ELb0ENS0_19wrapped_scan_configINS_14default_configEjEEN6hipcub21CountingInputIteratorIjlEEN10test_utils21single_index_iteratorIjEENS6_3SumEjjNS0_19lookback_scan_stateIjLb1ELb1EEEEEvT2_T3_mT5_T4_T7_jPT6_SL_bb.kd
    .uniform_work_group_size: 1
    .uses_dynamic_stack: false
    .vgpr_count:     0
    .vgpr_spill_count: 0
    .wavefront_size: 64
  - .agpr_count:     0
    .args:
      - .offset:         0
        .size:           4
        .value_kind:     by_value
      - .offset:         8
        .size:           24
        .value_kind:     by_value
      - .offset:         32
        .size:           8
        .value_kind:     by_value
      - .offset:         40
        .size:           4
        .value_kind:     by_value
      - .offset:         44
        .size:           1
        .value_kind:     by_value
      - .address_space:  global
        .offset:         48
        .size:           8
        .value_kind:     global_buffer
      - .offset:         56
        .size:           4
        .value_kind:     by_value
      - .address_space:  global
        .offset:         64
        .size:           8
        .value_kind:     global_buffer
      - .address_space:  global
        .offset:         72
        .size:           8
        .value_kind:     global_buffer
      - .offset:         80
        .size:           1
        .value_kind:     by_value
      - .offset:         81
        .size:           1
        .value_kind:     by_value
    .group_segment_fixed_size: 21504
    .kernarg_segment_align: 8
    .kernarg_segment_size: 84
    .language:       OpenCL C
    .language_version:
      - 2
      - 0
    .max_flat_workgroup_size: 256
    .name:           _ZN7rocprim6detail20lookback_scan_kernelILNS0_25lookback_scan_determinismE0ELb0ENS0_19wrapped_scan_configINS_14default_configEjEEN6hipcub21CountingInputIteratorIjlEEN10test_utils21single_index_iteratorIjEENS6_3SumEjjNS0_19lookback_scan_stateIjLb0ELb1EEEEEvT2_T3_mT5_T4_T7_jPT6_SL_bb
    .private_segment_fixed_size: 0
    .sgpr_count:     63
    .sgpr_spill_count: 0
    .symbol:         _ZN7rocprim6detail20lookback_scan_kernelILNS0_25lookback_scan_determinismE0ELb0ENS0_19wrapped_scan_configINS_14default_configEjEEN6hipcub21CountingInputIteratorIjlEEN10test_utils21single_index_iteratorIjEENS6_3SumEjjNS0_19lookback_scan_stateIjLb0ELb1EEEEEvT2_T3_mT5_T4_T7_jPT6_SL_bb.kd
    .uniform_work_group_size: 1
    .uses_dynamic_stack: false
    .vgpr_count:     52
    .vgpr_spill_count: 0
    .wavefront_size: 64
  - .agpr_count:     0
    .args:
      - .address_space:  global
        .offset:         0
        .size:           8
        .value_kind:     global_buffer
      - .offset:         8
        .size:           8
        .value_kind:     by_value
      - .address_space:  global
        .offset:         16
        .size:           8
        .value_kind:     global_buffer
      - .offset:         24
        .size:           1
        .value_kind:     by_value
      - .offset:         32
        .size:           4
        .value_kind:     hidden_block_count_x
      - .offset:         36
        .size:           4
        .value_kind:     hidden_block_count_y
      - .offset:         40
        .size:           4
        .value_kind:     hidden_block_count_z
      - .offset:         44
        .size:           2
        .value_kind:     hidden_group_size_x
      - .offset:         46
        .size:           2
        .value_kind:     hidden_group_size_y
      - .offset:         48
        .size:           2
        .value_kind:     hidden_group_size_z
      - .offset:         50
        .size:           2
        .value_kind:     hidden_remainder_x
      - .offset:         52
        .size:           2
        .value_kind:     hidden_remainder_y
      - .offset:         54
        .size:           2
        .value_kind:     hidden_remainder_z
      - .offset:         72
        .size:           8
        .value_kind:     hidden_global_offset_x
      - .offset:         80
        .size:           8
        .value_kind:     hidden_global_offset_y
      - .offset:         88
        .size:           8
        .value_kind:     hidden_global_offset_z
      - .offset:         96
        .size:           2
        .value_kind:     hidden_grid_dims
    .group_segment_fixed_size: 0
    .kernarg_segment_align: 8
    .kernarg_segment_size: 288
    .language:       OpenCL C
    .language_version:
      - 2
      - 0
    .max_flat_workgroup_size: 256
    .name:           _ZN7rocprim6detail16transform_kernelINS0_24wrapped_transform_configINS_14default_configEjEEjPjS5_NS_8identityIjEEEEvT1_mT2_T3_
    .private_segment_fixed_size: 0
    .sgpr_count:     20
    .sgpr_spill_count: 0
    .symbol:         _ZN7rocprim6detail16transform_kernelINS0_24wrapped_transform_configINS_14default_configEjEEjPjS5_NS_8identityIjEEEEvT1_mT2_T3_.kd
    .uniform_work_group_size: 1
    .uses_dynamic_stack: false
    .vgpr_count:     10
    .vgpr_spill_count: 0
    .wavefront_size: 64
  - .agpr_count:     0
    .args:
      - .offset:         0
        .size:           4
        .value_kind:     by_value
      - .offset:         8
        .size:           8
        .value_kind:     by_value
      - .offset:         16
        .size:           4
        .value_kind:     by_value
      - .offset:         24
        .size:           24
        .value_kind:     by_value
      - .offset:         48
        .size:           1
        .value_kind:     by_value
    .group_segment_fixed_size: 21504
    .kernarg_segment_align: 8
    .kernarg_segment_size: 52
    .language:       OpenCL C
    .language_version:
      - 2
      - 0
    .max_flat_workgroup_size: 256
    .name:           _ZN7rocprim6detail18single_scan_kernelILb0ENS0_19wrapped_scan_configINS_14default_configEjEEN6hipcub21CountingInputIteratorIjlEEN10test_utils21single_index_iteratorIjEENS5_3SumEjjEEvT1_mT4_T2_T3_
    .private_segment_fixed_size: 0
    .sgpr_count:     58
    .sgpr_spill_count: 0
    .symbol:         _ZN7rocprim6detail18single_scan_kernelILb0ENS0_19wrapped_scan_configINS_14default_configEjEEN6hipcub21CountingInputIteratorIjlEEN10test_utils21single_index_iteratorIjEENS5_3SumEjjEEvT1_mT4_T2_T3_.kd
    .uniform_work_group_size: 1
    .uses_dynamic_stack: false
    .vgpr_count:     30
    .vgpr_spill_count: 0
    .wavefront_size: 64
  - .agpr_count:     0
    .args:
      - .offset:         0
        .size:           4
        .value_kind:     by_value
      - .offset:         8
        .size:           24
        .value_kind:     by_value
      - .offset:         32
        .size:           8
        .value_kind:     by_value
      - .offset:         40
        .size:           4
        .value_kind:     by_value
      - .offset:         44
        .size:           1
        .value_kind:     by_value
      - .address_space:  global
        .offset:         48
        .size:           8
        .value_kind:     global_buffer
      - .offset:         56
        .size:           4
        .value_kind:     by_value
      - .address_space:  global
        .offset:         64
        .size:           8
        .value_kind:     global_buffer
      - .address_space:  global
        .offset:         72
        .size:           8
        .value_kind:     global_buffer
      - .offset:         80
        .size:           1
        .value_kind:     by_value
      - .offset:         81
        .size:           1
        .value_kind:     by_value
    .group_segment_fixed_size: 0
    .kernarg_segment_align: 8
    .kernarg_segment_size: 84
    .language:       OpenCL C
    .language_version:
      - 2
      - 0
    .max_flat_workgroup_size: 256
    .name:           _ZN7rocprim6detail20lookback_scan_kernelILNS0_25lookback_scan_determinismE0ELb1ENS0_19wrapped_scan_configINS_14default_configEjEEN6hipcub21CountingInputIteratorIjlEEN10test_utils21single_index_iteratorIjEENS6_3SumEjjNS0_19lookback_scan_stateIjLb1ELb1EEEEEvT2_T3_mT5_T4_T7_jPT6_SL_bb
    .private_segment_fixed_size: 0
    .sgpr_count:     6
    .sgpr_spill_count: 0
    .symbol:         _ZN7rocprim6detail20lookback_scan_kernelILNS0_25lookback_scan_determinismE0ELb1ENS0_19wrapped_scan_configINS_14default_configEjEEN6hipcub21CountingInputIteratorIjlEEN10test_utils21single_index_iteratorIjEENS6_3SumEjjNS0_19lookback_scan_stateIjLb1ELb1EEEEEvT2_T3_mT5_T4_T7_jPT6_SL_bb.kd
    .uniform_work_group_size: 1
    .uses_dynamic_stack: false
    .vgpr_count:     0
    .vgpr_spill_count: 0
    .wavefront_size: 64
  - .agpr_count:     0
    .args:
      - .offset:         0
        .size:           4
        .value_kind:     by_value
      - .offset:         8
        .size:           24
        .value_kind:     by_value
      - .offset:         32
        .size:           8
        .value_kind:     by_value
      - .offset:         40
        .size:           4
        .value_kind:     by_value
      - .offset:         44
        .size:           1
        .value_kind:     by_value
      - .address_space:  global
        .offset:         48
        .size:           8
        .value_kind:     global_buffer
      - .offset:         56
        .size:           4
        .value_kind:     by_value
      - .address_space:  global
        .offset:         64
        .size:           8
        .value_kind:     global_buffer
      - .address_space:  global
        .offset:         72
        .size:           8
        .value_kind:     global_buffer
      - .offset:         80
        .size:           1
        .value_kind:     by_value
      - .offset:         81
        .size:           1
        .value_kind:     by_value
    .group_segment_fixed_size: 21504
    .kernarg_segment_align: 8
    .kernarg_segment_size: 84
    .language:       OpenCL C
    .language_version:
      - 2
      - 0
    .max_flat_workgroup_size: 256
    .name:           _ZN7rocprim6detail20lookback_scan_kernelILNS0_25lookback_scan_determinismE0ELb1ENS0_19wrapped_scan_configINS_14default_configEjEEN6hipcub21CountingInputIteratorIjlEEN10test_utils21single_index_iteratorIjEENS6_3SumEjjNS0_19lookback_scan_stateIjLb0ELb1EEEEEvT2_T3_mT5_T4_T7_jPT6_SL_bb
    .private_segment_fixed_size: 0
    .sgpr_count:     63
    .sgpr_spill_count: 0
    .symbol:         _ZN7rocprim6detail20lookback_scan_kernelILNS0_25lookback_scan_determinismE0ELb1ENS0_19wrapped_scan_configINS_14default_configEjEEN6hipcub21CountingInputIteratorIjlEEN10test_utils21single_index_iteratorIjEENS6_3SumEjjNS0_19lookback_scan_stateIjLb0ELb1EEEEEvT2_T3_mT5_T4_T7_jPT6_SL_bb.kd
    .uniform_work_group_size: 1
    .uses_dynamic_stack: false
    .vgpr_count:     53
    .vgpr_spill_count: 0
    .wavefront_size: 64
  - .agpr_count:     0
    .args:
      - .offset:         0
        .size:           4
        .value_kind:     by_value
      - .offset:         8
        .size:           8
        .value_kind:     by_value
      - .offset:         16
        .size:           4
        .value_kind:     by_value
      - .offset:         24
        .size:           24
        .value_kind:     by_value
      - .offset:         48
        .size:           1
        .value_kind:     by_value
    .group_segment_fixed_size: 21504
    .kernarg_segment_align: 8
    .kernarg_segment_size: 52
    .language:       OpenCL C
    .language_version:
      - 2
      - 0
    .max_flat_workgroup_size: 256
    .name:           _ZN7rocprim6detail18single_scan_kernelILb1ENS0_19wrapped_scan_configINS_14default_configEjEEN6hipcub21CountingInputIteratorIjlEEN10test_utils21single_index_iteratorIjEENS5_3SumEjjEEvT1_mT4_T2_T3_
    .private_segment_fixed_size: 0
    .sgpr_count:     60
    .sgpr_spill_count: 0
    .symbol:         _ZN7rocprim6detail18single_scan_kernelILb1ENS0_19wrapped_scan_configINS_14default_configEjEEN6hipcub21CountingInputIteratorIjlEEN10test_utils21single_index_iteratorIjEENS5_3SumEjjEEvT1_mT4_T2_T3_.kd
    .uniform_work_group_size: 1
    .uses_dynamic_stack: false
    .vgpr_count:     29
    .vgpr_spill_count: 0
    .wavefront_size: 64
  - .agpr_count:     0
    .args:
      - .address_space:  global
        .offset:         0
        .size:           8
        .value_kind:     global_buffer
      - .offset:         8
        .size:           4
        .value_kind:     by_value
      - .offset:         12
        .size:           4
        .value_kind:     by_value
      - .address_space:  global
        .offset:         16
        .size:           8
        .value_kind:     global_buffer
      - .offset:         24
        .size:           4
        .value_kind:     hidden_block_count_x
      - .offset:         28
        .size:           4
        .value_kind:     hidden_block_count_y
      - .offset:         32
        .size:           4
        .value_kind:     hidden_block_count_z
      - .offset:         36
        .size:           2
        .value_kind:     hidden_group_size_x
      - .offset:         38
        .size:           2
        .value_kind:     hidden_group_size_y
      - .offset:         40
        .size:           2
        .value_kind:     hidden_group_size_z
      - .offset:         42
        .size:           2
        .value_kind:     hidden_remainder_x
      - .offset:         44
        .size:           2
        .value_kind:     hidden_remainder_y
      - .offset:         46
        .size:           2
        .value_kind:     hidden_remainder_z
      - .offset:         64
        .size:           8
        .value_kind:     hidden_global_offset_x
      - .offset:         72
        .size:           8
        .value_kind:     hidden_global_offset_y
      - .offset:         80
        .size:           8
        .value_kind:     hidden_global_offset_z
      - .offset:         88
        .size:           2
        .value_kind:     hidden_grid_dims
    .group_segment_fixed_size: 0
    .kernarg_segment_align: 8
    .kernarg_segment_size: 280
    .language:       OpenCL C
    .language_version:
      - 2
      - 0
    .max_flat_workgroup_size: 256
    .name:           _ZN7rocprim6detail31init_lookback_scan_state_kernelINS0_19lookback_scan_stateIlLb1ELb1EEEEEvT_jjPNS4_10value_typeE
    .private_segment_fixed_size: 0
    .sgpr_count:     20
    .sgpr_spill_count: 0
    .symbol:         _ZN7rocprim6detail31init_lookback_scan_state_kernelINS0_19lookback_scan_stateIlLb1ELb1EEEEEvT_jjPNS4_10value_typeE.kd
    .uniform_work_group_size: 1
    .uses_dynamic_stack: false
    .vgpr_count:     10
    .vgpr_spill_count: 0
    .wavefront_size: 64
  - .agpr_count:     0
    .args:
      - .address_space:  global
        .offset:         0
        .size:           8
        .value_kind:     global_buffer
      - .offset:         8
        .size:           4
        .value_kind:     by_value
      - .offset:         12
        .size:           4
        .value_kind:     by_value
      - .address_space:  global
        .offset:         16
        .size:           8
        .value_kind:     global_buffer
      - .offset:         24
        .size:           4
        .value_kind:     hidden_block_count_x
      - .offset:         28
        .size:           4
        .value_kind:     hidden_block_count_y
      - .offset:         32
        .size:           4
        .value_kind:     hidden_block_count_z
      - .offset:         36
        .size:           2
        .value_kind:     hidden_group_size_x
      - .offset:         38
        .size:           2
        .value_kind:     hidden_group_size_y
      - .offset:         40
        .size:           2
        .value_kind:     hidden_group_size_z
      - .offset:         42
        .size:           2
        .value_kind:     hidden_remainder_x
      - .offset:         44
        .size:           2
        .value_kind:     hidden_remainder_y
      - .offset:         46
        .size:           2
        .value_kind:     hidden_remainder_z
      - .offset:         64
        .size:           8
        .value_kind:     hidden_global_offset_x
      - .offset:         72
        .size:           8
        .value_kind:     hidden_global_offset_y
      - .offset:         80
        .size:           8
        .value_kind:     hidden_global_offset_z
      - .offset:         88
        .size:           2
        .value_kind:     hidden_grid_dims
    .group_segment_fixed_size: 0
    .kernarg_segment_align: 8
    .kernarg_segment_size: 280
    .language:       OpenCL C
    .language_version:
      - 2
      - 0
    .max_flat_workgroup_size: 256
    .name:           _ZN7rocprim6detail31init_lookback_scan_state_kernelINS0_19lookback_scan_stateIlLb0ELb1EEEEEvT_jjPNS4_10value_typeE
    .private_segment_fixed_size: 0
    .sgpr_count:     20
    .sgpr_spill_count: 0
    .symbol:         _ZN7rocprim6detail31init_lookback_scan_state_kernelINS0_19lookback_scan_stateIlLb0ELb1EEEEEvT_jjPNS4_10value_typeE.kd
    .uniform_work_group_size: 1
    .uses_dynamic_stack: false
    .vgpr_count:     10
    .vgpr_spill_count: 0
    .wavefront_size: 64
  - .agpr_count:     0
    .args:
      - .offset:         0
        .size:           16
        .value_kind:     by_value
      - .address_space:  global
        .offset:         16
        .size:           8
        .value_kind:     global_buffer
      - .offset:         24
        .size:           8
        .value_kind:     by_value
      - .address_space:  global
        .offset:         32
        .size:           8
        .value_kind:     global_buffer
      - .offset:         40
        .size:           1
        .value_kind:     by_value
      - .address_space:  global
        .offset:         48
        .size:           8
        .value_kind:     global_buffer
      - .offset:         56
        .size:           4
        .value_kind:     by_value
      - .address_space:  global
        .offset:         64
        .size:           8
        .value_kind:     global_buffer
      - .address_space:  global
        .offset:         72
        .size:           8
        .value_kind:     global_buffer
      - .offset:         80
        .size:           1
        .value_kind:     by_value
      - .offset:         81
        .size:           1
        .value_kind:     by_value
    .group_segment_fixed_size: 0
    .kernarg_segment_align: 8
    .kernarg_segment_size: 84
    .language:       OpenCL C
    .language_version:
      - 2
      - 0
    .max_flat_workgroup_size: 256
    .name:           _ZN7rocprim6detail20lookback_scan_kernelILNS0_25lookback_scan_determinismE0ELb1ENS0_19wrapped_scan_configINS_14default_configElEEN6hipcub22TransformInputIteratorIiNS6_6CastOpIiEEPilEEPlNS6_3SumENS_12future_valueIlSC_EElNS0_19lookback_scan_stateIlLb1ELb1EEEEEvT2_T3_mT5_T4_T7_jPT6_SO_bb
    .private_segment_fixed_size: 0
    .sgpr_count:     6
    .sgpr_spill_count: 0
    .symbol:         _ZN7rocprim6detail20lookback_scan_kernelILNS0_25lookback_scan_determinismE0ELb1ENS0_19wrapped_scan_configINS_14default_configElEEN6hipcub22TransformInputIteratorIiNS6_6CastOpIiEEPilEEPlNS6_3SumENS_12future_valueIlSC_EElNS0_19lookback_scan_stateIlLb1ELb1EEEEEvT2_T3_mT5_T4_T7_jPT6_SO_bb.kd
    .uniform_work_group_size: 1
    .uses_dynamic_stack: false
    .vgpr_count:     0
    .vgpr_spill_count: 0
    .wavefront_size: 64
  - .agpr_count:     0
    .args:
      - .offset:         0
        .size:           16
        .value_kind:     by_value
      - .address_space:  global
        .offset:         16
        .size:           8
        .value_kind:     global_buffer
      - .offset:         24
        .size:           8
        .value_kind:     by_value
      - .address_space:  global
        .offset:         32
        .size:           8
        .value_kind:     global_buffer
      - .offset:         40
        .size:           1
        .value_kind:     by_value
      - .address_space:  global
        .offset:         48
        .size:           8
        .value_kind:     global_buffer
      - .offset:         56
        .size:           4
        .value_kind:     by_value
      - .address_space:  global
        .offset:         64
        .size:           8
        .value_kind:     global_buffer
      - .address_space:  global
        .offset:         72
        .size:           8
        .value_kind:     global_buffer
      - .offset:         80
        .size:           1
        .value_kind:     by_value
      - .offset:         81
        .size:           1
        .value_kind:     by_value
    .group_segment_fixed_size: 30720
    .kernarg_segment_align: 8
    .kernarg_segment_size: 84
    .language:       OpenCL C
    .language_version:
      - 2
      - 0
    .max_flat_workgroup_size: 256
    .name:           _ZN7rocprim6detail20lookback_scan_kernelILNS0_25lookback_scan_determinismE0ELb1ENS0_19wrapped_scan_configINS_14default_configElEEN6hipcub22TransformInputIteratorIiNS6_6CastOpIiEEPilEEPlNS6_3SumENS_12future_valueIlSC_EElNS0_19lookback_scan_stateIlLb0ELb1EEEEEvT2_T3_mT5_T4_T7_jPT6_SO_bb
    .private_segment_fixed_size: 0
    .sgpr_count:     74
    .sgpr_spill_count: 0
    .symbol:         _ZN7rocprim6detail20lookback_scan_kernelILNS0_25lookback_scan_determinismE0ELb1ENS0_19wrapped_scan_configINS_14default_configElEEN6hipcub22TransformInputIteratorIiNS6_6CastOpIiEEPilEEPlNS6_3SumENS_12future_valueIlSC_EElNS0_19lookback_scan_stateIlLb0ELb1EEEEEvT2_T3_mT5_T4_T7_jPT6_SO_bb.kd
    .uniform_work_group_size: 1
    .uses_dynamic_stack: false
    .vgpr_count:     72
    .vgpr_spill_count: 0
    .wavefront_size: 64
  - .agpr_count:     0
    .args:
      - .address_space:  global
        .offset:         0
        .size:           8
        .value_kind:     global_buffer
      - .offset:         8
        .size:           8
        .value_kind:     by_value
      - .address_space:  global
        .offset:         16
        .size:           8
        .value_kind:     global_buffer
      - .offset:         24
        .size:           1
        .value_kind:     by_value
      - .offset:         32
        .size:           4
        .value_kind:     hidden_block_count_x
      - .offset:         36
        .size:           4
        .value_kind:     hidden_block_count_y
      - .offset:         40
        .size:           4
        .value_kind:     hidden_block_count_z
      - .offset:         44
        .size:           2
        .value_kind:     hidden_group_size_x
      - .offset:         46
        .size:           2
        .value_kind:     hidden_group_size_y
      - .offset:         48
        .size:           2
        .value_kind:     hidden_group_size_z
      - .offset:         50
        .size:           2
        .value_kind:     hidden_remainder_x
      - .offset:         52
        .size:           2
        .value_kind:     hidden_remainder_y
      - .offset:         54
        .size:           2
        .value_kind:     hidden_remainder_z
      - .offset:         72
        .size:           8
        .value_kind:     hidden_global_offset_x
      - .offset:         80
        .size:           8
        .value_kind:     hidden_global_offset_y
      - .offset:         88
        .size:           8
        .value_kind:     hidden_global_offset_z
      - .offset:         96
        .size:           2
        .value_kind:     hidden_grid_dims
    .group_segment_fixed_size: 0
    .kernarg_segment_align: 8
    .kernarg_segment_size: 288
    .language:       OpenCL C
    .language_version:
      - 2
      - 0
    .max_flat_workgroup_size: 256
    .name:           _ZN7rocprim6detail16transform_kernelINS0_24wrapped_transform_configINS_14default_configElEElPlS5_NS_8identityIlEEEEvT1_mT2_T3_
    .private_segment_fixed_size: 0
    .sgpr_count:     18
    .sgpr_spill_count: 0
    .symbol:         _ZN7rocprim6detail16transform_kernelINS0_24wrapped_transform_configINS_14default_configElEElPlS5_NS_8identityIlEEEEvT1_mT2_T3_.kd
    .uniform_work_group_size: 1
    .uses_dynamic_stack: false
    .vgpr_count:     10
    .vgpr_spill_count: 0
    .wavefront_size: 64
  - .agpr_count:     0
    .args:
      - .offset:         0
        .size:           16
        .value_kind:     by_value
      - .offset:         16
        .size:           8
        .value_kind:     by_value
      - .address_space:  global
        .offset:         24
        .size:           8
        .value_kind:     global_buffer
      - .address_space:  global
        .offset:         32
        .size:           8
        .value_kind:     global_buffer
      - .offset:         40
        .size:           1
        .value_kind:     by_value
    .group_segment_fixed_size: 30720
    .kernarg_segment_align: 8
    .kernarg_segment_size: 44
    .language:       OpenCL C
    .language_version:
      - 2
      - 0
    .max_flat_workgroup_size: 256
    .name:           _ZN7rocprim6detail18single_scan_kernelILb1ENS0_19wrapped_scan_configINS_14default_configElEEN6hipcub22TransformInputIteratorIiNS5_6CastOpIiEEPilEEPlNS5_3SumENS_12future_valueIlSB_EElEEvT1_mT4_T2_T3_
    .private_segment_fixed_size: 0
    .sgpr_count:     78
    .sgpr_spill_count: 0
    .symbol:         _ZN7rocprim6detail18single_scan_kernelILb1ENS0_19wrapped_scan_configINS_14default_configElEEN6hipcub22TransformInputIteratorIiNS5_6CastOpIiEEPilEEPlNS5_3SumENS_12future_valueIlSB_EElEEvT1_mT4_T2_T3_.kd
    .uniform_work_group_size: 1
    .uses_dynamic_stack: false
    .vgpr_count:     52
    .vgpr_spill_count: 0
    .wavefront_size: 64
  - .agpr_count:     0
    .args:
      - .address_space:  global
        .offset:         0
        .size:           8
        .value_kind:     global_buffer
      - .offset:         8
        .size:           8
        .value_kind:     by_value
    .group_segment_fixed_size: 0
    .kernarg_segment_align: 8
    .kernarg_segment_size: 16
    .language:       OpenCL C
    .language_version:
      - 2
      - 0
    .max_flat_workgroup_size: 1024
    .name:           _ZL18fill_initial_valueIlEvPT_S0_
    .private_segment_fixed_size: 0
    .sgpr_count:     10
    .sgpr_spill_count: 0
    .symbol:         _ZL18fill_initial_valueIlEvPT_S0_.kd
    .uniform_work_group_size: 1
    .uses_dynamic_stack: false
    .vgpr_count:     3
    .vgpr_spill_count: 0
    .wavefront_size: 64
  - .agpr_count:     0
    .args:
      - .offset:         0
        .size:           16
        .value_kind:     by_value
      - .address_space:  global
        .offset:         16
        .size:           8
        .value_kind:     global_buffer
      - .offset:         24
        .size:           8
        .value_kind:     by_value
      - .address_space:  global
        .offset:         32
        .size:           8
        .value_kind:     global_buffer
      - .offset:         40
        .size:           1
        .value_kind:     by_value
      - .address_space:  global
        .offset:         48
        .size:           8
        .value_kind:     global_buffer
      - .offset:         56
        .size:           4
        .value_kind:     by_value
      - .address_space:  global
        .offset:         64
        .size:           8
        .value_kind:     global_buffer
      - .address_space:  global
        .offset:         72
        .size:           8
        .value_kind:     global_buffer
      - .offset:         80
        .size:           1
        .value_kind:     by_value
      - .offset:         81
        .size:           1
        .value_kind:     by_value
    .group_segment_fixed_size: 0
    .kernarg_segment_align: 8
    .kernarg_segment_size: 84
    .language:       OpenCL C
    .language_version:
      - 2
      - 0
    .max_flat_workgroup_size: 256
    .name:           _ZN7rocprim6detail20lookback_scan_kernelILNS0_25lookback_scan_determinismE0ELb1ENS0_19wrapped_scan_configINS_14default_configE6__halfEEN6hipcub22TransformInputIteratorIS5_NS7_6CastOpIS5_EEPS5_lEESB_NS7_3MaxENS_12future_valueIS5_SB_EES5_NS0_19lookback_scan_stateIS5_Lb1ELb1EEEEEvT2_T3_mT5_T4_T7_jPT6_SO_bb
    .private_segment_fixed_size: 0
    .sgpr_count:     6
    .sgpr_spill_count: 0
    .symbol:         _ZN7rocprim6detail20lookback_scan_kernelILNS0_25lookback_scan_determinismE0ELb1ENS0_19wrapped_scan_configINS_14default_configE6__halfEEN6hipcub22TransformInputIteratorIS5_NS7_6CastOpIS5_EEPS5_lEESB_NS7_3MaxENS_12future_valueIS5_SB_EES5_NS0_19lookback_scan_stateIS5_Lb1ELb1EEEEEvT2_T3_mT5_T4_T7_jPT6_SO_bb.kd
    .uniform_work_group_size: 1
    .uses_dynamic_stack: false
    .vgpr_count:     0
    .vgpr_spill_count: 0
    .wavefront_size: 64
  - .agpr_count:     0
    .args:
      - .offset:         0
        .size:           16
        .value_kind:     by_value
      - .address_space:  global
        .offset:         16
        .size:           8
        .value_kind:     global_buffer
      - .offset:         24
        .size:           8
        .value_kind:     by_value
      - .address_space:  global
        .offset:         32
        .size:           8
        .value_kind:     global_buffer
      - .offset:         40
        .size:           1
        .value_kind:     by_value
      - .address_space:  global
        .offset:         48
        .size:           8
        .value_kind:     global_buffer
      - .offset:         56
        .size:           4
        .value_kind:     by_value
      - .address_space:  global
        .offset:         64
        .size:           8
        .value_kind:     global_buffer
      - .address_space:  global
        .offset:         72
        .size:           8
        .value_kind:     global_buffer
      - .offset:         80
        .size:           1
        .value_kind:     by_value
      - .offset:         81
        .size:           1
        .value_kind:     by_value
    .group_segment_fixed_size: 12288
    .kernarg_segment_align: 8
    .kernarg_segment_size: 84
    .language:       OpenCL C
    .language_version:
      - 2
      - 0
    .max_flat_workgroup_size: 256
    .name:           _ZN7rocprim6detail20lookback_scan_kernelILNS0_25lookback_scan_determinismE0ELb1ENS0_19wrapped_scan_configINS_14default_configE6__halfEEN6hipcub22TransformInputIteratorIS5_NS7_6CastOpIS5_EEPS5_lEESB_NS7_3MaxENS_12future_valueIS5_SB_EES5_NS0_19lookback_scan_stateIS5_Lb0ELb1EEEEEvT2_T3_mT5_T4_T7_jPT6_SO_bb
    .private_segment_fixed_size: 0
    .sgpr_count:     38
    .sgpr_spill_count: 0
    .symbol:         _ZN7rocprim6detail20lookback_scan_kernelILNS0_25lookback_scan_determinismE0ELb1ENS0_19wrapped_scan_configINS_14default_configE6__halfEEN6hipcub22TransformInputIteratorIS5_NS7_6CastOpIS5_EEPS5_lEESB_NS7_3MaxENS_12future_valueIS5_SB_EES5_NS0_19lookback_scan_stateIS5_Lb0ELb1EEEEEvT2_T3_mT5_T4_T7_jPT6_SO_bb.kd
    .uniform_work_group_size: 1
    .uses_dynamic_stack: false
    .vgpr_count:     60
    .vgpr_spill_count: 0
    .wavefront_size: 64
  - .agpr_count:     0
    .args:
      - .offset:         0
        .size:           16
        .value_kind:     by_value
      - .offset:         16
        .size:           8
        .value_kind:     by_value
      - .address_space:  global
        .offset:         24
        .size:           8
        .value_kind:     global_buffer
      - .address_space:  global
        .offset:         32
        .size:           8
        .value_kind:     global_buffer
      - .offset:         40
        .size:           1
        .value_kind:     by_value
    .group_segment_fixed_size: 12288
    .kernarg_segment_align: 8
    .kernarg_segment_size: 44
    .language:       OpenCL C
    .language_version:
      - 2
      - 0
    .max_flat_workgroup_size: 256
    .name:           _ZN7rocprim6detail18single_scan_kernelILb1ENS0_19wrapped_scan_configINS_14default_configE6__halfEEN6hipcub22TransformInputIteratorIS4_NS6_6CastOpIS4_EEPS4_lEESA_NS6_3MaxENS_12future_valueIS4_SA_EES4_EEvT1_mT4_T2_T3_
    .private_segment_fixed_size: 0
    .sgpr_count:     62
    .sgpr_spill_count: 0
    .symbol:         _ZN7rocprim6detail18single_scan_kernelILb1ENS0_19wrapped_scan_configINS_14default_configE6__halfEEN6hipcub22TransformInputIteratorIS4_NS6_6CastOpIS4_EEPS4_lEESA_NS6_3MaxENS_12future_valueIS4_SA_EES4_EEvT1_mT4_T2_T3_.kd
    .uniform_work_group_size: 1
    .uses_dynamic_stack: false
    .vgpr_count:     33
    .vgpr_spill_count: 0
    .wavefront_size: 64
  - .agpr_count:     0
    .args:
      - .address_space:  global
        .offset:         0
        .size:           8
        .value_kind:     global_buffer
      - .offset:         8
        .size:           2
        .value_kind:     by_value
    .group_segment_fixed_size: 0
    .kernarg_segment_align: 8
    .kernarg_segment_size: 12
    .language:       OpenCL C
    .language_version:
      - 2
      - 0
    .max_flat_workgroup_size: 1024
    .name:           _ZL18fill_initial_valueI6__halfEvPT_S1_
    .private_segment_fixed_size: 0
    .sgpr_count:     11
    .sgpr_spill_count: 0
    .symbol:         _ZL18fill_initial_valueI6__halfEvPT_S1_.kd
    .uniform_work_group_size: 1
    .uses_dynamic_stack: false
    .vgpr_count:     2
    .vgpr_spill_count: 0
    .wavefront_size: 64
  - .agpr_count:     0
    .args:
      - .offset:         0
        .size:           16
        .value_kind:     by_value
      - .address_space:  global
        .offset:         16
        .size:           8
        .value_kind:     global_buffer
      - .offset:         24
        .size:           8
        .value_kind:     by_value
      - .address_space:  global
        .offset:         32
        .size:           8
        .value_kind:     global_buffer
      - .offset:         40
        .size:           1
        .value_kind:     by_value
      - .address_space:  global
        .offset:         48
        .size:           8
        .value_kind:     global_buffer
      - .offset:         56
        .size:           4
        .value_kind:     by_value
      - .address_space:  global
        .offset:         64
        .size:           8
        .value_kind:     global_buffer
      - .address_space:  global
        .offset:         72
        .size:           8
        .value_kind:     global_buffer
      - .offset:         80
        .size:           1
        .value_kind:     by_value
      - .offset:         81
        .size:           1
        .value_kind:     by_value
    .group_segment_fixed_size: 0
    .kernarg_segment_align: 8
    .kernarg_segment_size: 84
    .language:       OpenCL C
    .language_version:
      - 2
      - 0
    .max_flat_workgroup_size: 256
    .name:           _ZN7rocprim6detail20lookback_scan_kernelILNS0_25lookback_scan_determinismE0ELb1ENS0_19wrapped_scan_configINS_14default_configE12hip_bfloat16EEN6hipcub22TransformInputIteratorIS5_NS7_6CastOpIS5_EEPS5_lEESB_NS7_3MaxENS_12future_valueIS5_SB_EES5_NS0_19lookback_scan_stateIS5_Lb1ELb1EEEEEvT2_T3_mT5_T4_T7_jPT6_SO_bb
    .private_segment_fixed_size: 0
    .sgpr_count:     6
    .sgpr_spill_count: 0
    .symbol:         _ZN7rocprim6detail20lookback_scan_kernelILNS0_25lookback_scan_determinismE0ELb1ENS0_19wrapped_scan_configINS_14default_configE12hip_bfloat16EEN6hipcub22TransformInputIteratorIS5_NS7_6CastOpIS5_EEPS5_lEESB_NS7_3MaxENS_12future_valueIS5_SB_EES5_NS0_19lookback_scan_stateIS5_Lb1ELb1EEEEEvT2_T3_mT5_T4_T7_jPT6_SO_bb.kd
    .uniform_work_group_size: 1
    .uses_dynamic_stack: false
    .vgpr_count:     0
    .vgpr_spill_count: 0
    .wavefront_size: 64
  - .agpr_count:     0
    .args:
      - .offset:         0
        .size:           16
        .value_kind:     by_value
      - .address_space:  global
        .offset:         16
        .size:           8
        .value_kind:     global_buffer
      - .offset:         24
        .size:           8
        .value_kind:     by_value
      - .address_space:  global
        .offset:         32
        .size:           8
        .value_kind:     global_buffer
      - .offset:         40
        .size:           1
        .value_kind:     by_value
      - .address_space:  global
        .offset:         48
        .size:           8
        .value_kind:     global_buffer
      - .offset:         56
        .size:           4
        .value_kind:     by_value
      - .address_space:  global
        .offset:         64
        .size:           8
        .value_kind:     global_buffer
      - .address_space:  global
        .offset:         72
        .size:           8
        .value_kind:     global_buffer
      - .offset:         80
        .size:           1
        .value_kind:     by_value
      - .offset:         81
        .size:           1
        .value_kind:     by_value
    .group_segment_fixed_size: 12288
    .kernarg_segment_align: 8
    .kernarg_segment_size: 84
    .language:       OpenCL C
    .language_version:
      - 2
      - 0
    .max_flat_workgroup_size: 256
    .name:           _ZN7rocprim6detail20lookback_scan_kernelILNS0_25lookback_scan_determinismE0ELb1ENS0_19wrapped_scan_configINS_14default_configE12hip_bfloat16EEN6hipcub22TransformInputIteratorIS5_NS7_6CastOpIS5_EEPS5_lEESB_NS7_3MaxENS_12future_valueIS5_SB_EES5_NS0_19lookback_scan_stateIS5_Lb0ELb1EEEEEvT2_T3_mT5_T4_T7_jPT6_SO_bb
    .private_segment_fixed_size: 0
    .sgpr_count:     38
    .sgpr_spill_count: 0
    .symbol:         _ZN7rocprim6detail20lookback_scan_kernelILNS0_25lookback_scan_determinismE0ELb1ENS0_19wrapped_scan_configINS_14default_configE12hip_bfloat16EEN6hipcub22TransformInputIteratorIS5_NS7_6CastOpIS5_EEPS5_lEESB_NS7_3MaxENS_12future_valueIS5_SB_EES5_NS0_19lookback_scan_stateIS5_Lb0ELb1EEEEEvT2_T3_mT5_T4_T7_jPT6_SO_bb.kd
    .uniform_work_group_size: 1
    .uses_dynamic_stack: false
    .vgpr_count:     85
    .vgpr_spill_count: 0
    .wavefront_size: 64
  - .agpr_count:     0
    .args:
      - .offset:         0
        .size:           16
        .value_kind:     by_value
      - .offset:         16
        .size:           8
        .value_kind:     by_value
      - .address_space:  global
        .offset:         24
        .size:           8
        .value_kind:     global_buffer
      - .address_space:  global
        .offset:         32
        .size:           8
        .value_kind:     global_buffer
      - .offset:         40
        .size:           1
        .value_kind:     by_value
    .group_segment_fixed_size: 12288
    .kernarg_segment_align: 8
    .kernarg_segment_size: 44
    .language:       OpenCL C
    .language_version:
      - 2
      - 0
    .max_flat_workgroup_size: 256
    .name:           _ZN7rocprim6detail18single_scan_kernelILb1ENS0_19wrapped_scan_configINS_14default_configE12hip_bfloat16EEN6hipcub22TransformInputIteratorIS4_NS6_6CastOpIS4_EEPS4_lEESA_NS6_3MaxENS_12future_valueIS4_SA_EES4_EEvT1_mT4_T2_T3_
    .private_segment_fixed_size: 0
    .sgpr_count:     60
    .sgpr_spill_count: 0
    .symbol:         _ZN7rocprim6detail18single_scan_kernelILb1ENS0_19wrapped_scan_configINS_14default_configE12hip_bfloat16EEN6hipcub22TransformInputIteratorIS4_NS6_6CastOpIS4_EEPS4_lEESA_NS6_3MaxENS_12future_valueIS4_SA_EES4_EEvT1_mT4_T2_T3_.kd
    .uniform_work_group_size: 1
    .uses_dynamic_stack: false
    .vgpr_count:     59
    .vgpr_spill_count: 0
    .wavefront_size: 64
  - .agpr_count:     0
    .args:
      - .address_space:  global
        .offset:         0
        .size:           8
        .value_kind:     global_buffer
      - .offset:         8
        .size:           2
        .value_kind:     by_value
    .group_segment_fixed_size: 0
    .kernarg_segment_align: 8
    .kernarg_segment_size: 12
    .language:       OpenCL C
    .language_version:
      - 2
      - 0
    .max_flat_workgroup_size: 1024
    .name:           _ZL18fill_initial_valueI12hip_bfloat16EvPT_S1_
    .private_segment_fixed_size: 0
    .sgpr_count:     11
    .sgpr_spill_count: 0
    .symbol:         _ZL18fill_initial_valueI12hip_bfloat16EvPT_S1_.kd
    .uniform_work_group_size: 1
    .uses_dynamic_stack: false
    .vgpr_count:     2
    .vgpr_spill_count: 0
    .wavefront_size: 64
  - .agpr_count:     0
    .args:
      - .address_space:  global
        .offset:         0
        .size:           8
        .value_kind:     global_buffer
      - .offset:         8
        .size:           4
        .value_kind:     by_value
      - .offset:         12
        .size:           4
        .value_kind:     by_value
      - .address_space:  global
        .offset:         16
        .size:           8
        .value_kind:     global_buffer
      - .offset:         24
        .size:           4
        .value_kind:     hidden_block_count_x
      - .offset:         28
        .size:           4
        .value_kind:     hidden_block_count_y
      - .offset:         32
        .size:           4
        .value_kind:     hidden_block_count_z
      - .offset:         36
        .size:           2
        .value_kind:     hidden_group_size_x
      - .offset:         38
        .size:           2
        .value_kind:     hidden_group_size_y
      - .offset:         40
        .size:           2
        .value_kind:     hidden_group_size_z
      - .offset:         42
        .size:           2
        .value_kind:     hidden_remainder_x
      - .offset:         44
        .size:           2
        .value_kind:     hidden_remainder_y
      - .offset:         46
        .size:           2
        .value_kind:     hidden_remainder_z
      - .offset:         64
        .size:           8
        .value_kind:     hidden_global_offset_x
      - .offset:         72
        .size:           8
        .value_kind:     hidden_global_offset_y
      - .offset:         80
        .size:           8
        .value_kind:     hidden_global_offset_z
      - .offset:         88
        .size:           2
        .value_kind:     hidden_grid_dims
    .group_segment_fixed_size: 0
    .kernarg_segment_align: 8
    .kernarg_segment_size: 280
    .language:       OpenCL C
    .language_version:
      - 2
      - 0
    .max_flat_workgroup_size: 256
    .name:           _ZN7rocprim6detail31init_lookback_scan_state_kernelINS0_19lookback_scan_stateIdLb1ELb1EEEEEvT_jjPNS4_10value_typeE
    .private_segment_fixed_size: 0
    .sgpr_count:     20
    .sgpr_spill_count: 0
    .symbol:         _ZN7rocprim6detail31init_lookback_scan_state_kernelINS0_19lookback_scan_stateIdLb1ELb1EEEEEvT_jjPNS4_10value_typeE.kd
    .uniform_work_group_size: 1
    .uses_dynamic_stack: false
    .vgpr_count:     10
    .vgpr_spill_count: 0
    .wavefront_size: 64
  - .agpr_count:     0
    .args:
      - .address_space:  global
        .offset:         0
        .size:           8
        .value_kind:     global_buffer
      - .offset:         8
        .size:           4
        .value_kind:     by_value
      - .offset:         12
        .size:           4
        .value_kind:     by_value
      - .address_space:  global
        .offset:         16
        .size:           8
        .value_kind:     global_buffer
      - .offset:         24
        .size:           4
        .value_kind:     hidden_block_count_x
      - .offset:         28
        .size:           4
        .value_kind:     hidden_block_count_y
      - .offset:         32
        .size:           4
        .value_kind:     hidden_block_count_z
      - .offset:         36
        .size:           2
        .value_kind:     hidden_group_size_x
      - .offset:         38
        .size:           2
        .value_kind:     hidden_group_size_y
      - .offset:         40
        .size:           2
        .value_kind:     hidden_group_size_z
      - .offset:         42
        .size:           2
        .value_kind:     hidden_remainder_x
      - .offset:         44
        .size:           2
        .value_kind:     hidden_remainder_y
      - .offset:         46
        .size:           2
        .value_kind:     hidden_remainder_z
      - .offset:         64
        .size:           8
        .value_kind:     hidden_global_offset_x
      - .offset:         72
        .size:           8
        .value_kind:     hidden_global_offset_y
      - .offset:         80
        .size:           8
        .value_kind:     hidden_global_offset_z
      - .offset:         88
        .size:           2
        .value_kind:     hidden_grid_dims
    .group_segment_fixed_size: 0
    .kernarg_segment_align: 8
    .kernarg_segment_size: 280
    .language:       OpenCL C
    .language_version:
      - 2
      - 0
    .max_flat_workgroup_size: 256
    .name:           _ZN7rocprim6detail31init_lookback_scan_state_kernelINS0_19lookback_scan_stateIdLb0ELb1EEEEEvT_jjPNS4_10value_typeE
    .private_segment_fixed_size: 0
    .sgpr_count:     20
    .sgpr_spill_count: 0
    .symbol:         _ZN7rocprim6detail31init_lookback_scan_state_kernelINS0_19lookback_scan_stateIdLb0ELb1EEEEEvT_jjPNS4_10value_typeE.kd
    .uniform_work_group_size: 1
    .uses_dynamic_stack: false
    .vgpr_count:     10
    .vgpr_spill_count: 0
    .wavefront_size: 64
  - .agpr_count:     0
    .args:
      - .offset:         0
        .size:           16
        .value_kind:     by_value
      - .address_space:  global
        .offset:         16
        .size:           8
        .value_kind:     global_buffer
      - .offset:         24
        .size:           8
        .value_kind:     by_value
      - .address_space:  global
        .offset:         32
        .size:           8
        .value_kind:     global_buffer
      - .offset:         40
        .size:           1
        .value_kind:     by_value
      - .address_space:  global
        .offset:         48
        .size:           8
        .value_kind:     global_buffer
      - .offset:         56
        .size:           4
        .value_kind:     by_value
      - .address_space:  global
        .offset:         64
        .size:           8
        .value_kind:     global_buffer
      - .address_space:  global
        .offset:         72
        .size:           8
        .value_kind:     global_buffer
      - .offset:         80
        .size:           1
        .value_kind:     by_value
      - .offset:         81
        .size:           1
        .value_kind:     by_value
    .group_segment_fixed_size: 0
    .kernarg_segment_align: 8
    .kernarg_segment_size: 84
    .language:       OpenCL C
    .language_version:
      - 2
      - 0
    .max_flat_workgroup_size: 256
    .name:           _ZN7rocprim6detail20lookback_scan_kernelILNS0_25lookback_scan_determinismE0ELb1ENS0_19wrapped_scan_configINS_14default_configEdEEN6hipcub22TransformInputIteratorIiNS6_6CastOpIiEEPilEEPdNS6_3SumENS_12future_valueIdSC_EEdNS0_19lookback_scan_stateIdLb1ELb1EEEEEvT2_T3_mT5_T4_T7_jPT6_SO_bb
    .private_segment_fixed_size: 0
    .sgpr_count:     6
    .sgpr_spill_count: 0
    .symbol:         _ZN7rocprim6detail20lookback_scan_kernelILNS0_25lookback_scan_determinismE0ELb1ENS0_19wrapped_scan_configINS_14default_configEdEEN6hipcub22TransformInputIteratorIiNS6_6CastOpIiEEPilEEPdNS6_3SumENS_12future_valueIdSC_EEdNS0_19lookback_scan_stateIdLb1ELb1EEEEEvT2_T3_mT5_T4_T7_jPT6_SO_bb.kd
    .uniform_work_group_size: 1
    .uses_dynamic_stack: false
    .vgpr_count:     0
    .vgpr_spill_count: 0
    .wavefront_size: 64
  - .agpr_count:     0
    .args:
      - .offset:         0
        .size:           16
        .value_kind:     by_value
      - .address_space:  global
        .offset:         16
        .size:           8
        .value_kind:     global_buffer
      - .offset:         24
        .size:           8
        .value_kind:     by_value
      - .address_space:  global
        .offset:         32
        .size:           8
        .value_kind:     global_buffer
      - .offset:         40
        .size:           1
        .value_kind:     by_value
      - .address_space:  global
        .offset:         48
        .size:           8
        .value_kind:     global_buffer
      - .offset:         56
        .size:           4
        .value_kind:     by_value
      - .address_space:  global
        .offset:         64
        .size:           8
        .value_kind:     global_buffer
      - .address_space:  global
        .offset:         72
        .size:           8
        .value_kind:     global_buffer
      - .offset:         80
        .size:           1
        .value_kind:     by_value
      - .offset:         81
        .size:           1
        .value_kind:     by_value
    .group_segment_fixed_size: 30720
    .kernarg_segment_align: 8
    .kernarg_segment_size: 84
    .language:       OpenCL C
    .language_version:
      - 2
      - 0
    .max_flat_workgroup_size: 256
    .name:           _ZN7rocprim6detail20lookback_scan_kernelILNS0_25lookback_scan_determinismE0ELb1ENS0_19wrapped_scan_configINS_14default_configEdEEN6hipcub22TransformInputIteratorIiNS6_6CastOpIiEEPilEEPdNS6_3SumENS_12future_valueIdSC_EEdNS0_19lookback_scan_stateIdLb0ELb1EEEEEvT2_T3_mT5_T4_T7_jPT6_SO_bb
    .private_segment_fixed_size: 0
    .sgpr_count:     36
    .sgpr_spill_count: 0
    .symbol:         _ZN7rocprim6detail20lookback_scan_kernelILNS0_25lookback_scan_determinismE0ELb1ENS0_19wrapped_scan_configINS_14default_configEdEEN6hipcub22TransformInputIteratorIiNS6_6CastOpIiEEPilEEPdNS6_3SumENS_12future_valueIdSC_EEdNS0_19lookback_scan_stateIdLb0ELb1EEEEEvT2_T3_mT5_T4_T7_jPT6_SO_bb.kd
    .uniform_work_group_size: 1
    .uses_dynamic_stack: false
    .vgpr_count:     69
    .vgpr_spill_count: 0
    .wavefront_size: 64
  - .agpr_count:     0
    .args:
      - .address_space:  global
        .offset:         0
        .size:           8
        .value_kind:     global_buffer
      - .offset:         8
        .size:           8
        .value_kind:     by_value
      - .address_space:  global
        .offset:         16
        .size:           8
        .value_kind:     global_buffer
      - .offset:         24
        .size:           1
        .value_kind:     by_value
      - .offset:         32
        .size:           4
        .value_kind:     hidden_block_count_x
      - .offset:         36
        .size:           4
        .value_kind:     hidden_block_count_y
      - .offset:         40
        .size:           4
        .value_kind:     hidden_block_count_z
      - .offset:         44
        .size:           2
        .value_kind:     hidden_group_size_x
      - .offset:         46
        .size:           2
        .value_kind:     hidden_group_size_y
      - .offset:         48
        .size:           2
        .value_kind:     hidden_group_size_z
      - .offset:         50
        .size:           2
        .value_kind:     hidden_remainder_x
      - .offset:         52
        .size:           2
        .value_kind:     hidden_remainder_y
      - .offset:         54
        .size:           2
        .value_kind:     hidden_remainder_z
      - .offset:         72
        .size:           8
        .value_kind:     hidden_global_offset_x
      - .offset:         80
        .size:           8
        .value_kind:     hidden_global_offset_y
      - .offset:         88
        .size:           8
        .value_kind:     hidden_global_offset_z
      - .offset:         96
        .size:           2
        .value_kind:     hidden_grid_dims
    .group_segment_fixed_size: 0
    .kernarg_segment_align: 8
    .kernarg_segment_size: 288
    .language:       OpenCL C
    .language_version:
      - 2
      - 0
    .max_flat_workgroup_size: 1024
    .name:           _ZN7rocprim6detail16transform_kernelINS0_24wrapped_transform_configINS_14default_configEdEEdPdS5_NS_8identityIdEEEEvT1_mT2_T3_
    .private_segment_fixed_size: 0
    .sgpr_count:     20
    .sgpr_spill_count: 0
    .symbol:         _ZN7rocprim6detail16transform_kernelINS0_24wrapped_transform_configINS_14default_configEdEEdPdS5_NS_8identityIdEEEEvT1_mT2_T3_.kd
    .uniform_work_group_size: 1
    .uses_dynamic_stack: false
    .vgpr_count:     18
    .vgpr_spill_count: 0
    .wavefront_size: 64
  - .agpr_count:     0
    .args:
      - .offset:         0
        .size:           16
        .value_kind:     by_value
      - .offset:         16
        .size:           8
        .value_kind:     by_value
      - .address_space:  global
        .offset:         24
        .size:           8
        .value_kind:     global_buffer
      - .address_space:  global
        .offset:         32
        .size:           8
        .value_kind:     global_buffer
      - .offset:         40
        .size:           1
        .value_kind:     by_value
    .group_segment_fixed_size: 30720
    .kernarg_segment_align: 8
    .kernarg_segment_size: 44
    .language:       OpenCL C
    .language_version:
      - 2
      - 0
    .max_flat_workgroup_size: 256
    .name:           _ZN7rocprim6detail18single_scan_kernelILb1ENS0_19wrapped_scan_configINS_14default_configEdEEN6hipcub22TransformInputIteratorIiNS5_6CastOpIiEEPilEEPdNS5_3SumENS_12future_valueIdSB_EEdEEvT1_mT4_T2_T3_
    .private_segment_fixed_size: 0
    .sgpr_count:     46
    .sgpr_spill_count: 0
    .symbol:         _ZN7rocprim6detail18single_scan_kernelILb1ENS0_19wrapped_scan_configINS_14default_configEdEEN6hipcub22TransformInputIteratorIiNS5_6CastOpIiEEPilEEPdNS5_3SumENS_12future_valueIdSB_EEdEEvT1_mT4_T2_T3_.kd
    .uniform_work_group_size: 1
    .uses_dynamic_stack: false
    .vgpr_count:     48
    .vgpr_spill_count: 0
    .wavefront_size: 64
  - .agpr_count:     0
    .args:
      - .address_space:  global
        .offset:         0
        .size:           8
        .value_kind:     global_buffer
      - .offset:         8
        .size:           8
        .value_kind:     by_value
    .group_segment_fixed_size: 0
    .kernarg_segment_align: 8
    .kernarg_segment_size: 16
    .language:       OpenCL C
    .language_version:
      - 2
      - 0
    .max_flat_workgroup_size: 1024
    .name:           _ZL18fill_initial_valueIdEvPT_S0_
    .private_segment_fixed_size: 0
    .sgpr_count:     10
    .sgpr_spill_count: 0
    .symbol:         _ZL18fill_initial_valueIdEvPT_S0_.kd
    .uniform_work_group_size: 1
    .uses_dynamic_stack: false
    .vgpr_count:     3
    .vgpr_spill_count: 0
    .wavefront_size: 64
  - .agpr_count:     0
    .args:
      - .address_space:  global
        .offset:         0
        .size:           8
        .value_kind:     global_buffer
      - .offset:         8
        .size:           4
        .value_kind:     by_value
      - .offset:         12
        .size:           4
        .value_kind:     by_value
      - .address_space:  global
        .offset:         16
        .size:           8
        .value_kind:     global_buffer
      - .offset:         24
        .size:           4
        .value_kind:     hidden_block_count_x
      - .offset:         28
        .size:           4
        .value_kind:     hidden_block_count_y
      - .offset:         32
        .size:           4
        .value_kind:     hidden_block_count_z
      - .offset:         36
        .size:           2
        .value_kind:     hidden_group_size_x
      - .offset:         38
        .size:           2
        .value_kind:     hidden_group_size_y
      - .offset:         40
        .size:           2
        .value_kind:     hidden_group_size_z
      - .offset:         42
        .size:           2
        .value_kind:     hidden_remainder_x
      - .offset:         44
        .size:           2
        .value_kind:     hidden_remainder_y
      - .offset:         46
        .size:           2
        .value_kind:     hidden_remainder_z
      - .offset:         64
        .size:           8
        .value_kind:     hidden_global_offset_x
      - .offset:         72
        .size:           8
        .value_kind:     hidden_global_offset_y
      - .offset:         80
        .size:           8
        .value_kind:     hidden_global_offset_z
      - .offset:         88
        .size:           2
        .value_kind:     hidden_grid_dims
    .group_segment_fixed_size: 0
    .kernarg_segment_align: 8
    .kernarg_segment_size: 280
    .language:       OpenCL C
    .language_version:
      - 2
      - 0
    .max_flat_workgroup_size: 256
    .name:           _ZN7rocprim6detail31init_lookback_scan_state_kernelINS0_19lookback_scan_stateIfLb1ELb1EEEEEvT_jjPNS4_10value_typeE
    .private_segment_fixed_size: 0
    .sgpr_count:     18
    .sgpr_spill_count: 0
    .symbol:         _ZN7rocprim6detail31init_lookback_scan_state_kernelINS0_19lookback_scan_stateIfLb1ELb1EEEEEvT_jjPNS4_10value_typeE.kd
    .uniform_work_group_size: 1
    .uses_dynamic_stack: false
    .vgpr_count:     6
    .vgpr_spill_count: 0
    .wavefront_size: 64
  - .agpr_count:     0
    .args:
      - .address_space:  global
        .offset:         0
        .size:           8
        .value_kind:     global_buffer
      - .offset:         8
        .size:           4
        .value_kind:     by_value
      - .offset:         12
        .size:           4
        .value_kind:     by_value
      - .address_space:  global
        .offset:         16
        .size:           8
        .value_kind:     global_buffer
      - .offset:         24
        .size:           4
        .value_kind:     hidden_block_count_x
      - .offset:         28
        .size:           4
        .value_kind:     hidden_block_count_y
      - .offset:         32
        .size:           4
        .value_kind:     hidden_block_count_z
      - .offset:         36
        .size:           2
        .value_kind:     hidden_group_size_x
      - .offset:         38
        .size:           2
        .value_kind:     hidden_group_size_y
      - .offset:         40
        .size:           2
        .value_kind:     hidden_group_size_z
      - .offset:         42
        .size:           2
        .value_kind:     hidden_remainder_x
      - .offset:         44
        .size:           2
        .value_kind:     hidden_remainder_y
      - .offset:         46
        .size:           2
        .value_kind:     hidden_remainder_z
      - .offset:         64
        .size:           8
        .value_kind:     hidden_global_offset_x
      - .offset:         72
        .size:           8
        .value_kind:     hidden_global_offset_y
      - .offset:         80
        .size:           8
        .value_kind:     hidden_global_offset_z
      - .offset:         88
        .size:           2
        .value_kind:     hidden_grid_dims
    .group_segment_fixed_size: 0
    .kernarg_segment_align: 8
    .kernarg_segment_size: 280
    .language:       OpenCL C
    .language_version:
      - 2
      - 0
    .max_flat_workgroup_size: 256
    .name:           _ZN7rocprim6detail31init_lookback_scan_state_kernelINS0_19lookback_scan_stateIfLb0ELb1EEEEEvT_jjPNS4_10value_typeE
    .private_segment_fixed_size: 0
    .sgpr_count:     16
    .sgpr_spill_count: 0
    .symbol:         _ZN7rocprim6detail31init_lookback_scan_state_kernelINS0_19lookback_scan_stateIfLb0ELb1EEEEEvT_jjPNS4_10value_typeE.kd
    .uniform_work_group_size: 1
    .uses_dynamic_stack: false
    .vgpr_count:     6
    .vgpr_spill_count: 0
    .wavefront_size: 64
  - .agpr_count:     0
    .args:
      - .offset:         0
        .size:           16
        .value_kind:     by_value
      - .address_space:  global
        .offset:         16
        .size:           8
        .value_kind:     global_buffer
      - .offset:         24
        .size:           8
        .value_kind:     by_value
      - .address_space:  global
        .offset:         32
        .size:           8
        .value_kind:     global_buffer
      - .offset:         40
        .size:           1
        .value_kind:     by_value
      - .address_space:  global
        .offset:         48
        .size:           8
        .value_kind:     global_buffer
      - .offset:         56
        .size:           4
        .value_kind:     by_value
      - .address_space:  global
        .offset:         64
        .size:           8
        .value_kind:     global_buffer
      - .address_space:  global
        .offset:         72
        .size:           8
        .value_kind:     global_buffer
      - .offset:         80
        .size:           1
        .value_kind:     by_value
      - .offset:         81
        .size:           1
        .value_kind:     by_value
    .group_segment_fixed_size: 0
    .kernarg_segment_align: 8
    .kernarg_segment_size: 84
    .language:       OpenCL C
    .language_version:
      - 2
      - 0
    .max_flat_workgroup_size: 256
    .name:           _ZN7rocprim6detail20lookback_scan_kernelILNS0_25lookback_scan_determinismE0ELb1ENS0_19wrapped_scan_configINS_14default_configEfEEN6hipcub22TransformInputIteratorIsNS6_6CastOpIsEEPslEEPfNS6_3MaxENS_12future_valueIfSC_EEfNS0_19lookback_scan_stateIfLb1ELb1EEEEEvT2_T3_mT5_T4_T7_jPT6_SO_bb
    .private_segment_fixed_size: 0
    .sgpr_count:     6
    .sgpr_spill_count: 0
    .symbol:         _ZN7rocprim6detail20lookback_scan_kernelILNS0_25lookback_scan_determinismE0ELb1ENS0_19wrapped_scan_configINS_14default_configEfEEN6hipcub22TransformInputIteratorIsNS6_6CastOpIsEEPslEEPfNS6_3MaxENS_12future_valueIfSC_EEfNS0_19lookback_scan_stateIfLb1ELb1EEEEEvT2_T3_mT5_T4_T7_jPT6_SO_bb.kd
    .uniform_work_group_size: 1
    .uses_dynamic_stack: false
    .vgpr_count:     0
    .vgpr_spill_count: 0
    .wavefront_size: 64
  - .agpr_count:     0
    .args:
      - .offset:         0
        .size:           16
        .value_kind:     by_value
      - .address_space:  global
        .offset:         16
        .size:           8
        .value_kind:     global_buffer
      - .offset:         24
        .size:           8
        .value_kind:     by_value
      - .address_space:  global
        .offset:         32
        .size:           8
        .value_kind:     global_buffer
      - .offset:         40
        .size:           1
        .value_kind:     by_value
      - .address_space:  global
        .offset:         48
        .size:           8
        .value_kind:     global_buffer
      - .offset:         56
        .size:           4
        .value_kind:     by_value
      - .address_space:  global
        .offset:         64
        .size:           8
        .value_kind:     global_buffer
      - .address_space:  global
        .offset:         72
        .size:           8
        .value_kind:     global_buffer
      - .offset:         80
        .size:           1
        .value_kind:     by_value
      - .offset:         81
        .size:           1
        .value_kind:     by_value
    .group_segment_fixed_size: 24576
    .kernarg_segment_align: 8
    .kernarg_segment_size: 84
    .language:       OpenCL C
    .language_version:
      - 2
      - 0
    .max_flat_workgroup_size: 256
    .name:           _ZN7rocprim6detail20lookback_scan_kernelILNS0_25lookback_scan_determinismE0ELb1ENS0_19wrapped_scan_configINS_14default_configEfEEN6hipcub22TransformInputIteratorIsNS6_6CastOpIsEEPslEEPfNS6_3MaxENS_12future_valueIfSC_EEfNS0_19lookback_scan_stateIfLb0ELb1EEEEEvT2_T3_mT5_T4_T7_jPT6_SO_bb
    .private_segment_fixed_size: 0
    .sgpr_count:     42
    .sgpr_spill_count: 0
    .symbol:         _ZN7rocprim6detail20lookback_scan_kernelILNS0_25lookback_scan_determinismE0ELb1ENS0_19wrapped_scan_configINS_14default_configEfEEN6hipcub22TransformInputIteratorIsNS6_6CastOpIsEEPslEEPfNS6_3MaxENS_12future_valueIfSC_EEfNS0_19lookback_scan_stateIfLb0ELb1EEEEEvT2_T3_mT5_T4_T7_jPT6_SO_bb.kd
    .uniform_work_group_size: 1
    .uses_dynamic_stack: false
    .vgpr_count:     56
    .vgpr_spill_count: 0
    .wavefront_size: 64
  - .agpr_count:     0
    .args:
      - .address_space:  global
        .offset:         0
        .size:           8
        .value_kind:     global_buffer
      - .offset:         8
        .size:           8
        .value_kind:     by_value
      - .address_space:  global
        .offset:         16
        .size:           8
        .value_kind:     global_buffer
      - .offset:         24
        .size:           1
        .value_kind:     by_value
      - .offset:         32
        .size:           4
        .value_kind:     hidden_block_count_x
      - .offset:         36
        .size:           4
        .value_kind:     hidden_block_count_y
      - .offset:         40
        .size:           4
        .value_kind:     hidden_block_count_z
      - .offset:         44
        .size:           2
        .value_kind:     hidden_group_size_x
      - .offset:         46
        .size:           2
        .value_kind:     hidden_group_size_y
      - .offset:         48
        .size:           2
        .value_kind:     hidden_group_size_z
      - .offset:         50
        .size:           2
        .value_kind:     hidden_remainder_x
      - .offset:         52
        .size:           2
        .value_kind:     hidden_remainder_y
      - .offset:         54
        .size:           2
        .value_kind:     hidden_remainder_z
      - .offset:         72
        .size:           8
        .value_kind:     hidden_global_offset_x
      - .offset:         80
        .size:           8
        .value_kind:     hidden_global_offset_y
      - .offset:         88
        .size:           8
        .value_kind:     hidden_global_offset_z
      - .offset:         96
        .size:           2
        .value_kind:     hidden_grid_dims
    .group_segment_fixed_size: 0
    .kernarg_segment_align: 8
    .kernarg_segment_size: 288
    .language:       OpenCL C
    .language_version:
      - 2
      - 0
    .max_flat_workgroup_size: 256
    .name:           _ZN7rocprim6detail16transform_kernelINS0_24wrapped_transform_configINS_14default_configEfEEfPfS5_NS_8identityIfEEEEvT1_mT2_T3_
    .private_segment_fixed_size: 0
    .sgpr_count:     20
    .sgpr_spill_count: 0
    .symbol:         _ZN7rocprim6detail16transform_kernelINS0_24wrapped_transform_configINS_14default_configEfEEfPfS5_NS_8identityIfEEEEvT1_mT2_T3_.kd
    .uniform_work_group_size: 1
    .uses_dynamic_stack: false
    .vgpr_count:     10
    .vgpr_spill_count: 0
    .wavefront_size: 64
  - .agpr_count:     0
    .args:
      - .offset:         0
        .size:           16
        .value_kind:     by_value
      - .offset:         16
        .size:           8
        .value_kind:     by_value
      - .address_space:  global
        .offset:         24
        .size:           8
        .value_kind:     global_buffer
      - .address_space:  global
        .offset:         32
        .size:           8
        .value_kind:     global_buffer
      - .offset:         40
        .size:           1
        .value_kind:     by_value
    .group_segment_fixed_size: 24576
    .kernarg_segment_align: 8
    .kernarg_segment_size: 44
    .language:       OpenCL C
    .language_version:
      - 2
      - 0
    .max_flat_workgroup_size: 256
    .name:           _ZN7rocprim6detail18single_scan_kernelILb1ENS0_19wrapped_scan_configINS_14default_configEfEEN6hipcub22TransformInputIteratorIsNS5_6CastOpIsEEPslEEPfNS5_3MaxENS_12future_valueIfSB_EEfEEvT1_mT4_T2_T3_
    .private_segment_fixed_size: 0
    .sgpr_count:     64
    .sgpr_spill_count: 0
    .symbol:         _ZN7rocprim6detail18single_scan_kernelILb1ENS0_19wrapped_scan_configINS_14default_configEfEEN6hipcub22TransformInputIteratorIsNS5_6CastOpIsEEPslEEPfNS5_3MaxENS_12future_valueIfSB_EEfEEvT1_mT4_T2_T3_.kd
    .uniform_work_group_size: 1
    .uses_dynamic_stack: false
    .vgpr_count:     36
    .vgpr_spill_count: 0
    .wavefront_size: 64
  - .agpr_count:     0
    .args:
      - .address_space:  global
        .offset:         0
        .size:           8
        .value_kind:     global_buffer
      - .offset:         8
        .size:           4
        .value_kind:     by_value
    .group_segment_fixed_size: 0
    .kernarg_segment_align: 8
    .kernarg_segment_size: 12
    .language:       OpenCL C
    .language_version:
      - 2
      - 0
    .max_flat_workgroup_size: 1024
    .name:           _ZL18fill_initial_valueIfEvPT_S0_
    .private_segment_fixed_size: 0
    .sgpr_count:     11
    .sgpr_spill_count: 0
    .symbol:         _ZL18fill_initial_valueIfEvPT_S0_.kd
    .uniform_work_group_size: 1
    .uses_dynamic_stack: false
    .vgpr_count:     2
    .vgpr_spill_count: 0
    .wavefront_size: 64
  - .agpr_count:     0
    .args:
      - .offset:         0
        .size:           16
        .value_kind:     by_value
      - .address_space:  global
        .offset:         16
        .size:           8
        .value_kind:     global_buffer
      - .offset:         24
        .size:           8
        .value_kind:     by_value
      - .address_space:  global
        .offset:         32
        .size:           8
        .value_kind:     global_buffer
      - .offset:         40
        .size:           1
        .value_kind:     by_value
      - .address_space:  global
        .offset:         48
        .size:           8
        .value_kind:     global_buffer
      - .offset:         56
        .size:           4
        .value_kind:     by_value
      - .address_space:  global
        .offset:         64
        .size:           8
        .value_kind:     global_buffer
      - .address_space:  global
        .offset:         72
        .size:           8
        .value_kind:     global_buffer
      - .offset:         80
        .size:           1
        .value_kind:     by_value
      - .offset:         81
        .size:           1
        .value_kind:     by_value
    .group_segment_fixed_size: 0
    .kernarg_segment_align: 8
    .kernarg_segment_size: 84
    .language:       OpenCL C
    .language_version:
      - 2
      - 0
    .max_flat_workgroup_size: 256
    .name:           _ZN7rocprim6detail20lookback_scan_kernelILNS0_25lookback_scan_determinismE0ELb1ENS0_19wrapped_scan_configINS_14default_configEmEEN6hipcub22TransformInputIteratorImNS6_6CastOpImEEPmlEESA_NS6_3SumENS_12future_valueImSA_EEmNS0_19lookback_scan_stateImLb1ELb1EEEEEvT2_T3_mT5_T4_T7_jPT6_SN_bb
    .private_segment_fixed_size: 0
    .sgpr_count:     6
    .sgpr_spill_count: 0
    .symbol:         _ZN7rocprim6detail20lookback_scan_kernelILNS0_25lookback_scan_determinismE0ELb1ENS0_19wrapped_scan_configINS_14default_configEmEEN6hipcub22TransformInputIteratorImNS6_6CastOpImEEPmlEESA_NS6_3SumENS_12future_valueImSA_EEmNS0_19lookback_scan_stateImLb1ELb1EEEEEvT2_T3_mT5_T4_T7_jPT6_SN_bb.kd
    .uniform_work_group_size: 1
    .uses_dynamic_stack: false
    .vgpr_count:     0
    .vgpr_spill_count: 0
    .wavefront_size: 64
  - .agpr_count:     0
    .args:
      - .offset:         0
        .size:           16
        .value_kind:     by_value
      - .address_space:  global
        .offset:         16
        .size:           8
        .value_kind:     global_buffer
      - .offset:         24
        .size:           8
        .value_kind:     by_value
      - .address_space:  global
        .offset:         32
        .size:           8
        .value_kind:     global_buffer
      - .offset:         40
        .size:           1
        .value_kind:     by_value
      - .address_space:  global
        .offset:         48
        .size:           8
        .value_kind:     global_buffer
      - .offset:         56
        .size:           4
        .value_kind:     by_value
      - .address_space:  global
        .offset:         64
        .size:           8
        .value_kind:     global_buffer
      - .address_space:  global
        .offset:         72
        .size:           8
        .value_kind:     global_buffer
      - .offset:         80
        .size:           1
        .value_kind:     by_value
      - .offset:         81
        .size:           1
        .value_kind:     by_value
    .group_segment_fixed_size: 30720
    .kernarg_segment_align: 8
    .kernarg_segment_size: 84
    .language:       OpenCL C
    .language_version:
      - 2
      - 0
    .max_flat_workgroup_size: 256
    .name:           _ZN7rocprim6detail20lookback_scan_kernelILNS0_25lookback_scan_determinismE0ELb1ENS0_19wrapped_scan_configINS_14default_configEmEEN6hipcub22TransformInputIteratorImNS6_6CastOpImEEPmlEESA_NS6_3SumENS_12future_valueImSA_EEmNS0_19lookback_scan_stateImLb0ELb1EEEEEvT2_T3_mT5_T4_T7_jPT6_SN_bb
    .private_segment_fixed_size: 0
    .sgpr_count:     74
    .sgpr_spill_count: 0
    .symbol:         _ZN7rocprim6detail20lookback_scan_kernelILNS0_25lookback_scan_determinismE0ELb1ENS0_19wrapped_scan_configINS_14default_configEmEEN6hipcub22TransformInputIteratorImNS6_6CastOpImEEPmlEESA_NS6_3SumENS_12future_valueImSA_EEmNS0_19lookback_scan_stateImLb0ELb1EEEEEvT2_T3_mT5_T4_T7_jPT6_SN_bb.kd
    .uniform_work_group_size: 1
    .uses_dynamic_stack: false
    .vgpr_count:     72
    .vgpr_spill_count: 0
    .wavefront_size: 64
  - .agpr_count:     0
    .args:
      - .offset:         0
        .size:           16
        .value_kind:     by_value
      - .offset:         16
        .size:           8
        .value_kind:     by_value
      - .address_space:  global
        .offset:         24
        .size:           8
        .value_kind:     global_buffer
      - .address_space:  global
        .offset:         32
        .size:           8
        .value_kind:     global_buffer
      - .offset:         40
        .size:           1
        .value_kind:     by_value
    .group_segment_fixed_size: 30720
    .kernarg_segment_align: 8
    .kernarg_segment_size: 44
    .language:       OpenCL C
    .language_version:
      - 2
      - 0
    .max_flat_workgroup_size: 256
    .name:           _ZN7rocprim6detail18single_scan_kernelILb1ENS0_19wrapped_scan_configINS_14default_configEmEEN6hipcub22TransformInputIteratorImNS5_6CastOpImEEPmlEES9_NS5_3SumENS_12future_valueImS9_EEmEEvT1_mT4_T2_T3_
    .private_segment_fixed_size: 0
    .sgpr_count:     78
    .sgpr_spill_count: 0
    .symbol:         _ZN7rocprim6detail18single_scan_kernelILb1ENS0_19wrapped_scan_configINS_14default_configEmEEN6hipcub22TransformInputIteratorImNS5_6CastOpImEEPmlEES9_NS5_3SumENS_12future_valueImS9_EEmEEvT1_mT4_T2_T3_.kd
    .uniform_work_group_size: 1
    .uses_dynamic_stack: false
    .vgpr_count:     52
    .vgpr_spill_count: 0
    .wavefront_size: 64
  - .agpr_count:     0
    .args:
      - .address_space:  global
        .offset:         0
        .size:           8
        .value_kind:     global_buffer
      - .offset:         8
        .size:           8
        .value_kind:     by_value
    .group_segment_fixed_size: 0
    .kernarg_segment_align: 8
    .kernarg_segment_size: 16
    .language:       OpenCL C
    .language_version:
      - 2
      - 0
    .max_flat_workgroup_size: 1024
    .name:           _ZL18fill_initial_valueImEvPT_S0_
    .private_segment_fixed_size: 0
    .sgpr_count:     10
    .sgpr_spill_count: 0
    .symbol:         _ZL18fill_initial_valueImEvPT_S0_.kd
    .uniform_work_group_size: 1
    .uses_dynamic_stack: false
    .vgpr_count:     3
    .vgpr_spill_count: 0
    .wavefront_size: 64
  - .agpr_count:     0
    .args:
      - .offset:         0
        .size:           16
        .value_kind:     by_value
      - .address_space:  global
        .offset:         16
        .size:           8
        .value_kind:     global_buffer
      - .offset:         24
        .size:           8
        .value_kind:     by_value
      - .address_space:  global
        .offset:         32
        .size:           8
        .value_kind:     global_buffer
      - .offset:         40
        .size:           1
        .value_kind:     by_value
      - .address_space:  global
        .offset:         48
        .size:           8
        .value_kind:     global_buffer
      - .offset:         56
        .size:           4
        .value_kind:     by_value
      - .address_space:  global
        .offset:         64
        .size:           8
        .value_kind:     global_buffer
      - .address_space:  global
        .offset:         72
        .size:           8
        .value_kind:     global_buffer
      - .offset:         80
        .size:           1
        .value_kind:     by_value
      - .offset:         81
        .size:           1
        .value_kind:     by_value
    .group_segment_fixed_size: 0
    .kernarg_segment_align: 8
    .kernarg_segment_size: 84
    .language:       OpenCL C
    .language_version:
      - 2
      - 0
    .max_flat_workgroup_size: 256
    .name:           _ZN7rocprim6detail20lookback_scan_kernelILNS0_25lookback_scan_determinismE0ELb1ENS0_19wrapped_scan_configINS_14default_configEyEEN6hipcub22TransformInputIteratorIyNS6_6CastOpIyEEPylEESA_NS6_3MinENS_12future_valueIySA_EEyNS0_19lookback_scan_stateIyLb1ELb1EEEEEvT2_T3_mT5_T4_T7_jPT6_SN_bb
    .private_segment_fixed_size: 0
    .sgpr_count:     6
    .sgpr_spill_count: 0
    .symbol:         _ZN7rocprim6detail20lookback_scan_kernelILNS0_25lookback_scan_determinismE0ELb1ENS0_19wrapped_scan_configINS_14default_configEyEEN6hipcub22TransformInputIteratorIyNS6_6CastOpIyEEPylEESA_NS6_3MinENS_12future_valueIySA_EEyNS0_19lookback_scan_stateIyLb1ELb1EEEEEvT2_T3_mT5_T4_T7_jPT6_SN_bb.kd
    .uniform_work_group_size: 1
    .uses_dynamic_stack: false
    .vgpr_count:     0
    .vgpr_spill_count: 0
    .wavefront_size: 64
  - .agpr_count:     0
    .args:
      - .offset:         0
        .size:           16
        .value_kind:     by_value
      - .address_space:  global
        .offset:         16
        .size:           8
        .value_kind:     global_buffer
      - .offset:         24
        .size:           8
        .value_kind:     by_value
      - .address_space:  global
        .offset:         32
        .size:           8
        .value_kind:     global_buffer
      - .offset:         40
        .size:           1
        .value_kind:     by_value
      - .address_space:  global
        .offset:         48
        .size:           8
        .value_kind:     global_buffer
      - .offset:         56
        .size:           4
        .value_kind:     by_value
      - .address_space:  global
        .offset:         64
        .size:           8
        .value_kind:     global_buffer
      - .address_space:  global
        .offset:         72
        .size:           8
        .value_kind:     global_buffer
      - .offset:         80
        .size:           1
        .value_kind:     by_value
      - .offset:         81
        .size:           1
        .value_kind:     by_value
    .group_segment_fixed_size: 30720
    .kernarg_segment_align: 8
    .kernarg_segment_size: 84
    .language:       OpenCL C
    .language_version:
      - 2
      - 0
    .max_flat_workgroup_size: 256
    .name:           _ZN7rocprim6detail20lookback_scan_kernelILNS0_25lookback_scan_determinismE0ELb1ENS0_19wrapped_scan_configINS_14default_configEyEEN6hipcub22TransformInputIteratorIyNS6_6CastOpIyEEPylEESA_NS6_3MinENS_12future_valueIySA_EEyNS0_19lookback_scan_stateIyLb0ELb1EEEEEvT2_T3_mT5_T4_T7_jPT6_SN_bb
    .private_segment_fixed_size: 0
    .sgpr_count:     74
    .sgpr_spill_count: 0
    .symbol:         _ZN7rocprim6detail20lookback_scan_kernelILNS0_25lookback_scan_determinismE0ELb1ENS0_19wrapped_scan_configINS_14default_configEyEEN6hipcub22TransformInputIteratorIyNS6_6CastOpIyEEPylEESA_NS6_3MinENS_12future_valueIySA_EEyNS0_19lookback_scan_stateIyLb0ELb1EEEEEvT2_T3_mT5_T4_T7_jPT6_SN_bb.kd
    .uniform_work_group_size: 1
    .uses_dynamic_stack: false
    .vgpr_count:     67
    .vgpr_spill_count: 0
    .wavefront_size: 64
  - .agpr_count:     0
    .args:
      - .offset:         0
        .size:           16
        .value_kind:     by_value
      - .offset:         16
        .size:           8
        .value_kind:     by_value
      - .address_space:  global
        .offset:         24
        .size:           8
        .value_kind:     global_buffer
      - .address_space:  global
        .offset:         32
        .size:           8
        .value_kind:     global_buffer
      - .offset:         40
        .size:           1
        .value_kind:     by_value
    .group_segment_fixed_size: 30720
    .kernarg_segment_align: 8
    .kernarg_segment_size: 44
    .language:       OpenCL C
    .language_version:
      - 2
      - 0
    .max_flat_workgroup_size: 256
    .name:           _ZN7rocprim6detail18single_scan_kernelILb1ENS0_19wrapped_scan_configINS_14default_configEyEEN6hipcub22TransformInputIteratorIyNS5_6CastOpIyEEPylEES9_NS5_3MinENS_12future_valueIyS9_EEyEEvT1_mT4_T2_T3_
    .private_segment_fixed_size: 0
    .sgpr_count:     78
    .sgpr_spill_count: 0
    .symbol:         _ZN7rocprim6detail18single_scan_kernelILb1ENS0_19wrapped_scan_configINS_14default_configEyEEN6hipcub22TransformInputIteratorIyNS5_6CastOpIyEEPylEES9_NS5_3MinENS_12future_valueIyS9_EEyEEvT1_mT4_T2_T3_.kd
    .uniform_work_group_size: 1
    .uses_dynamic_stack: false
    .vgpr_count:     48
    .vgpr_spill_count: 0
    .wavefront_size: 64
  - .agpr_count:     0
    .args:
      - .address_space:  global
        .offset:         0
        .size:           8
        .value_kind:     global_buffer
      - .offset:         8
        .size:           8
        .value_kind:     by_value
    .group_segment_fixed_size: 0
    .kernarg_segment_align: 8
    .kernarg_segment_size: 16
    .language:       OpenCL C
    .language_version:
      - 2
      - 0
    .max_flat_workgroup_size: 1024
    .name:           _ZL18fill_initial_valueIyEvPT_S0_
    .private_segment_fixed_size: 0
    .sgpr_count:     10
    .sgpr_spill_count: 0
    .symbol:         _ZL18fill_initial_valueIyEvPT_S0_.kd
    .uniform_work_group_size: 1
    .uses_dynamic_stack: false
    .vgpr_count:     3
    .vgpr_spill_count: 0
    .wavefront_size: 64
amdhsa.target:   amdgcn-amd-amdhsa--gfx942
amdhsa.version:
  - 1
  - 2
...

	.end_amdgpu_metadata
